;; amdgpu-corpus repo=ROCm/rocThrust kind=compiled arch=gfx90a opt=O3
	.text
	.amdgcn_target "amdgcn-amd-amdhsa--gfx90a"
	.amdhsa_code_object_version 6
	.section	.text._ZN6thrust23THRUST_200600_302600_NS11hip_rocprim14__parallel_for6kernelILj256ENS1_10for_each_fINS0_7pointerINS0_5tupleIffNS0_9null_typeES7_S7_S7_S7_S7_S7_S7_EENS1_3tagENS0_11use_defaultESA_EENS0_6detail16wrapped_functionINSC_23allocator_traits_detail24construct1_via_allocatorINSC_18no_throw_allocatorINSC_19temporary_allocatorIS8_S9_EEEEEEvEEEEmLj1EEEvT0_T1_SO_,"axG",@progbits,_ZN6thrust23THRUST_200600_302600_NS11hip_rocprim14__parallel_for6kernelILj256ENS1_10for_each_fINS0_7pointerINS0_5tupleIffNS0_9null_typeES7_S7_S7_S7_S7_S7_S7_EENS1_3tagENS0_11use_defaultESA_EENS0_6detail16wrapped_functionINSC_23allocator_traits_detail24construct1_via_allocatorINSC_18no_throw_allocatorINSC_19temporary_allocatorIS8_S9_EEEEEEvEEEEmLj1EEEvT0_T1_SO_,comdat
	.protected	_ZN6thrust23THRUST_200600_302600_NS11hip_rocprim14__parallel_for6kernelILj256ENS1_10for_each_fINS0_7pointerINS0_5tupleIffNS0_9null_typeES7_S7_S7_S7_S7_S7_S7_EENS1_3tagENS0_11use_defaultESA_EENS0_6detail16wrapped_functionINSC_23allocator_traits_detail24construct1_via_allocatorINSC_18no_throw_allocatorINSC_19temporary_allocatorIS8_S9_EEEEEEvEEEEmLj1EEEvT0_T1_SO_ ; -- Begin function _ZN6thrust23THRUST_200600_302600_NS11hip_rocprim14__parallel_for6kernelILj256ENS1_10for_each_fINS0_7pointerINS0_5tupleIffNS0_9null_typeES7_S7_S7_S7_S7_S7_S7_EENS1_3tagENS0_11use_defaultESA_EENS0_6detail16wrapped_functionINSC_23allocator_traits_detail24construct1_via_allocatorINSC_18no_throw_allocatorINSC_19temporary_allocatorIS8_S9_EEEEEEvEEEEmLj1EEEvT0_T1_SO_
	.globl	_ZN6thrust23THRUST_200600_302600_NS11hip_rocprim14__parallel_for6kernelILj256ENS1_10for_each_fINS0_7pointerINS0_5tupleIffNS0_9null_typeES7_S7_S7_S7_S7_S7_S7_EENS1_3tagENS0_11use_defaultESA_EENS0_6detail16wrapped_functionINSC_23allocator_traits_detail24construct1_via_allocatorINSC_18no_throw_allocatorINSC_19temporary_allocatorIS8_S9_EEEEEEvEEEEmLj1EEEvT0_T1_SO_
	.p2align	8
	.type	_ZN6thrust23THRUST_200600_302600_NS11hip_rocprim14__parallel_for6kernelILj256ENS1_10for_each_fINS0_7pointerINS0_5tupleIffNS0_9null_typeES7_S7_S7_S7_S7_S7_S7_EENS1_3tagENS0_11use_defaultESA_EENS0_6detail16wrapped_functionINSC_23allocator_traits_detail24construct1_via_allocatorINSC_18no_throw_allocatorINSC_19temporary_allocatorIS8_S9_EEEEEEvEEEEmLj1EEEvT0_T1_SO_,@function
_ZN6thrust23THRUST_200600_302600_NS11hip_rocprim14__parallel_for6kernelILj256ENS1_10for_each_fINS0_7pointerINS0_5tupleIffNS0_9null_typeES7_S7_S7_S7_S7_S7_S7_EENS1_3tagENS0_11use_defaultESA_EENS0_6detail16wrapped_functionINSC_23allocator_traits_detail24construct1_via_allocatorINSC_18no_throw_allocatorINSC_19temporary_allocatorIS8_S9_EEEEEEvEEEEmLj1EEEvT0_T1_SO_: ; @_ZN6thrust23THRUST_200600_302600_NS11hip_rocprim14__parallel_for6kernelILj256ENS1_10for_each_fINS0_7pointerINS0_5tupleIffNS0_9null_typeES7_S7_S7_S7_S7_S7_S7_EENS1_3tagENS0_11use_defaultESA_EENS0_6detail16wrapped_functionINSC_23allocator_traits_detail24construct1_via_allocatorINSC_18no_throw_allocatorINSC_19temporary_allocatorIS8_S9_EEEEEEvEEEEmLj1EEEvT0_T1_SO_
; %bb.0:
	s_load_dwordx4 s[8:11], s[4:5], 0x10
	s_load_dwordx2 s[0:1], s[4:5], 0x0
	s_lshl_b32 s2, s6, 8
	v_mov_b32_e32 v2, 0x100
	v_mov_b32_e32 v3, 0
	s_waitcnt lgkmcnt(0)
	s_add_u32 s4, s2, s10
	s_addc_u32 s5, 0, s11
	s_sub_u32 s2, s8, s4
	s_subb_u32 s3, s9, s5
	v_cmp_lt_u64_e32 vcc, s[2:3], v[2:3]
	s_cbranch_vccz .LBB0_4
; %bb.1:
	v_cmp_gt_u32_e32 vcc, s2, v0
	s_mov_b64 s[6:7], 0
	s_mov_b64 s[2:3], 0
                                        ; implicit-def: $vgpr2_vgpr3
	s_and_saveexec_b64 s[8:9], vcc
	s_xor_b64 s[8:9], exec, s[8:9]
; %bb.2:
	s_lshl_b64 s[10:11], s[4:5], 3
	s_add_u32 s10, s0, s10
	s_addc_u32 s11, s1, s11
	v_lshlrev_b32_e32 v1, 3, v0
	v_mov_b32_e32 v3, s11
	v_add_co_u32_e32 v2, vcc, s10, v1
	s_mov_b64 s[2:3], exec
	v_addc_co_u32_e32 v3, vcc, 0, v3, vcc
; %bb.3:
	s_or_b64 exec, exec, s[8:9]
	s_and_b64 vcc, exec, s[6:7]
	s_cbranch_vccnz .LBB0_5
	s_branch .LBB0_6
.LBB0_4:
	s_mov_b64 s[2:3], 0
                                        ; implicit-def: $vgpr2_vgpr3
	s_cbranch_execz .LBB0_6
.LBB0_5:
	s_lshl_b64 s[4:5], s[4:5], 3
	s_add_u32 s0, s0, s4
	s_addc_u32 s1, s1, s5
	v_lshlrev_b32_e32 v0, 3, v0
	v_mov_b32_e32 v1, s1
	v_add_co_u32_e32 v2, vcc, s0, v0
	v_addc_co_u32_e32 v3, vcc, 0, v1, vcc
	s_or_b64 s[2:3], s[2:3], exec
.LBB0_6:
	s_and_saveexec_b64 s[0:1], s[2:3]
	s_cbranch_execnz .LBB0_8
; %bb.7:
	s_endpgm
.LBB0_8:
	v_mov_b32_e32 v0, 0
	v_mov_b32_e32 v1, v0
	flat_store_dwordx2 v[2:3], v[0:1]
	s_endpgm
	.section	.rodata,"a",@progbits
	.p2align	6, 0x0
	.amdhsa_kernel _ZN6thrust23THRUST_200600_302600_NS11hip_rocprim14__parallel_for6kernelILj256ENS1_10for_each_fINS0_7pointerINS0_5tupleIffNS0_9null_typeES7_S7_S7_S7_S7_S7_S7_EENS1_3tagENS0_11use_defaultESA_EENS0_6detail16wrapped_functionINSC_23allocator_traits_detail24construct1_via_allocatorINSC_18no_throw_allocatorINSC_19temporary_allocatorIS8_S9_EEEEEEvEEEEmLj1EEEvT0_T1_SO_
		.amdhsa_group_segment_fixed_size 0
		.amdhsa_private_segment_fixed_size 0
		.amdhsa_kernarg_size 32
		.amdhsa_user_sgpr_count 6
		.amdhsa_user_sgpr_private_segment_buffer 1
		.amdhsa_user_sgpr_dispatch_ptr 0
		.amdhsa_user_sgpr_queue_ptr 0
		.amdhsa_user_sgpr_kernarg_segment_ptr 1
		.amdhsa_user_sgpr_dispatch_id 0
		.amdhsa_user_sgpr_flat_scratch_init 0
		.amdhsa_user_sgpr_kernarg_preload_length 0
		.amdhsa_user_sgpr_kernarg_preload_offset 0
		.amdhsa_user_sgpr_private_segment_size 0
		.amdhsa_uses_dynamic_stack 0
		.amdhsa_system_sgpr_private_segment_wavefront_offset 0
		.amdhsa_system_sgpr_workgroup_id_x 1
		.amdhsa_system_sgpr_workgroup_id_y 0
		.amdhsa_system_sgpr_workgroup_id_z 0
		.amdhsa_system_sgpr_workgroup_info 0
		.amdhsa_system_vgpr_workitem_id 0
		.amdhsa_next_free_vgpr 4
		.amdhsa_next_free_sgpr 12
		.amdhsa_accum_offset 4
		.amdhsa_reserve_vcc 1
		.amdhsa_reserve_flat_scratch 0
		.amdhsa_float_round_mode_32 0
		.amdhsa_float_round_mode_16_64 0
		.amdhsa_float_denorm_mode_32 3
		.amdhsa_float_denorm_mode_16_64 3
		.amdhsa_dx10_clamp 1
		.amdhsa_ieee_mode 1
		.amdhsa_fp16_overflow 0
		.amdhsa_tg_split 0
		.amdhsa_exception_fp_ieee_invalid_op 0
		.amdhsa_exception_fp_denorm_src 0
		.amdhsa_exception_fp_ieee_div_zero 0
		.amdhsa_exception_fp_ieee_overflow 0
		.amdhsa_exception_fp_ieee_underflow 0
		.amdhsa_exception_fp_ieee_inexact 0
		.amdhsa_exception_int_div_zero 0
	.end_amdhsa_kernel
	.section	.text._ZN6thrust23THRUST_200600_302600_NS11hip_rocprim14__parallel_for6kernelILj256ENS1_10for_each_fINS0_7pointerINS0_5tupleIffNS0_9null_typeES7_S7_S7_S7_S7_S7_S7_EENS1_3tagENS0_11use_defaultESA_EENS0_6detail16wrapped_functionINSC_23allocator_traits_detail24construct1_via_allocatorINSC_18no_throw_allocatorINSC_19temporary_allocatorIS8_S9_EEEEEEvEEEEmLj1EEEvT0_T1_SO_,"axG",@progbits,_ZN6thrust23THRUST_200600_302600_NS11hip_rocprim14__parallel_for6kernelILj256ENS1_10for_each_fINS0_7pointerINS0_5tupleIffNS0_9null_typeES7_S7_S7_S7_S7_S7_S7_EENS1_3tagENS0_11use_defaultESA_EENS0_6detail16wrapped_functionINSC_23allocator_traits_detail24construct1_via_allocatorINSC_18no_throw_allocatorINSC_19temporary_allocatorIS8_S9_EEEEEEvEEEEmLj1EEEvT0_T1_SO_,comdat
.Lfunc_end0:
	.size	_ZN6thrust23THRUST_200600_302600_NS11hip_rocprim14__parallel_for6kernelILj256ENS1_10for_each_fINS0_7pointerINS0_5tupleIffNS0_9null_typeES7_S7_S7_S7_S7_S7_S7_EENS1_3tagENS0_11use_defaultESA_EENS0_6detail16wrapped_functionINSC_23allocator_traits_detail24construct1_via_allocatorINSC_18no_throw_allocatorINSC_19temporary_allocatorIS8_S9_EEEEEEvEEEEmLj1EEEvT0_T1_SO_, .Lfunc_end0-_ZN6thrust23THRUST_200600_302600_NS11hip_rocprim14__parallel_for6kernelILj256ENS1_10for_each_fINS0_7pointerINS0_5tupleIffNS0_9null_typeES7_S7_S7_S7_S7_S7_S7_EENS1_3tagENS0_11use_defaultESA_EENS0_6detail16wrapped_functionINSC_23allocator_traits_detail24construct1_via_allocatorINSC_18no_throw_allocatorINSC_19temporary_allocatorIS8_S9_EEEEEEvEEEEmLj1EEEvT0_T1_SO_
                                        ; -- End function
	.section	.AMDGPU.csdata,"",@progbits
; Kernel info:
; codeLenInByte = 200
; NumSgprs: 16
; NumVgprs: 4
; NumAgprs: 0
; TotalNumVgprs: 4
; ScratchSize: 0
; MemoryBound: 0
; FloatMode: 240
; IeeeMode: 1
; LDSByteSize: 0 bytes/workgroup (compile time only)
; SGPRBlocks: 1
; VGPRBlocks: 0
; NumSGPRsForWavesPerEU: 16
; NumVGPRsForWavesPerEU: 4
; AccumOffset: 4
; Occupancy: 8
; WaveLimiterHint : 0
; COMPUTE_PGM_RSRC2:SCRATCH_EN: 0
; COMPUTE_PGM_RSRC2:USER_SGPR: 6
; COMPUTE_PGM_RSRC2:TRAP_HANDLER: 0
; COMPUTE_PGM_RSRC2:TGID_X_EN: 1
; COMPUTE_PGM_RSRC2:TGID_Y_EN: 0
; COMPUTE_PGM_RSRC2:TGID_Z_EN: 0
; COMPUTE_PGM_RSRC2:TIDIG_COMP_CNT: 0
; COMPUTE_PGM_RSRC3_GFX90A:ACCUM_OFFSET: 0
; COMPUTE_PGM_RSRC3_GFX90A:TG_SPLIT: 0
	.section	.text._ZN6thrust23THRUST_200600_302600_NS11hip_rocprim14__parallel_for6kernelILj256ENS1_10for_each_fINS0_7pointerINS0_5tupleIffNS0_9null_typeES7_S7_S7_S7_S7_S7_S7_EENS1_3tagENS0_11use_defaultESA_EENS0_6detail16wrapped_functionINSC_23allocator_traits_detail5gozerEvEEEElLj1EEEvT0_T1_SJ_,"axG",@progbits,_ZN6thrust23THRUST_200600_302600_NS11hip_rocprim14__parallel_for6kernelILj256ENS1_10for_each_fINS0_7pointerINS0_5tupleIffNS0_9null_typeES7_S7_S7_S7_S7_S7_S7_EENS1_3tagENS0_11use_defaultESA_EENS0_6detail16wrapped_functionINSC_23allocator_traits_detail5gozerEvEEEElLj1EEEvT0_T1_SJ_,comdat
	.protected	_ZN6thrust23THRUST_200600_302600_NS11hip_rocprim14__parallel_for6kernelILj256ENS1_10for_each_fINS0_7pointerINS0_5tupleIffNS0_9null_typeES7_S7_S7_S7_S7_S7_S7_EENS1_3tagENS0_11use_defaultESA_EENS0_6detail16wrapped_functionINSC_23allocator_traits_detail5gozerEvEEEElLj1EEEvT0_T1_SJ_ ; -- Begin function _ZN6thrust23THRUST_200600_302600_NS11hip_rocprim14__parallel_for6kernelILj256ENS1_10for_each_fINS0_7pointerINS0_5tupleIffNS0_9null_typeES7_S7_S7_S7_S7_S7_S7_EENS1_3tagENS0_11use_defaultESA_EENS0_6detail16wrapped_functionINSC_23allocator_traits_detail5gozerEvEEEElLj1EEEvT0_T1_SJ_
	.globl	_ZN6thrust23THRUST_200600_302600_NS11hip_rocprim14__parallel_for6kernelILj256ENS1_10for_each_fINS0_7pointerINS0_5tupleIffNS0_9null_typeES7_S7_S7_S7_S7_S7_S7_EENS1_3tagENS0_11use_defaultESA_EENS0_6detail16wrapped_functionINSC_23allocator_traits_detail5gozerEvEEEElLj1EEEvT0_T1_SJ_
	.p2align	8
	.type	_ZN6thrust23THRUST_200600_302600_NS11hip_rocprim14__parallel_for6kernelILj256ENS1_10for_each_fINS0_7pointerINS0_5tupleIffNS0_9null_typeES7_S7_S7_S7_S7_S7_S7_EENS1_3tagENS0_11use_defaultESA_EENS0_6detail16wrapped_functionINSC_23allocator_traits_detail5gozerEvEEEElLj1EEEvT0_T1_SJ_,@function
_ZN6thrust23THRUST_200600_302600_NS11hip_rocprim14__parallel_for6kernelILj256ENS1_10for_each_fINS0_7pointerINS0_5tupleIffNS0_9null_typeES7_S7_S7_S7_S7_S7_S7_EENS1_3tagENS0_11use_defaultESA_EENS0_6detail16wrapped_functionINSC_23allocator_traits_detail5gozerEvEEEElLj1EEEvT0_T1_SJ_: ; @_ZN6thrust23THRUST_200600_302600_NS11hip_rocprim14__parallel_for6kernelILj256ENS1_10for_each_fINS0_7pointerINS0_5tupleIffNS0_9null_typeES7_S7_S7_S7_S7_S7_S7_EENS1_3tagENS0_11use_defaultESA_EENS0_6detail16wrapped_functionINSC_23allocator_traits_detail5gozerEvEEEElLj1EEEvT0_T1_SJ_
; %bb.0:
	s_endpgm
	.section	.rodata,"a",@progbits
	.p2align	6, 0x0
	.amdhsa_kernel _ZN6thrust23THRUST_200600_302600_NS11hip_rocprim14__parallel_for6kernelILj256ENS1_10for_each_fINS0_7pointerINS0_5tupleIffNS0_9null_typeES7_S7_S7_S7_S7_S7_S7_EENS1_3tagENS0_11use_defaultESA_EENS0_6detail16wrapped_functionINSC_23allocator_traits_detail5gozerEvEEEElLj1EEEvT0_T1_SJ_
		.amdhsa_group_segment_fixed_size 0
		.amdhsa_private_segment_fixed_size 0
		.amdhsa_kernarg_size 32
		.amdhsa_user_sgpr_count 6
		.amdhsa_user_sgpr_private_segment_buffer 1
		.amdhsa_user_sgpr_dispatch_ptr 0
		.amdhsa_user_sgpr_queue_ptr 0
		.amdhsa_user_sgpr_kernarg_segment_ptr 1
		.amdhsa_user_sgpr_dispatch_id 0
		.amdhsa_user_sgpr_flat_scratch_init 0
		.amdhsa_user_sgpr_kernarg_preload_length 0
		.amdhsa_user_sgpr_kernarg_preload_offset 0
		.amdhsa_user_sgpr_private_segment_size 0
		.amdhsa_uses_dynamic_stack 0
		.amdhsa_system_sgpr_private_segment_wavefront_offset 0
		.amdhsa_system_sgpr_workgroup_id_x 1
		.amdhsa_system_sgpr_workgroup_id_y 0
		.amdhsa_system_sgpr_workgroup_id_z 0
		.amdhsa_system_sgpr_workgroup_info 0
		.amdhsa_system_vgpr_workitem_id 0
		.amdhsa_next_free_vgpr 1
		.amdhsa_next_free_sgpr 0
		.amdhsa_accum_offset 4
		.amdhsa_reserve_vcc 0
		.amdhsa_reserve_flat_scratch 0
		.amdhsa_float_round_mode_32 0
		.amdhsa_float_round_mode_16_64 0
		.amdhsa_float_denorm_mode_32 3
		.amdhsa_float_denorm_mode_16_64 3
		.amdhsa_dx10_clamp 1
		.amdhsa_ieee_mode 1
		.amdhsa_fp16_overflow 0
		.amdhsa_tg_split 0
		.amdhsa_exception_fp_ieee_invalid_op 0
		.amdhsa_exception_fp_denorm_src 0
		.amdhsa_exception_fp_ieee_div_zero 0
		.amdhsa_exception_fp_ieee_overflow 0
		.amdhsa_exception_fp_ieee_underflow 0
		.amdhsa_exception_fp_ieee_inexact 0
		.amdhsa_exception_int_div_zero 0
	.end_amdhsa_kernel
	.section	.text._ZN6thrust23THRUST_200600_302600_NS11hip_rocprim14__parallel_for6kernelILj256ENS1_10for_each_fINS0_7pointerINS0_5tupleIffNS0_9null_typeES7_S7_S7_S7_S7_S7_S7_EENS1_3tagENS0_11use_defaultESA_EENS0_6detail16wrapped_functionINSC_23allocator_traits_detail5gozerEvEEEElLj1EEEvT0_T1_SJ_,"axG",@progbits,_ZN6thrust23THRUST_200600_302600_NS11hip_rocprim14__parallel_for6kernelILj256ENS1_10for_each_fINS0_7pointerINS0_5tupleIffNS0_9null_typeES7_S7_S7_S7_S7_S7_S7_EENS1_3tagENS0_11use_defaultESA_EENS0_6detail16wrapped_functionINSC_23allocator_traits_detail5gozerEvEEEElLj1EEEvT0_T1_SJ_,comdat
.Lfunc_end1:
	.size	_ZN6thrust23THRUST_200600_302600_NS11hip_rocprim14__parallel_for6kernelILj256ENS1_10for_each_fINS0_7pointerINS0_5tupleIffNS0_9null_typeES7_S7_S7_S7_S7_S7_S7_EENS1_3tagENS0_11use_defaultESA_EENS0_6detail16wrapped_functionINSC_23allocator_traits_detail5gozerEvEEEElLj1EEEvT0_T1_SJ_, .Lfunc_end1-_ZN6thrust23THRUST_200600_302600_NS11hip_rocprim14__parallel_for6kernelILj256ENS1_10for_each_fINS0_7pointerINS0_5tupleIffNS0_9null_typeES7_S7_S7_S7_S7_S7_S7_EENS1_3tagENS0_11use_defaultESA_EENS0_6detail16wrapped_functionINSC_23allocator_traits_detail5gozerEvEEEElLj1EEEvT0_T1_SJ_
                                        ; -- End function
	.section	.AMDGPU.csdata,"",@progbits
; Kernel info:
; codeLenInByte = 4
; NumSgprs: 4
; NumVgprs: 0
; NumAgprs: 0
; TotalNumVgprs: 0
; ScratchSize: 0
; MemoryBound: 0
; FloatMode: 240
; IeeeMode: 1
; LDSByteSize: 0 bytes/workgroup (compile time only)
; SGPRBlocks: 0
; VGPRBlocks: 0
; NumSGPRsForWavesPerEU: 4
; NumVGPRsForWavesPerEU: 1
; AccumOffset: 4
; Occupancy: 8
; WaveLimiterHint : 0
; COMPUTE_PGM_RSRC2:SCRATCH_EN: 0
; COMPUTE_PGM_RSRC2:USER_SGPR: 6
; COMPUTE_PGM_RSRC2:TRAP_HANDLER: 0
; COMPUTE_PGM_RSRC2:TGID_X_EN: 1
; COMPUTE_PGM_RSRC2:TGID_Y_EN: 0
; COMPUTE_PGM_RSRC2:TGID_Z_EN: 0
; COMPUTE_PGM_RSRC2:TIDIG_COMP_CNT: 0
; COMPUTE_PGM_RSRC3_GFX90A:ACCUM_OFFSET: 0
; COMPUTE_PGM_RSRC3_GFX90A:TG_SPLIT: 0
	.section	.text._ZN6thrust23THRUST_200600_302600_NS11hip_rocprim14__parallel_for6kernelILj256ENS1_11__transform17unary_transform_fINS0_7pointerINS0_5tupleIffNS0_9null_typeES8_S8_S8_S8_S8_S8_S8_EENS1_3tagENS0_11use_defaultESB_EENS0_10device_ptrIS9_EENS4_14no_stencil_tagENS0_8identityIS9_EENS4_21always_true_predicateEEElLj1EEEvT0_T1_SL_,"axG",@progbits,_ZN6thrust23THRUST_200600_302600_NS11hip_rocprim14__parallel_for6kernelILj256ENS1_11__transform17unary_transform_fINS0_7pointerINS0_5tupleIffNS0_9null_typeES8_S8_S8_S8_S8_S8_S8_EENS1_3tagENS0_11use_defaultESB_EENS0_10device_ptrIS9_EENS4_14no_stencil_tagENS0_8identityIS9_EENS4_21always_true_predicateEEElLj1EEEvT0_T1_SL_,comdat
	.protected	_ZN6thrust23THRUST_200600_302600_NS11hip_rocprim14__parallel_for6kernelILj256ENS1_11__transform17unary_transform_fINS0_7pointerINS0_5tupleIffNS0_9null_typeES8_S8_S8_S8_S8_S8_S8_EENS1_3tagENS0_11use_defaultESB_EENS0_10device_ptrIS9_EENS4_14no_stencil_tagENS0_8identityIS9_EENS4_21always_true_predicateEEElLj1EEEvT0_T1_SL_ ; -- Begin function _ZN6thrust23THRUST_200600_302600_NS11hip_rocprim14__parallel_for6kernelILj256ENS1_11__transform17unary_transform_fINS0_7pointerINS0_5tupleIffNS0_9null_typeES8_S8_S8_S8_S8_S8_S8_EENS1_3tagENS0_11use_defaultESB_EENS0_10device_ptrIS9_EENS4_14no_stencil_tagENS0_8identityIS9_EENS4_21always_true_predicateEEElLj1EEEvT0_T1_SL_
	.globl	_ZN6thrust23THRUST_200600_302600_NS11hip_rocprim14__parallel_for6kernelILj256ENS1_11__transform17unary_transform_fINS0_7pointerINS0_5tupleIffNS0_9null_typeES8_S8_S8_S8_S8_S8_S8_EENS1_3tagENS0_11use_defaultESB_EENS0_10device_ptrIS9_EENS4_14no_stencil_tagENS0_8identityIS9_EENS4_21always_true_predicateEEElLj1EEEvT0_T1_SL_
	.p2align	8
	.type	_ZN6thrust23THRUST_200600_302600_NS11hip_rocprim14__parallel_for6kernelILj256ENS1_11__transform17unary_transform_fINS0_7pointerINS0_5tupleIffNS0_9null_typeES8_S8_S8_S8_S8_S8_S8_EENS1_3tagENS0_11use_defaultESB_EENS0_10device_ptrIS9_EENS4_14no_stencil_tagENS0_8identityIS9_EENS4_21always_true_predicateEEElLj1EEEvT0_T1_SL_,@function
_ZN6thrust23THRUST_200600_302600_NS11hip_rocprim14__parallel_for6kernelILj256ENS1_11__transform17unary_transform_fINS0_7pointerINS0_5tupleIffNS0_9null_typeES8_S8_S8_S8_S8_S8_S8_EENS1_3tagENS0_11use_defaultESB_EENS0_10device_ptrIS9_EENS4_14no_stencil_tagENS0_8identityIS9_EENS4_21always_true_predicateEEElLj1EEEvT0_T1_SL_: ; @_ZN6thrust23THRUST_200600_302600_NS11hip_rocprim14__parallel_for6kernelILj256ENS1_11__transform17unary_transform_fINS0_7pointerINS0_5tupleIffNS0_9null_typeES8_S8_S8_S8_S8_S8_S8_EENS1_3tagENS0_11use_defaultESB_EENS0_10device_ptrIS9_EENS4_14no_stencil_tagENS0_8identityIS9_EENS4_21always_true_predicateEEElLj1EEEvT0_T1_SL_
; %bb.0:
	s_load_dwordx4 s[8:11], s[4:5], 0x18
	s_load_dwordx4 s[0:3], s[4:5], 0x0
	s_lshl_b32 s4, s6, 8
	v_mov_b32_e32 v2, 0x100
	v_mov_b32_e32 v3, 0
	s_waitcnt lgkmcnt(0)
	s_add_u32 s6, s4, s10
	s_addc_u32 s7, 0, s11
	s_sub_u32 s4, s8, s6
	s_subb_u32 s5, s9, s7
	v_cmp_lt_i64_e32 vcc, s[4:5], v[2:3]
	s_and_b64 s[8:9], vcc, exec
	s_cselect_b32 s8, s4, 0x100
	s_cmpk_lg_i32 s8, 0x100
	s_mov_b64 s[4:5], -1
	s_cbranch_scc1 .LBB2_3
; %bb.1:
	s_andn2_b64 vcc, exec, s[4:5]
	s_cbranch_vccz .LBB2_6
.LBB2_2:
	s_endpgm
.LBB2_3:
	v_cmp_gt_u32_e32 vcc, s8, v0
	s_and_saveexec_b64 s[4:5], vcc
	s_cbranch_execz .LBB2_5
; %bb.4:
	v_mov_b32_e32 v1, s7
	v_add_co_u32_e32 v2, vcc, s6, v0
	v_addc_co_u32_e32 v3, vcc, 0, v1, vcc
	v_lshlrev_b64 v[2:3], 3, v[2:3]
	v_mov_b32_e32 v1, s1
	v_add_co_u32_e32 v4, vcc, s0, v2
	v_addc_co_u32_e32 v5, vcc, v1, v3, vcc
	flat_load_dwordx2 v[4:5], v[4:5]
	v_mov_b32_e32 v1, s3
	v_add_co_u32_e32 v2, vcc, s2, v2
	v_addc_co_u32_e32 v3, vcc, v1, v3, vcc
	s_waitcnt vmcnt(0) lgkmcnt(0)
	flat_store_dwordx2 v[2:3], v[4:5]
.LBB2_5:
	s_or_b64 exec, exec, s[4:5]
	s_cbranch_execnz .LBB2_2
.LBB2_6:
	v_mov_b32_e32 v1, s7
	v_add_co_u32_e32 v0, vcc, s6, v0
	v_addc_co_u32_e32 v1, vcc, 0, v1, vcc
	v_lshlrev_b64 v[0:1], 3, v[0:1]
	v_mov_b32_e32 v3, s1
	v_add_co_u32_e32 v2, vcc, s0, v0
	v_addc_co_u32_e32 v3, vcc, v3, v1, vcc
	flat_load_dwordx2 v[2:3], v[2:3]
	v_mov_b32_e32 v4, s3
	v_add_co_u32_e32 v0, vcc, s2, v0
	v_addc_co_u32_e32 v1, vcc, v4, v1, vcc
	s_waitcnt vmcnt(0) lgkmcnt(0)
	flat_store_dwordx2 v[0:1], v[2:3]
	s_endpgm
	.section	.rodata,"a",@progbits
	.p2align	6, 0x0
	.amdhsa_kernel _ZN6thrust23THRUST_200600_302600_NS11hip_rocprim14__parallel_for6kernelILj256ENS1_11__transform17unary_transform_fINS0_7pointerINS0_5tupleIffNS0_9null_typeES8_S8_S8_S8_S8_S8_S8_EENS1_3tagENS0_11use_defaultESB_EENS0_10device_ptrIS9_EENS4_14no_stencil_tagENS0_8identityIS9_EENS4_21always_true_predicateEEElLj1EEEvT0_T1_SL_
		.amdhsa_group_segment_fixed_size 0
		.amdhsa_private_segment_fixed_size 0
		.amdhsa_kernarg_size 40
		.amdhsa_user_sgpr_count 6
		.amdhsa_user_sgpr_private_segment_buffer 1
		.amdhsa_user_sgpr_dispatch_ptr 0
		.amdhsa_user_sgpr_queue_ptr 0
		.amdhsa_user_sgpr_kernarg_segment_ptr 1
		.amdhsa_user_sgpr_dispatch_id 0
		.amdhsa_user_sgpr_flat_scratch_init 0
		.amdhsa_user_sgpr_kernarg_preload_length 0
		.amdhsa_user_sgpr_kernarg_preload_offset 0
		.amdhsa_user_sgpr_private_segment_size 0
		.amdhsa_uses_dynamic_stack 0
		.amdhsa_system_sgpr_private_segment_wavefront_offset 0
		.amdhsa_system_sgpr_workgroup_id_x 1
		.amdhsa_system_sgpr_workgroup_id_y 0
		.amdhsa_system_sgpr_workgroup_id_z 0
		.amdhsa_system_sgpr_workgroup_info 0
		.amdhsa_system_vgpr_workitem_id 0
		.amdhsa_next_free_vgpr 6
		.amdhsa_next_free_sgpr 12
		.amdhsa_accum_offset 8
		.amdhsa_reserve_vcc 1
		.amdhsa_reserve_flat_scratch 0
		.amdhsa_float_round_mode_32 0
		.amdhsa_float_round_mode_16_64 0
		.amdhsa_float_denorm_mode_32 3
		.amdhsa_float_denorm_mode_16_64 3
		.amdhsa_dx10_clamp 1
		.amdhsa_ieee_mode 1
		.amdhsa_fp16_overflow 0
		.amdhsa_tg_split 0
		.amdhsa_exception_fp_ieee_invalid_op 0
		.amdhsa_exception_fp_denorm_src 0
		.amdhsa_exception_fp_ieee_div_zero 0
		.amdhsa_exception_fp_ieee_overflow 0
		.amdhsa_exception_fp_ieee_underflow 0
		.amdhsa_exception_fp_ieee_inexact 0
		.amdhsa_exception_int_div_zero 0
	.end_amdhsa_kernel
	.section	.text._ZN6thrust23THRUST_200600_302600_NS11hip_rocprim14__parallel_for6kernelILj256ENS1_11__transform17unary_transform_fINS0_7pointerINS0_5tupleIffNS0_9null_typeES8_S8_S8_S8_S8_S8_S8_EENS1_3tagENS0_11use_defaultESB_EENS0_10device_ptrIS9_EENS4_14no_stencil_tagENS0_8identityIS9_EENS4_21always_true_predicateEEElLj1EEEvT0_T1_SL_,"axG",@progbits,_ZN6thrust23THRUST_200600_302600_NS11hip_rocprim14__parallel_for6kernelILj256ENS1_11__transform17unary_transform_fINS0_7pointerINS0_5tupleIffNS0_9null_typeES8_S8_S8_S8_S8_S8_S8_EENS1_3tagENS0_11use_defaultESB_EENS0_10device_ptrIS9_EENS4_14no_stencil_tagENS0_8identityIS9_EENS4_21always_true_predicateEEElLj1EEEvT0_T1_SL_,comdat
.Lfunc_end2:
	.size	_ZN6thrust23THRUST_200600_302600_NS11hip_rocprim14__parallel_for6kernelILj256ENS1_11__transform17unary_transform_fINS0_7pointerINS0_5tupleIffNS0_9null_typeES8_S8_S8_S8_S8_S8_S8_EENS1_3tagENS0_11use_defaultESB_EENS0_10device_ptrIS9_EENS4_14no_stencil_tagENS0_8identityIS9_EENS4_21always_true_predicateEEElLj1EEEvT0_T1_SL_, .Lfunc_end2-_ZN6thrust23THRUST_200600_302600_NS11hip_rocprim14__parallel_for6kernelILj256ENS1_11__transform17unary_transform_fINS0_7pointerINS0_5tupleIffNS0_9null_typeES8_S8_S8_S8_S8_S8_S8_EENS1_3tagENS0_11use_defaultESB_EENS0_10device_ptrIS9_EENS4_14no_stencil_tagENS0_8identityIS9_EENS4_21always_true_predicateEEElLj1EEEvT0_T1_SL_
                                        ; -- End function
	.section	.AMDGPU.csdata,"",@progbits
; Kernel info:
; codeLenInByte = 244
; NumSgprs: 16
; NumVgprs: 6
; NumAgprs: 0
; TotalNumVgprs: 6
; ScratchSize: 0
; MemoryBound: 0
; FloatMode: 240
; IeeeMode: 1
; LDSByteSize: 0 bytes/workgroup (compile time only)
; SGPRBlocks: 1
; VGPRBlocks: 0
; NumSGPRsForWavesPerEU: 16
; NumVGPRsForWavesPerEU: 6
; AccumOffset: 8
; Occupancy: 8
; WaveLimiterHint : 0
; COMPUTE_PGM_RSRC2:SCRATCH_EN: 0
; COMPUTE_PGM_RSRC2:USER_SGPR: 6
; COMPUTE_PGM_RSRC2:TRAP_HANDLER: 0
; COMPUTE_PGM_RSRC2:TGID_X_EN: 1
; COMPUTE_PGM_RSRC2:TGID_Y_EN: 0
; COMPUTE_PGM_RSRC2:TGID_Z_EN: 0
; COMPUTE_PGM_RSRC2:TIDIG_COMP_CNT: 0
; COMPUTE_PGM_RSRC3_GFX90A:ACCUM_OFFSET: 1
; COMPUTE_PGM_RSRC3_GFX90A:TG_SPLIT: 0
	.section	.text._ZN6thrust23THRUST_200600_302600_NS11hip_rocprim14__parallel_for6kernelILj256ENS1_20__uninitialized_copy7functorINS0_7pointerINS0_5tupleIffNS0_9null_typeES8_S8_S8_S8_S8_S8_S8_EENS1_3tagENS0_11use_defaultESB_EESC_EEmLj1EEEvT0_T1_SF_,"axG",@progbits,_ZN6thrust23THRUST_200600_302600_NS11hip_rocprim14__parallel_for6kernelILj256ENS1_20__uninitialized_copy7functorINS0_7pointerINS0_5tupleIffNS0_9null_typeES8_S8_S8_S8_S8_S8_S8_EENS1_3tagENS0_11use_defaultESB_EESC_EEmLj1EEEvT0_T1_SF_,comdat
	.protected	_ZN6thrust23THRUST_200600_302600_NS11hip_rocprim14__parallel_for6kernelILj256ENS1_20__uninitialized_copy7functorINS0_7pointerINS0_5tupleIffNS0_9null_typeES8_S8_S8_S8_S8_S8_S8_EENS1_3tagENS0_11use_defaultESB_EESC_EEmLj1EEEvT0_T1_SF_ ; -- Begin function _ZN6thrust23THRUST_200600_302600_NS11hip_rocprim14__parallel_for6kernelILj256ENS1_20__uninitialized_copy7functorINS0_7pointerINS0_5tupleIffNS0_9null_typeES8_S8_S8_S8_S8_S8_S8_EENS1_3tagENS0_11use_defaultESB_EESC_EEmLj1EEEvT0_T1_SF_
	.globl	_ZN6thrust23THRUST_200600_302600_NS11hip_rocprim14__parallel_for6kernelILj256ENS1_20__uninitialized_copy7functorINS0_7pointerINS0_5tupleIffNS0_9null_typeES8_S8_S8_S8_S8_S8_S8_EENS1_3tagENS0_11use_defaultESB_EESC_EEmLj1EEEvT0_T1_SF_
	.p2align	8
	.type	_ZN6thrust23THRUST_200600_302600_NS11hip_rocprim14__parallel_for6kernelILj256ENS1_20__uninitialized_copy7functorINS0_7pointerINS0_5tupleIffNS0_9null_typeES8_S8_S8_S8_S8_S8_S8_EENS1_3tagENS0_11use_defaultESB_EESC_EEmLj1EEEvT0_T1_SF_,@function
_ZN6thrust23THRUST_200600_302600_NS11hip_rocprim14__parallel_for6kernelILj256ENS1_20__uninitialized_copy7functorINS0_7pointerINS0_5tupleIffNS0_9null_typeES8_S8_S8_S8_S8_S8_S8_EENS1_3tagENS0_11use_defaultESB_EESC_EEmLj1EEEvT0_T1_SF_: ; @_ZN6thrust23THRUST_200600_302600_NS11hip_rocprim14__parallel_for6kernelILj256ENS1_20__uninitialized_copy7functorINS0_7pointerINS0_5tupleIffNS0_9null_typeES8_S8_S8_S8_S8_S8_S8_EENS1_3tagENS0_11use_defaultESB_EESC_EEmLj1EEEvT0_T1_SF_
; %bb.0:
	s_load_dwordx8 s[8:15], s[4:5], 0x0
	s_lshl_b32 s0, s6, 8
	v_mov_b32_e32 v2, 0x100
	v_mov_b32_e32 v3, 0
	s_waitcnt lgkmcnt(0)
	s_add_u32 s6, s0, s14
	s_addc_u32 s7, 0, s15
	s_sub_u32 s0, s12, s6
	s_subb_u32 s1, s13, s7
	v_cmp_lt_u64_e32 vcc, s[0:1], v[2:3]
	s_cbranch_vccz .LBB3_4
; %bb.1:
	v_cmp_gt_u32_e32 vcc, s0, v0
	s_mov_b64 s[2:3], 0
	s_mov_b64 s[0:1], 0
                                        ; implicit-def: $vgpr2_vgpr3
                                        ; implicit-def: $vgpr4_vgpr5
	s_and_saveexec_b64 s[4:5], vcc
	s_xor_b64 s[4:5], exec, s[4:5]
; %bb.2:
	v_mov_b32_e32 v1, s7
	v_add_co_u32_e32 v2, vcc, s6, v0
	v_addc_co_u32_e32 v3, vcc, 0, v1, vcc
	v_lshlrev_b64 v[4:5], 3, v[2:3]
	v_mov_b32_e32 v1, s11
	v_add_co_u32_e32 v2, vcc, s10, v4
	v_addc_co_u32_e32 v3, vcc, v1, v5, vcc
	v_mov_b32_e32 v1, s9
	v_add_co_u32_e32 v4, vcc, s8, v4
	s_mov_b64 s[0:1], exec
	v_addc_co_u32_e32 v5, vcc, v1, v5, vcc
; %bb.3:
	s_or_b64 exec, exec, s[4:5]
	s_and_b64 vcc, exec, s[2:3]
	s_cbranch_vccnz .LBB3_5
	s_branch .LBB3_6
.LBB3_4:
	s_mov_b64 s[0:1], 0
                                        ; implicit-def: $vgpr2_vgpr3
                                        ; implicit-def: $vgpr4_vgpr5
	s_cbranch_execz .LBB3_6
.LBB3_5:
	v_mov_b32_e32 v1, s7
	v_add_co_u32_e32 v0, vcc, s6, v0
	v_addc_co_u32_e32 v1, vcc, 0, v1, vcc
	v_lshlrev_b64 v[0:1], 3, v[0:1]
	v_mov_b32_e32 v2, s9
	v_add_co_u32_e32 v4, vcc, s8, v0
	v_addc_co_u32_e32 v5, vcc, v2, v1, vcc
	v_mov_b32_e32 v3, s11
	v_add_co_u32_e32 v2, vcc, s10, v0
	v_addc_co_u32_e32 v3, vcc, v3, v1, vcc
	s_or_b64 s[0:1], s[0:1], exec
.LBB3_6:
	s_and_saveexec_b64 s[2:3], s[0:1]
	s_cbranch_execnz .LBB3_8
; %bb.7:
	s_endpgm
.LBB3_8:
	flat_load_dwordx2 v[0:1], v[4:5]
	s_waitcnt vmcnt(0) lgkmcnt(0)
	flat_store_dwordx2 v[2:3], v[0:1]
	s_endpgm
	.section	.rodata,"a",@progbits
	.p2align	6, 0x0
	.amdhsa_kernel _ZN6thrust23THRUST_200600_302600_NS11hip_rocprim14__parallel_for6kernelILj256ENS1_20__uninitialized_copy7functorINS0_7pointerINS0_5tupleIffNS0_9null_typeES8_S8_S8_S8_S8_S8_S8_EENS1_3tagENS0_11use_defaultESB_EESC_EEmLj1EEEvT0_T1_SF_
		.amdhsa_group_segment_fixed_size 0
		.amdhsa_private_segment_fixed_size 0
		.amdhsa_kernarg_size 32
		.amdhsa_user_sgpr_count 6
		.amdhsa_user_sgpr_private_segment_buffer 1
		.amdhsa_user_sgpr_dispatch_ptr 0
		.amdhsa_user_sgpr_queue_ptr 0
		.amdhsa_user_sgpr_kernarg_segment_ptr 1
		.amdhsa_user_sgpr_dispatch_id 0
		.amdhsa_user_sgpr_flat_scratch_init 0
		.amdhsa_user_sgpr_kernarg_preload_length 0
		.amdhsa_user_sgpr_kernarg_preload_offset 0
		.amdhsa_user_sgpr_private_segment_size 0
		.amdhsa_uses_dynamic_stack 0
		.amdhsa_system_sgpr_private_segment_wavefront_offset 0
		.amdhsa_system_sgpr_workgroup_id_x 1
		.amdhsa_system_sgpr_workgroup_id_y 0
		.amdhsa_system_sgpr_workgroup_id_z 0
		.amdhsa_system_sgpr_workgroup_info 0
		.amdhsa_system_vgpr_workitem_id 0
		.amdhsa_next_free_vgpr 6
		.amdhsa_next_free_sgpr 16
		.amdhsa_accum_offset 8
		.amdhsa_reserve_vcc 1
		.amdhsa_reserve_flat_scratch 0
		.amdhsa_float_round_mode_32 0
		.amdhsa_float_round_mode_16_64 0
		.amdhsa_float_denorm_mode_32 3
		.amdhsa_float_denorm_mode_16_64 3
		.amdhsa_dx10_clamp 1
		.amdhsa_ieee_mode 1
		.amdhsa_fp16_overflow 0
		.amdhsa_tg_split 0
		.amdhsa_exception_fp_ieee_invalid_op 0
		.amdhsa_exception_fp_denorm_src 0
		.amdhsa_exception_fp_ieee_div_zero 0
		.amdhsa_exception_fp_ieee_overflow 0
		.amdhsa_exception_fp_ieee_underflow 0
		.amdhsa_exception_fp_ieee_inexact 0
		.amdhsa_exception_int_div_zero 0
	.end_amdhsa_kernel
	.section	.text._ZN6thrust23THRUST_200600_302600_NS11hip_rocprim14__parallel_for6kernelILj256ENS1_20__uninitialized_copy7functorINS0_7pointerINS0_5tupleIffNS0_9null_typeES8_S8_S8_S8_S8_S8_S8_EENS1_3tagENS0_11use_defaultESB_EESC_EEmLj1EEEvT0_T1_SF_,"axG",@progbits,_ZN6thrust23THRUST_200600_302600_NS11hip_rocprim14__parallel_for6kernelILj256ENS1_20__uninitialized_copy7functorINS0_7pointerINS0_5tupleIffNS0_9null_typeES8_S8_S8_S8_S8_S8_S8_EENS1_3tagENS0_11use_defaultESB_EESC_EEmLj1EEEvT0_T1_SF_,comdat
.Lfunc_end3:
	.size	_ZN6thrust23THRUST_200600_302600_NS11hip_rocprim14__parallel_for6kernelILj256ENS1_20__uninitialized_copy7functorINS0_7pointerINS0_5tupleIffNS0_9null_typeES8_S8_S8_S8_S8_S8_S8_EENS1_3tagENS0_11use_defaultESB_EESC_EEmLj1EEEvT0_T1_SF_, .Lfunc_end3-_ZN6thrust23THRUST_200600_302600_NS11hip_rocprim14__parallel_for6kernelILj256ENS1_20__uninitialized_copy7functorINS0_7pointerINS0_5tupleIffNS0_9null_typeES8_S8_S8_S8_S8_S8_S8_EENS1_3tagENS0_11use_defaultESB_EESC_EEmLj1EEEvT0_T1_SF_
                                        ; -- End function
	.section	.AMDGPU.csdata,"",@progbits
; Kernel info:
; codeLenInByte = 228
; NumSgprs: 20
; NumVgprs: 6
; NumAgprs: 0
; TotalNumVgprs: 6
; ScratchSize: 0
; MemoryBound: 1
; FloatMode: 240
; IeeeMode: 1
; LDSByteSize: 0 bytes/workgroup (compile time only)
; SGPRBlocks: 2
; VGPRBlocks: 0
; NumSGPRsForWavesPerEU: 20
; NumVGPRsForWavesPerEU: 6
; AccumOffset: 8
; Occupancy: 8
; WaveLimiterHint : 0
; COMPUTE_PGM_RSRC2:SCRATCH_EN: 0
; COMPUTE_PGM_RSRC2:USER_SGPR: 6
; COMPUTE_PGM_RSRC2:TRAP_HANDLER: 0
; COMPUTE_PGM_RSRC2:TGID_X_EN: 1
; COMPUTE_PGM_RSRC2:TGID_Y_EN: 0
; COMPUTE_PGM_RSRC2:TGID_Z_EN: 0
; COMPUTE_PGM_RSRC2:TIDIG_COMP_CNT: 0
; COMPUTE_PGM_RSRC3_GFX90A:ACCUM_OFFSET: 1
; COMPUTE_PGM_RSRC3_GFX90A:TG_SPLIT: 0
	.section	.text._ZN6thrust23THRUST_200600_302600_NS11hip_rocprim14__parallel_for6kernelILj256ENS1_10for_each_fINS0_10device_ptrINS0_5tupleIffNS0_9null_typeES7_S7_S7_S7_S7_S7_S7_EEEENS0_6detail16wrapped_functionINSA_23allocator_traits_detail5gozerEvEEEElLj1EEEvT0_T1_SH_,"axG",@progbits,_ZN6thrust23THRUST_200600_302600_NS11hip_rocprim14__parallel_for6kernelILj256ENS1_10for_each_fINS0_10device_ptrINS0_5tupleIffNS0_9null_typeES7_S7_S7_S7_S7_S7_S7_EEEENS0_6detail16wrapped_functionINSA_23allocator_traits_detail5gozerEvEEEElLj1EEEvT0_T1_SH_,comdat
	.protected	_ZN6thrust23THRUST_200600_302600_NS11hip_rocprim14__parallel_for6kernelILj256ENS1_10for_each_fINS0_10device_ptrINS0_5tupleIffNS0_9null_typeES7_S7_S7_S7_S7_S7_S7_EEEENS0_6detail16wrapped_functionINSA_23allocator_traits_detail5gozerEvEEEElLj1EEEvT0_T1_SH_ ; -- Begin function _ZN6thrust23THRUST_200600_302600_NS11hip_rocprim14__parallel_for6kernelILj256ENS1_10for_each_fINS0_10device_ptrINS0_5tupleIffNS0_9null_typeES7_S7_S7_S7_S7_S7_S7_EEEENS0_6detail16wrapped_functionINSA_23allocator_traits_detail5gozerEvEEEElLj1EEEvT0_T1_SH_
	.globl	_ZN6thrust23THRUST_200600_302600_NS11hip_rocprim14__parallel_for6kernelILj256ENS1_10for_each_fINS0_10device_ptrINS0_5tupleIffNS0_9null_typeES7_S7_S7_S7_S7_S7_S7_EEEENS0_6detail16wrapped_functionINSA_23allocator_traits_detail5gozerEvEEEElLj1EEEvT0_T1_SH_
	.p2align	8
	.type	_ZN6thrust23THRUST_200600_302600_NS11hip_rocprim14__parallel_for6kernelILj256ENS1_10for_each_fINS0_10device_ptrINS0_5tupleIffNS0_9null_typeES7_S7_S7_S7_S7_S7_S7_EEEENS0_6detail16wrapped_functionINSA_23allocator_traits_detail5gozerEvEEEElLj1EEEvT0_T1_SH_,@function
_ZN6thrust23THRUST_200600_302600_NS11hip_rocprim14__parallel_for6kernelILj256ENS1_10for_each_fINS0_10device_ptrINS0_5tupleIffNS0_9null_typeES7_S7_S7_S7_S7_S7_S7_EEEENS0_6detail16wrapped_functionINSA_23allocator_traits_detail5gozerEvEEEElLj1EEEvT0_T1_SH_: ; @_ZN6thrust23THRUST_200600_302600_NS11hip_rocprim14__parallel_for6kernelILj256ENS1_10for_each_fINS0_10device_ptrINS0_5tupleIffNS0_9null_typeES7_S7_S7_S7_S7_S7_S7_EEEENS0_6detail16wrapped_functionINSA_23allocator_traits_detail5gozerEvEEEElLj1EEEvT0_T1_SH_
; %bb.0:
	s_endpgm
	.section	.rodata,"a",@progbits
	.p2align	6, 0x0
	.amdhsa_kernel _ZN6thrust23THRUST_200600_302600_NS11hip_rocprim14__parallel_for6kernelILj256ENS1_10for_each_fINS0_10device_ptrINS0_5tupleIffNS0_9null_typeES7_S7_S7_S7_S7_S7_S7_EEEENS0_6detail16wrapped_functionINSA_23allocator_traits_detail5gozerEvEEEElLj1EEEvT0_T1_SH_
		.amdhsa_group_segment_fixed_size 0
		.amdhsa_private_segment_fixed_size 0
		.amdhsa_kernarg_size 32
		.amdhsa_user_sgpr_count 6
		.amdhsa_user_sgpr_private_segment_buffer 1
		.amdhsa_user_sgpr_dispatch_ptr 0
		.amdhsa_user_sgpr_queue_ptr 0
		.amdhsa_user_sgpr_kernarg_segment_ptr 1
		.amdhsa_user_sgpr_dispatch_id 0
		.amdhsa_user_sgpr_flat_scratch_init 0
		.amdhsa_user_sgpr_kernarg_preload_length 0
		.amdhsa_user_sgpr_kernarg_preload_offset 0
		.amdhsa_user_sgpr_private_segment_size 0
		.amdhsa_uses_dynamic_stack 0
		.amdhsa_system_sgpr_private_segment_wavefront_offset 0
		.amdhsa_system_sgpr_workgroup_id_x 1
		.amdhsa_system_sgpr_workgroup_id_y 0
		.amdhsa_system_sgpr_workgroup_id_z 0
		.amdhsa_system_sgpr_workgroup_info 0
		.amdhsa_system_vgpr_workitem_id 0
		.amdhsa_next_free_vgpr 1
		.amdhsa_next_free_sgpr 0
		.amdhsa_accum_offset 4
		.amdhsa_reserve_vcc 0
		.amdhsa_reserve_flat_scratch 0
		.amdhsa_float_round_mode_32 0
		.amdhsa_float_round_mode_16_64 0
		.amdhsa_float_denorm_mode_32 3
		.amdhsa_float_denorm_mode_16_64 3
		.amdhsa_dx10_clamp 1
		.amdhsa_ieee_mode 1
		.amdhsa_fp16_overflow 0
		.amdhsa_tg_split 0
		.amdhsa_exception_fp_ieee_invalid_op 0
		.amdhsa_exception_fp_denorm_src 0
		.amdhsa_exception_fp_ieee_div_zero 0
		.amdhsa_exception_fp_ieee_overflow 0
		.amdhsa_exception_fp_ieee_underflow 0
		.amdhsa_exception_fp_ieee_inexact 0
		.amdhsa_exception_int_div_zero 0
	.end_amdhsa_kernel
	.section	.text._ZN6thrust23THRUST_200600_302600_NS11hip_rocprim14__parallel_for6kernelILj256ENS1_10for_each_fINS0_10device_ptrINS0_5tupleIffNS0_9null_typeES7_S7_S7_S7_S7_S7_S7_EEEENS0_6detail16wrapped_functionINSA_23allocator_traits_detail5gozerEvEEEElLj1EEEvT0_T1_SH_,"axG",@progbits,_ZN6thrust23THRUST_200600_302600_NS11hip_rocprim14__parallel_for6kernelILj256ENS1_10for_each_fINS0_10device_ptrINS0_5tupleIffNS0_9null_typeES7_S7_S7_S7_S7_S7_S7_EEEENS0_6detail16wrapped_functionINSA_23allocator_traits_detail5gozerEvEEEElLj1EEEvT0_T1_SH_,comdat
.Lfunc_end4:
	.size	_ZN6thrust23THRUST_200600_302600_NS11hip_rocprim14__parallel_for6kernelILj256ENS1_10for_each_fINS0_10device_ptrINS0_5tupleIffNS0_9null_typeES7_S7_S7_S7_S7_S7_S7_EEEENS0_6detail16wrapped_functionINSA_23allocator_traits_detail5gozerEvEEEElLj1EEEvT0_T1_SH_, .Lfunc_end4-_ZN6thrust23THRUST_200600_302600_NS11hip_rocprim14__parallel_for6kernelILj256ENS1_10for_each_fINS0_10device_ptrINS0_5tupleIffNS0_9null_typeES7_S7_S7_S7_S7_S7_S7_EEEENS0_6detail16wrapped_functionINSA_23allocator_traits_detail5gozerEvEEEElLj1EEEvT0_T1_SH_
                                        ; -- End function
	.section	.AMDGPU.csdata,"",@progbits
; Kernel info:
; codeLenInByte = 4
; NumSgprs: 4
; NumVgprs: 0
; NumAgprs: 0
; TotalNumVgprs: 0
; ScratchSize: 0
; MemoryBound: 0
; FloatMode: 240
; IeeeMode: 1
; LDSByteSize: 0 bytes/workgroup (compile time only)
; SGPRBlocks: 0
; VGPRBlocks: 0
; NumSGPRsForWavesPerEU: 4
; NumVGPRsForWavesPerEU: 1
; AccumOffset: 4
; Occupancy: 8
; WaveLimiterHint : 0
; COMPUTE_PGM_RSRC2:SCRATCH_EN: 0
; COMPUTE_PGM_RSRC2:USER_SGPR: 6
; COMPUTE_PGM_RSRC2:TRAP_HANDLER: 0
; COMPUTE_PGM_RSRC2:TGID_X_EN: 1
; COMPUTE_PGM_RSRC2:TGID_Y_EN: 0
; COMPUTE_PGM_RSRC2:TGID_Z_EN: 0
; COMPUTE_PGM_RSRC2:TIDIG_COMP_CNT: 0
; COMPUTE_PGM_RSRC3_GFX90A:ACCUM_OFFSET: 0
; COMPUTE_PGM_RSRC3_GFX90A:TG_SPLIT: 0
	.section	.text._ZN6thrust23THRUST_200600_302600_NS11hip_rocprim14__parallel_for6kernelILj256ENS1_20__uninitialized_fill7functorINS0_10device_ptrIjEEjEEmLj1EEEvT0_T1_SA_,"axG",@progbits,_ZN6thrust23THRUST_200600_302600_NS11hip_rocprim14__parallel_for6kernelILj256ENS1_20__uninitialized_fill7functorINS0_10device_ptrIjEEjEEmLj1EEEvT0_T1_SA_,comdat
	.protected	_ZN6thrust23THRUST_200600_302600_NS11hip_rocprim14__parallel_for6kernelILj256ENS1_20__uninitialized_fill7functorINS0_10device_ptrIjEEjEEmLj1EEEvT0_T1_SA_ ; -- Begin function _ZN6thrust23THRUST_200600_302600_NS11hip_rocprim14__parallel_for6kernelILj256ENS1_20__uninitialized_fill7functorINS0_10device_ptrIjEEjEEmLj1EEEvT0_T1_SA_
	.globl	_ZN6thrust23THRUST_200600_302600_NS11hip_rocprim14__parallel_for6kernelILj256ENS1_20__uninitialized_fill7functorINS0_10device_ptrIjEEjEEmLj1EEEvT0_T1_SA_
	.p2align	8
	.type	_ZN6thrust23THRUST_200600_302600_NS11hip_rocprim14__parallel_for6kernelILj256ENS1_20__uninitialized_fill7functorINS0_10device_ptrIjEEjEEmLj1EEEvT0_T1_SA_,@function
_ZN6thrust23THRUST_200600_302600_NS11hip_rocprim14__parallel_for6kernelILj256ENS1_20__uninitialized_fill7functorINS0_10device_ptrIjEEjEEmLj1EEEvT0_T1_SA_: ; @_ZN6thrust23THRUST_200600_302600_NS11hip_rocprim14__parallel_for6kernelILj256ENS1_20__uninitialized_fill7functorINS0_10device_ptrIjEEjEEmLj1EEEvT0_T1_SA_
; %bb.0:
	s_load_dwordx4 s[8:11], s[4:5], 0x10
	s_lshl_b32 s0, s6, 8
	v_mov_b32_e32 v2, 0x100
	v_mov_b32_e32 v3, 0
	s_waitcnt lgkmcnt(0)
	s_add_u32 s0, s0, s10
	s_addc_u32 s1, 0, s11
	s_sub_u32 s2, s8, s0
	s_subb_u32 s3, s9, s1
	v_cmp_lt_u64_e32 vcc, s[2:3], v[2:3]
	s_cbranch_vccz .LBB5_2
; %bb.1:
	v_cmp_gt_u32_e32 vcc, s2, v0
	s_and_b64 s[2:3], vcc, exec
	s_cbranch_execz .LBB5_3
	s_branch .LBB5_4
.LBB5_2:
	s_mov_b64 s[2:3], 0
.LBB5_3:
	s_or_b64 s[2:3], s[2:3], exec
.LBB5_4:
	s_and_saveexec_b64 s[6:7], s[2:3]
	s_cbranch_execnz .LBB5_6
; %bb.5:
	s_endpgm
.LBB5_6:
	s_load_dwordx2 s[2:3], s[4:5], 0x0
	s_load_dword s6, s[4:5], 0x8
	s_lshl_b64 s[0:1], s[0:1], 2
	v_mov_b32_e32 v1, 0
	v_lshlrev_b64 v[0:1], 2, v[0:1]
	s_waitcnt lgkmcnt(0)
	s_add_u32 s0, s2, s0
	s_addc_u32 s1, s3, s1
	v_mov_b32_e32 v2, s1
	v_add_co_u32_e32 v0, vcc, s0, v0
	v_addc_co_u32_e32 v1, vcc, v2, v1, vcc
	v_mov_b32_e32 v2, s6
	flat_store_dword v[0:1], v2
	s_endpgm
	.section	.rodata,"a",@progbits
	.p2align	6, 0x0
	.amdhsa_kernel _ZN6thrust23THRUST_200600_302600_NS11hip_rocprim14__parallel_for6kernelILj256ENS1_20__uninitialized_fill7functorINS0_10device_ptrIjEEjEEmLj1EEEvT0_T1_SA_
		.amdhsa_group_segment_fixed_size 0
		.amdhsa_private_segment_fixed_size 0
		.amdhsa_kernarg_size 32
		.amdhsa_user_sgpr_count 6
		.amdhsa_user_sgpr_private_segment_buffer 1
		.amdhsa_user_sgpr_dispatch_ptr 0
		.amdhsa_user_sgpr_queue_ptr 0
		.amdhsa_user_sgpr_kernarg_segment_ptr 1
		.amdhsa_user_sgpr_dispatch_id 0
		.amdhsa_user_sgpr_flat_scratch_init 0
		.amdhsa_user_sgpr_kernarg_preload_length 0
		.amdhsa_user_sgpr_kernarg_preload_offset 0
		.amdhsa_user_sgpr_private_segment_size 0
		.amdhsa_uses_dynamic_stack 0
		.amdhsa_system_sgpr_private_segment_wavefront_offset 0
		.amdhsa_system_sgpr_workgroup_id_x 1
		.amdhsa_system_sgpr_workgroup_id_y 0
		.amdhsa_system_sgpr_workgroup_id_z 0
		.amdhsa_system_sgpr_workgroup_info 0
		.amdhsa_system_vgpr_workitem_id 0
		.amdhsa_next_free_vgpr 4
		.amdhsa_next_free_sgpr 12
		.amdhsa_accum_offset 4
		.amdhsa_reserve_vcc 1
		.amdhsa_reserve_flat_scratch 0
		.amdhsa_float_round_mode_32 0
		.amdhsa_float_round_mode_16_64 0
		.amdhsa_float_denorm_mode_32 3
		.amdhsa_float_denorm_mode_16_64 3
		.amdhsa_dx10_clamp 1
		.amdhsa_ieee_mode 1
		.amdhsa_fp16_overflow 0
		.amdhsa_tg_split 0
		.amdhsa_exception_fp_ieee_invalid_op 0
		.amdhsa_exception_fp_denorm_src 0
		.amdhsa_exception_fp_ieee_div_zero 0
		.amdhsa_exception_fp_ieee_overflow 0
		.amdhsa_exception_fp_ieee_underflow 0
		.amdhsa_exception_fp_ieee_inexact 0
		.amdhsa_exception_int_div_zero 0
	.end_amdhsa_kernel
	.section	.text._ZN6thrust23THRUST_200600_302600_NS11hip_rocprim14__parallel_for6kernelILj256ENS1_20__uninitialized_fill7functorINS0_10device_ptrIjEEjEEmLj1EEEvT0_T1_SA_,"axG",@progbits,_ZN6thrust23THRUST_200600_302600_NS11hip_rocprim14__parallel_for6kernelILj256ENS1_20__uninitialized_fill7functorINS0_10device_ptrIjEEjEEmLj1EEEvT0_T1_SA_,comdat
.Lfunc_end5:
	.size	_ZN6thrust23THRUST_200600_302600_NS11hip_rocprim14__parallel_for6kernelILj256ENS1_20__uninitialized_fill7functorINS0_10device_ptrIjEEjEEmLj1EEEvT0_T1_SA_, .Lfunc_end5-_ZN6thrust23THRUST_200600_302600_NS11hip_rocprim14__parallel_for6kernelILj256ENS1_20__uninitialized_fill7functorINS0_10device_ptrIjEEjEEmLj1EEEvT0_T1_SA_
                                        ; -- End function
	.section	.AMDGPU.csdata,"",@progbits
; Kernel info:
; codeLenInByte = 160
; NumSgprs: 16
; NumVgprs: 4
; NumAgprs: 0
; TotalNumVgprs: 4
; ScratchSize: 0
; MemoryBound: 0
; FloatMode: 240
; IeeeMode: 1
; LDSByteSize: 0 bytes/workgroup (compile time only)
; SGPRBlocks: 1
; VGPRBlocks: 0
; NumSGPRsForWavesPerEU: 16
; NumVGPRsForWavesPerEU: 4
; AccumOffset: 4
; Occupancy: 8
; WaveLimiterHint : 0
; COMPUTE_PGM_RSRC2:SCRATCH_EN: 0
; COMPUTE_PGM_RSRC2:USER_SGPR: 6
; COMPUTE_PGM_RSRC2:TRAP_HANDLER: 0
; COMPUTE_PGM_RSRC2:TGID_X_EN: 1
; COMPUTE_PGM_RSRC2:TGID_Y_EN: 0
; COMPUTE_PGM_RSRC2:TGID_Z_EN: 0
; COMPUTE_PGM_RSRC2:TIDIG_COMP_CNT: 0
; COMPUTE_PGM_RSRC3_GFX90A:ACCUM_OFFSET: 0
; COMPUTE_PGM_RSRC3_GFX90A:TG_SPLIT: 0
	.section	.text._ZN6thrust23THRUST_200600_302600_NS11hip_rocprim14__parallel_for6kernelILj256ENS1_11__transform17unary_transform_fINS0_6detail15normal_iteratorINS0_10device_ptrINS0_5tupleIffNS0_9null_typeESA_SA_SA_SA_SA_SA_SA_EEEEEENS7_INS8_IjEEEENS4_14no_stencil_tagE21point_to_bucket_indexNS4_21always_true_predicateEEElLj1EEEvT0_T1_SL_,"axG",@progbits,_ZN6thrust23THRUST_200600_302600_NS11hip_rocprim14__parallel_for6kernelILj256ENS1_11__transform17unary_transform_fINS0_6detail15normal_iteratorINS0_10device_ptrINS0_5tupleIffNS0_9null_typeESA_SA_SA_SA_SA_SA_SA_EEEEEENS7_INS8_IjEEEENS4_14no_stencil_tagE21point_to_bucket_indexNS4_21always_true_predicateEEElLj1EEEvT0_T1_SL_,comdat
	.protected	_ZN6thrust23THRUST_200600_302600_NS11hip_rocprim14__parallel_for6kernelILj256ENS1_11__transform17unary_transform_fINS0_6detail15normal_iteratorINS0_10device_ptrINS0_5tupleIffNS0_9null_typeESA_SA_SA_SA_SA_SA_SA_EEEEEENS7_INS8_IjEEEENS4_14no_stencil_tagE21point_to_bucket_indexNS4_21always_true_predicateEEElLj1EEEvT0_T1_SL_ ; -- Begin function _ZN6thrust23THRUST_200600_302600_NS11hip_rocprim14__parallel_for6kernelILj256ENS1_11__transform17unary_transform_fINS0_6detail15normal_iteratorINS0_10device_ptrINS0_5tupleIffNS0_9null_typeESA_SA_SA_SA_SA_SA_SA_EEEEEENS7_INS8_IjEEEENS4_14no_stencil_tagE21point_to_bucket_indexNS4_21always_true_predicateEEElLj1EEEvT0_T1_SL_
	.globl	_ZN6thrust23THRUST_200600_302600_NS11hip_rocprim14__parallel_for6kernelILj256ENS1_11__transform17unary_transform_fINS0_6detail15normal_iteratorINS0_10device_ptrINS0_5tupleIffNS0_9null_typeESA_SA_SA_SA_SA_SA_SA_EEEEEENS7_INS8_IjEEEENS4_14no_stencil_tagE21point_to_bucket_indexNS4_21always_true_predicateEEElLj1EEEvT0_T1_SL_
	.p2align	8
	.type	_ZN6thrust23THRUST_200600_302600_NS11hip_rocprim14__parallel_for6kernelILj256ENS1_11__transform17unary_transform_fINS0_6detail15normal_iteratorINS0_10device_ptrINS0_5tupleIffNS0_9null_typeESA_SA_SA_SA_SA_SA_SA_EEEEEENS7_INS8_IjEEEENS4_14no_stencil_tagE21point_to_bucket_indexNS4_21always_true_predicateEEElLj1EEEvT0_T1_SL_,@function
_ZN6thrust23THRUST_200600_302600_NS11hip_rocprim14__parallel_for6kernelILj256ENS1_11__transform17unary_transform_fINS0_6detail15normal_iteratorINS0_10device_ptrINS0_5tupleIffNS0_9null_typeESA_SA_SA_SA_SA_SA_SA_EEEEEENS7_INS8_IjEEEENS4_14no_stencil_tagE21point_to_bucket_indexNS4_21always_true_predicateEEElLj1EEEvT0_T1_SL_: ; @_ZN6thrust23THRUST_200600_302600_NS11hip_rocprim14__parallel_for6kernelILj256ENS1_11__transform17unary_transform_fINS0_6detail15normal_iteratorINS0_10device_ptrINS0_5tupleIffNS0_9null_typeESA_SA_SA_SA_SA_SA_SA_EEEEEENS7_INS8_IjEEEENS4_14no_stencil_tagE21point_to_bucket_indexNS4_21always_true_predicateEEElLj1EEEvT0_T1_SL_
; %bb.0:
	s_load_dwordx4 s[8:11], s[4:5], 0x20
	s_lshl_b32 s0, s6, 8
	v_mov_b32_e32 v2, 0x100
	v_mov_b32_e32 v3, 0
	s_waitcnt lgkmcnt(0)
	s_add_u32 s0, s0, s10
	s_addc_u32 s1, 0, s11
	s_sub_u32 s2, s8, s0
	s_subb_u32 s3, s9, s1
	v_cmp_lt_i64_e32 vcc, s[2:3], v[2:3]
	s_and_b64 s[6:7], vcc, exec
	s_cselect_b32 s6, s2, 0x100
	s_cmpk_eq_i32 s6, 0x100
	s_cselect_b64 s[2:3], -1, 0
	v_cmp_gt_u32_e32 vcc, s6, v0
	s_or_b64 s[2:3], s[2:3], vcc
	s_and_saveexec_b64 s[6:7], s[2:3]
	s_cbranch_execz .LBB6_2
; %bb.1:
	s_load_dwordx4 s[8:11], s[4:5], 0x0
	s_load_dwordx2 s[2:3], s[4:5], 0x10
	v_mov_b32_e32 v1, s1
	v_add_co_u32_e32 v0, vcc, s0, v0
	v_addc_co_u32_e32 v1, vcc, 0, v1, vcc
	v_lshlrev_b64 v[2:3], 3, v[0:1]
	s_waitcnt lgkmcnt(0)
	v_mov_b32_e32 v4, s9
	v_add_co_u32_e32 v2, vcc, s8, v2
	v_addc_co_u32_e32 v3, vcc, v4, v3, vcc
	flat_load_dwordx2 v[2:3], v[2:3]
	v_cvt_f32_u32_e32 v4, s2
	v_cvt_f32_u32_e32 v5, s3
	v_lshlrev_b64 v[0:1], 2, v[0:1]
	v_add_co_u32_e32 v0, vcc, s10, v0
	s_waitcnt vmcnt(0) lgkmcnt(0)
	v_mul_f32_e32 v2, v2, v4
	v_mul_f32_e32 v3, v3, v5
	v_cvt_u32_f32_e32 v2, v2
	v_cvt_u32_f32_e32 v3, v3
	v_mov_b32_e32 v4, s11
	v_addc_co_u32_e32 v1, vcc, v4, v1, vcc
	v_mad_u64_u32 v[2:3], s[0:1], s2, v3, v[2:3]
	flat_store_dword v[0:1], v2
.LBB6_2:
	s_endpgm
	.section	.rodata,"a",@progbits
	.p2align	6, 0x0
	.amdhsa_kernel _ZN6thrust23THRUST_200600_302600_NS11hip_rocprim14__parallel_for6kernelILj256ENS1_11__transform17unary_transform_fINS0_6detail15normal_iteratorINS0_10device_ptrINS0_5tupleIffNS0_9null_typeESA_SA_SA_SA_SA_SA_SA_EEEEEENS7_INS8_IjEEEENS4_14no_stencil_tagE21point_to_bucket_indexNS4_21always_true_predicateEEElLj1EEEvT0_T1_SL_
		.amdhsa_group_segment_fixed_size 0
		.amdhsa_private_segment_fixed_size 0
		.amdhsa_kernarg_size 48
		.amdhsa_user_sgpr_count 6
		.amdhsa_user_sgpr_private_segment_buffer 1
		.amdhsa_user_sgpr_dispatch_ptr 0
		.amdhsa_user_sgpr_queue_ptr 0
		.amdhsa_user_sgpr_kernarg_segment_ptr 1
		.amdhsa_user_sgpr_dispatch_id 0
		.amdhsa_user_sgpr_flat_scratch_init 0
		.amdhsa_user_sgpr_kernarg_preload_length 0
		.amdhsa_user_sgpr_kernarg_preload_offset 0
		.amdhsa_user_sgpr_private_segment_size 0
		.amdhsa_uses_dynamic_stack 0
		.amdhsa_system_sgpr_private_segment_wavefront_offset 0
		.amdhsa_system_sgpr_workgroup_id_x 1
		.amdhsa_system_sgpr_workgroup_id_y 0
		.amdhsa_system_sgpr_workgroup_id_z 0
		.amdhsa_system_sgpr_workgroup_info 0
		.amdhsa_system_vgpr_workitem_id 0
		.amdhsa_next_free_vgpr 6
		.amdhsa_next_free_sgpr 12
		.amdhsa_accum_offset 8
		.amdhsa_reserve_vcc 1
		.amdhsa_reserve_flat_scratch 0
		.amdhsa_float_round_mode_32 0
		.amdhsa_float_round_mode_16_64 0
		.amdhsa_float_denorm_mode_32 3
		.amdhsa_float_denorm_mode_16_64 3
		.amdhsa_dx10_clamp 1
		.amdhsa_ieee_mode 1
		.amdhsa_fp16_overflow 0
		.amdhsa_tg_split 0
		.amdhsa_exception_fp_ieee_invalid_op 0
		.amdhsa_exception_fp_denorm_src 0
		.amdhsa_exception_fp_ieee_div_zero 0
		.amdhsa_exception_fp_ieee_overflow 0
		.amdhsa_exception_fp_ieee_underflow 0
		.amdhsa_exception_fp_ieee_inexact 0
		.amdhsa_exception_int_div_zero 0
	.end_amdhsa_kernel
	.section	.text._ZN6thrust23THRUST_200600_302600_NS11hip_rocprim14__parallel_for6kernelILj256ENS1_11__transform17unary_transform_fINS0_6detail15normal_iteratorINS0_10device_ptrINS0_5tupleIffNS0_9null_typeESA_SA_SA_SA_SA_SA_SA_EEEEEENS7_INS8_IjEEEENS4_14no_stencil_tagE21point_to_bucket_indexNS4_21always_true_predicateEEElLj1EEEvT0_T1_SL_,"axG",@progbits,_ZN6thrust23THRUST_200600_302600_NS11hip_rocprim14__parallel_for6kernelILj256ENS1_11__transform17unary_transform_fINS0_6detail15normal_iteratorINS0_10device_ptrINS0_5tupleIffNS0_9null_typeESA_SA_SA_SA_SA_SA_SA_EEEEEENS7_INS8_IjEEEENS4_14no_stencil_tagE21point_to_bucket_indexNS4_21always_true_predicateEEElLj1EEEvT0_T1_SL_,comdat
.Lfunc_end6:
	.size	_ZN6thrust23THRUST_200600_302600_NS11hip_rocprim14__parallel_for6kernelILj256ENS1_11__transform17unary_transform_fINS0_6detail15normal_iteratorINS0_10device_ptrINS0_5tupleIffNS0_9null_typeESA_SA_SA_SA_SA_SA_SA_EEEEEENS7_INS8_IjEEEENS4_14no_stencil_tagE21point_to_bucket_indexNS4_21always_true_predicateEEElLj1EEEvT0_T1_SL_, .Lfunc_end6-_ZN6thrust23THRUST_200600_302600_NS11hip_rocprim14__parallel_for6kernelILj256ENS1_11__transform17unary_transform_fINS0_6detail15normal_iteratorINS0_10device_ptrINS0_5tupleIffNS0_9null_typeESA_SA_SA_SA_SA_SA_SA_EEEEEENS7_INS8_IjEEEENS4_14no_stencil_tagE21point_to_bucket_indexNS4_21always_true_predicateEEElLj1EEEvT0_T1_SL_
                                        ; -- End function
	.section	.AMDGPU.csdata,"",@progbits
; Kernel info:
; codeLenInByte = 212
; NumSgprs: 16
; NumVgprs: 6
; NumAgprs: 0
; TotalNumVgprs: 6
; ScratchSize: 0
; MemoryBound: 0
; FloatMode: 240
; IeeeMode: 1
; LDSByteSize: 0 bytes/workgroup (compile time only)
; SGPRBlocks: 1
; VGPRBlocks: 0
; NumSGPRsForWavesPerEU: 16
; NumVGPRsForWavesPerEU: 6
; AccumOffset: 8
; Occupancy: 8
; WaveLimiterHint : 0
; COMPUTE_PGM_RSRC2:SCRATCH_EN: 0
; COMPUTE_PGM_RSRC2:USER_SGPR: 6
; COMPUTE_PGM_RSRC2:TRAP_HANDLER: 0
; COMPUTE_PGM_RSRC2:TGID_X_EN: 1
; COMPUTE_PGM_RSRC2:TGID_Y_EN: 0
; COMPUTE_PGM_RSRC2:TGID_Z_EN: 0
; COMPUTE_PGM_RSRC2:TIDIG_COMP_CNT: 0
; COMPUTE_PGM_RSRC3_GFX90A:ACCUM_OFFSET: 1
; COMPUTE_PGM_RSRC3_GFX90A:TG_SPLIT: 0
	.section	.text._ZN7rocprim17ROCPRIM_400000_NS6detail17trampoline_kernelINS0_13kernel_configILj256ELj4ELj4294967295EEENS1_37radix_sort_block_sort_config_selectorIjN6thrust23THRUST_200600_302600_NS5tupleIffNS7_9null_typeES9_S9_S9_S9_S9_S9_S9_EEEEZNS1_21radix_sort_block_sortIS4_Lb0ENS7_6detail15normal_iteratorINS7_10device_ptrIjEEEESH_NSE_INSF_ISA_EEEESJ_NS0_19identity_decomposerEEE10hipError_tT1_T2_T3_T4_jRjT5_jjP12ihipStream_tbEUlT_E_NS1_11comp_targetILNS1_3genE0ELNS1_11target_archE4294967295ELNS1_3gpuE0ELNS1_3repE0EEENS1_44radix_sort_block_sort_config_static_selectorELNS0_4arch9wavefront6targetE1EEEvSM_,"axG",@progbits,_ZN7rocprim17ROCPRIM_400000_NS6detail17trampoline_kernelINS0_13kernel_configILj256ELj4ELj4294967295EEENS1_37radix_sort_block_sort_config_selectorIjN6thrust23THRUST_200600_302600_NS5tupleIffNS7_9null_typeES9_S9_S9_S9_S9_S9_S9_EEEEZNS1_21radix_sort_block_sortIS4_Lb0ENS7_6detail15normal_iteratorINS7_10device_ptrIjEEEESH_NSE_INSF_ISA_EEEESJ_NS0_19identity_decomposerEEE10hipError_tT1_T2_T3_T4_jRjT5_jjP12ihipStream_tbEUlT_E_NS1_11comp_targetILNS1_3genE0ELNS1_11target_archE4294967295ELNS1_3gpuE0ELNS1_3repE0EEENS1_44radix_sort_block_sort_config_static_selectorELNS0_4arch9wavefront6targetE1EEEvSM_,comdat
	.protected	_ZN7rocprim17ROCPRIM_400000_NS6detail17trampoline_kernelINS0_13kernel_configILj256ELj4ELj4294967295EEENS1_37radix_sort_block_sort_config_selectorIjN6thrust23THRUST_200600_302600_NS5tupleIffNS7_9null_typeES9_S9_S9_S9_S9_S9_S9_EEEEZNS1_21radix_sort_block_sortIS4_Lb0ENS7_6detail15normal_iteratorINS7_10device_ptrIjEEEESH_NSE_INSF_ISA_EEEESJ_NS0_19identity_decomposerEEE10hipError_tT1_T2_T3_T4_jRjT5_jjP12ihipStream_tbEUlT_E_NS1_11comp_targetILNS1_3genE0ELNS1_11target_archE4294967295ELNS1_3gpuE0ELNS1_3repE0EEENS1_44radix_sort_block_sort_config_static_selectorELNS0_4arch9wavefront6targetE1EEEvSM_ ; -- Begin function _ZN7rocprim17ROCPRIM_400000_NS6detail17trampoline_kernelINS0_13kernel_configILj256ELj4ELj4294967295EEENS1_37radix_sort_block_sort_config_selectorIjN6thrust23THRUST_200600_302600_NS5tupleIffNS7_9null_typeES9_S9_S9_S9_S9_S9_S9_EEEEZNS1_21radix_sort_block_sortIS4_Lb0ENS7_6detail15normal_iteratorINS7_10device_ptrIjEEEESH_NSE_INSF_ISA_EEEESJ_NS0_19identity_decomposerEEE10hipError_tT1_T2_T3_T4_jRjT5_jjP12ihipStream_tbEUlT_E_NS1_11comp_targetILNS1_3genE0ELNS1_11target_archE4294967295ELNS1_3gpuE0ELNS1_3repE0EEENS1_44radix_sort_block_sort_config_static_selectorELNS0_4arch9wavefront6targetE1EEEvSM_
	.globl	_ZN7rocprim17ROCPRIM_400000_NS6detail17trampoline_kernelINS0_13kernel_configILj256ELj4ELj4294967295EEENS1_37radix_sort_block_sort_config_selectorIjN6thrust23THRUST_200600_302600_NS5tupleIffNS7_9null_typeES9_S9_S9_S9_S9_S9_S9_EEEEZNS1_21radix_sort_block_sortIS4_Lb0ENS7_6detail15normal_iteratorINS7_10device_ptrIjEEEESH_NSE_INSF_ISA_EEEESJ_NS0_19identity_decomposerEEE10hipError_tT1_T2_T3_T4_jRjT5_jjP12ihipStream_tbEUlT_E_NS1_11comp_targetILNS1_3genE0ELNS1_11target_archE4294967295ELNS1_3gpuE0ELNS1_3repE0EEENS1_44radix_sort_block_sort_config_static_selectorELNS0_4arch9wavefront6targetE1EEEvSM_
	.p2align	8
	.type	_ZN7rocprim17ROCPRIM_400000_NS6detail17trampoline_kernelINS0_13kernel_configILj256ELj4ELj4294967295EEENS1_37radix_sort_block_sort_config_selectorIjN6thrust23THRUST_200600_302600_NS5tupleIffNS7_9null_typeES9_S9_S9_S9_S9_S9_S9_EEEEZNS1_21radix_sort_block_sortIS4_Lb0ENS7_6detail15normal_iteratorINS7_10device_ptrIjEEEESH_NSE_INSF_ISA_EEEESJ_NS0_19identity_decomposerEEE10hipError_tT1_T2_T3_T4_jRjT5_jjP12ihipStream_tbEUlT_E_NS1_11comp_targetILNS1_3genE0ELNS1_11target_archE4294967295ELNS1_3gpuE0ELNS1_3repE0EEENS1_44radix_sort_block_sort_config_static_selectorELNS0_4arch9wavefront6targetE1EEEvSM_,@function
_ZN7rocprim17ROCPRIM_400000_NS6detail17trampoline_kernelINS0_13kernel_configILj256ELj4ELj4294967295EEENS1_37radix_sort_block_sort_config_selectorIjN6thrust23THRUST_200600_302600_NS5tupleIffNS7_9null_typeES9_S9_S9_S9_S9_S9_S9_EEEEZNS1_21radix_sort_block_sortIS4_Lb0ENS7_6detail15normal_iteratorINS7_10device_ptrIjEEEESH_NSE_INSF_ISA_EEEESJ_NS0_19identity_decomposerEEE10hipError_tT1_T2_T3_T4_jRjT5_jjP12ihipStream_tbEUlT_E_NS1_11comp_targetILNS1_3genE0ELNS1_11target_archE4294967295ELNS1_3gpuE0ELNS1_3repE0EEENS1_44radix_sort_block_sort_config_static_selectorELNS0_4arch9wavefront6targetE1EEEvSM_: ; @_ZN7rocprim17ROCPRIM_400000_NS6detail17trampoline_kernelINS0_13kernel_configILj256ELj4ELj4294967295EEENS1_37radix_sort_block_sort_config_selectorIjN6thrust23THRUST_200600_302600_NS5tupleIffNS7_9null_typeES9_S9_S9_S9_S9_S9_S9_EEEEZNS1_21radix_sort_block_sortIS4_Lb0ENS7_6detail15normal_iteratorINS7_10device_ptrIjEEEESH_NSE_INSF_ISA_EEEESJ_NS0_19identity_decomposerEEE10hipError_tT1_T2_T3_T4_jRjT5_jjP12ihipStream_tbEUlT_E_NS1_11comp_targetILNS1_3genE0ELNS1_11target_archE4294967295ELNS1_3gpuE0ELNS1_3repE0EEENS1_44radix_sort_block_sort_config_static_selectorELNS0_4arch9wavefront6targetE1EEEvSM_
; %bb.0:
	.section	.rodata,"a",@progbits
	.p2align	6, 0x0
	.amdhsa_kernel _ZN7rocprim17ROCPRIM_400000_NS6detail17trampoline_kernelINS0_13kernel_configILj256ELj4ELj4294967295EEENS1_37radix_sort_block_sort_config_selectorIjN6thrust23THRUST_200600_302600_NS5tupleIffNS7_9null_typeES9_S9_S9_S9_S9_S9_S9_EEEEZNS1_21radix_sort_block_sortIS4_Lb0ENS7_6detail15normal_iteratorINS7_10device_ptrIjEEEESH_NSE_INSF_ISA_EEEESJ_NS0_19identity_decomposerEEE10hipError_tT1_T2_T3_T4_jRjT5_jjP12ihipStream_tbEUlT_E_NS1_11comp_targetILNS1_3genE0ELNS1_11target_archE4294967295ELNS1_3gpuE0ELNS1_3repE0EEENS1_44radix_sort_block_sort_config_static_selectorELNS0_4arch9wavefront6targetE1EEEvSM_
		.amdhsa_group_segment_fixed_size 0
		.amdhsa_private_segment_fixed_size 0
		.amdhsa_kernarg_size 48
		.amdhsa_user_sgpr_count 6
		.amdhsa_user_sgpr_private_segment_buffer 1
		.amdhsa_user_sgpr_dispatch_ptr 0
		.amdhsa_user_sgpr_queue_ptr 0
		.amdhsa_user_sgpr_kernarg_segment_ptr 1
		.amdhsa_user_sgpr_dispatch_id 0
		.amdhsa_user_sgpr_flat_scratch_init 0
		.amdhsa_user_sgpr_kernarg_preload_length 0
		.amdhsa_user_sgpr_kernarg_preload_offset 0
		.amdhsa_user_sgpr_private_segment_size 0
		.amdhsa_uses_dynamic_stack 0
		.amdhsa_system_sgpr_private_segment_wavefront_offset 0
		.amdhsa_system_sgpr_workgroup_id_x 1
		.amdhsa_system_sgpr_workgroup_id_y 0
		.amdhsa_system_sgpr_workgroup_id_z 0
		.amdhsa_system_sgpr_workgroup_info 0
		.amdhsa_system_vgpr_workitem_id 0
		.amdhsa_next_free_vgpr 1
		.amdhsa_next_free_sgpr 0
		.amdhsa_accum_offset 4
		.amdhsa_reserve_vcc 0
		.amdhsa_reserve_flat_scratch 0
		.amdhsa_float_round_mode_32 0
		.amdhsa_float_round_mode_16_64 0
		.amdhsa_float_denorm_mode_32 3
		.amdhsa_float_denorm_mode_16_64 3
		.amdhsa_dx10_clamp 1
		.amdhsa_ieee_mode 1
		.amdhsa_fp16_overflow 0
		.amdhsa_tg_split 0
		.amdhsa_exception_fp_ieee_invalid_op 0
		.amdhsa_exception_fp_denorm_src 0
		.amdhsa_exception_fp_ieee_div_zero 0
		.amdhsa_exception_fp_ieee_overflow 0
		.amdhsa_exception_fp_ieee_underflow 0
		.amdhsa_exception_fp_ieee_inexact 0
		.amdhsa_exception_int_div_zero 0
	.end_amdhsa_kernel
	.section	.text._ZN7rocprim17ROCPRIM_400000_NS6detail17trampoline_kernelINS0_13kernel_configILj256ELj4ELj4294967295EEENS1_37radix_sort_block_sort_config_selectorIjN6thrust23THRUST_200600_302600_NS5tupleIffNS7_9null_typeES9_S9_S9_S9_S9_S9_S9_EEEEZNS1_21radix_sort_block_sortIS4_Lb0ENS7_6detail15normal_iteratorINS7_10device_ptrIjEEEESH_NSE_INSF_ISA_EEEESJ_NS0_19identity_decomposerEEE10hipError_tT1_T2_T3_T4_jRjT5_jjP12ihipStream_tbEUlT_E_NS1_11comp_targetILNS1_3genE0ELNS1_11target_archE4294967295ELNS1_3gpuE0ELNS1_3repE0EEENS1_44radix_sort_block_sort_config_static_selectorELNS0_4arch9wavefront6targetE1EEEvSM_,"axG",@progbits,_ZN7rocprim17ROCPRIM_400000_NS6detail17trampoline_kernelINS0_13kernel_configILj256ELj4ELj4294967295EEENS1_37radix_sort_block_sort_config_selectorIjN6thrust23THRUST_200600_302600_NS5tupleIffNS7_9null_typeES9_S9_S9_S9_S9_S9_S9_EEEEZNS1_21radix_sort_block_sortIS4_Lb0ENS7_6detail15normal_iteratorINS7_10device_ptrIjEEEESH_NSE_INSF_ISA_EEEESJ_NS0_19identity_decomposerEEE10hipError_tT1_T2_T3_T4_jRjT5_jjP12ihipStream_tbEUlT_E_NS1_11comp_targetILNS1_3genE0ELNS1_11target_archE4294967295ELNS1_3gpuE0ELNS1_3repE0EEENS1_44radix_sort_block_sort_config_static_selectorELNS0_4arch9wavefront6targetE1EEEvSM_,comdat
.Lfunc_end7:
	.size	_ZN7rocprim17ROCPRIM_400000_NS6detail17trampoline_kernelINS0_13kernel_configILj256ELj4ELj4294967295EEENS1_37radix_sort_block_sort_config_selectorIjN6thrust23THRUST_200600_302600_NS5tupleIffNS7_9null_typeES9_S9_S9_S9_S9_S9_S9_EEEEZNS1_21radix_sort_block_sortIS4_Lb0ENS7_6detail15normal_iteratorINS7_10device_ptrIjEEEESH_NSE_INSF_ISA_EEEESJ_NS0_19identity_decomposerEEE10hipError_tT1_T2_T3_T4_jRjT5_jjP12ihipStream_tbEUlT_E_NS1_11comp_targetILNS1_3genE0ELNS1_11target_archE4294967295ELNS1_3gpuE0ELNS1_3repE0EEENS1_44radix_sort_block_sort_config_static_selectorELNS0_4arch9wavefront6targetE1EEEvSM_, .Lfunc_end7-_ZN7rocprim17ROCPRIM_400000_NS6detail17trampoline_kernelINS0_13kernel_configILj256ELj4ELj4294967295EEENS1_37radix_sort_block_sort_config_selectorIjN6thrust23THRUST_200600_302600_NS5tupleIffNS7_9null_typeES9_S9_S9_S9_S9_S9_S9_EEEEZNS1_21radix_sort_block_sortIS4_Lb0ENS7_6detail15normal_iteratorINS7_10device_ptrIjEEEESH_NSE_INSF_ISA_EEEESJ_NS0_19identity_decomposerEEE10hipError_tT1_T2_T3_T4_jRjT5_jjP12ihipStream_tbEUlT_E_NS1_11comp_targetILNS1_3genE0ELNS1_11target_archE4294967295ELNS1_3gpuE0ELNS1_3repE0EEENS1_44radix_sort_block_sort_config_static_selectorELNS0_4arch9wavefront6targetE1EEEvSM_
                                        ; -- End function
	.section	.AMDGPU.csdata,"",@progbits
; Kernel info:
; codeLenInByte = 0
; NumSgprs: 4
; NumVgprs: 0
; NumAgprs: 0
; TotalNumVgprs: 0
; ScratchSize: 0
; MemoryBound: 0
; FloatMode: 240
; IeeeMode: 1
; LDSByteSize: 0 bytes/workgroup (compile time only)
; SGPRBlocks: 0
; VGPRBlocks: 0
; NumSGPRsForWavesPerEU: 4
; NumVGPRsForWavesPerEU: 1
; AccumOffset: 4
; Occupancy: 8
; WaveLimiterHint : 0
; COMPUTE_PGM_RSRC2:SCRATCH_EN: 0
; COMPUTE_PGM_RSRC2:USER_SGPR: 6
; COMPUTE_PGM_RSRC2:TRAP_HANDLER: 0
; COMPUTE_PGM_RSRC2:TGID_X_EN: 1
; COMPUTE_PGM_RSRC2:TGID_Y_EN: 0
; COMPUTE_PGM_RSRC2:TGID_Z_EN: 0
; COMPUTE_PGM_RSRC2:TIDIG_COMP_CNT: 0
; COMPUTE_PGM_RSRC3_GFX90A:ACCUM_OFFSET: 0
; COMPUTE_PGM_RSRC3_GFX90A:TG_SPLIT: 0
	.section	.text._ZN7rocprim17ROCPRIM_400000_NS6detail17trampoline_kernelINS0_13kernel_configILj256ELj4ELj4294967295EEENS1_37radix_sort_block_sort_config_selectorIjN6thrust23THRUST_200600_302600_NS5tupleIffNS7_9null_typeES9_S9_S9_S9_S9_S9_S9_EEEEZNS1_21radix_sort_block_sortIS4_Lb0ENS7_6detail15normal_iteratorINS7_10device_ptrIjEEEESH_NSE_INSF_ISA_EEEESJ_NS0_19identity_decomposerEEE10hipError_tT1_T2_T3_T4_jRjT5_jjP12ihipStream_tbEUlT_E_NS1_11comp_targetILNS1_3genE5ELNS1_11target_archE942ELNS1_3gpuE9ELNS1_3repE0EEENS1_44radix_sort_block_sort_config_static_selectorELNS0_4arch9wavefront6targetE1EEEvSM_,"axG",@progbits,_ZN7rocprim17ROCPRIM_400000_NS6detail17trampoline_kernelINS0_13kernel_configILj256ELj4ELj4294967295EEENS1_37radix_sort_block_sort_config_selectorIjN6thrust23THRUST_200600_302600_NS5tupleIffNS7_9null_typeES9_S9_S9_S9_S9_S9_S9_EEEEZNS1_21radix_sort_block_sortIS4_Lb0ENS7_6detail15normal_iteratorINS7_10device_ptrIjEEEESH_NSE_INSF_ISA_EEEESJ_NS0_19identity_decomposerEEE10hipError_tT1_T2_T3_T4_jRjT5_jjP12ihipStream_tbEUlT_E_NS1_11comp_targetILNS1_3genE5ELNS1_11target_archE942ELNS1_3gpuE9ELNS1_3repE0EEENS1_44radix_sort_block_sort_config_static_selectorELNS0_4arch9wavefront6targetE1EEEvSM_,comdat
	.protected	_ZN7rocprim17ROCPRIM_400000_NS6detail17trampoline_kernelINS0_13kernel_configILj256ELj4ELj4294967295EEENS1_37radix_sort_block_sort_config_selectorIjN6thrust23THRUST_200600_302600_NS5tupleIffNS7_9null_typeES9_S9_S9_S9_S9_S9_S9_EEEEZNS1_21radix_sort_block_sortIS4_Lb0ENS7_6detail15normal_iteratorINS7_10device_ptrIjEEEESH_NSE_INSF_ISA_EEEESJ_NS0_19identity_decomposerEEE10hipError_tT1_T2_T3_T4_jRjT5_jjP12ihipStream_tbEUlT_E_NS1_11comp_targetILNS1_3genE5ELNS1_11target_archE942ELNS1_3gpuE9ELNS1_3repE0EEENS1_44radix_sort_block_sort_config_static_selectorELNS0_4arch9wavefront6targetE1EEEvSM_ ; -- Begin function _ZN7rocprim17ROCPRIM_400000_NS6detail17trampoline_kernelINS0_13kernel_configILj256ELj4ELj4294967295EEENS1_37radix_sort_block_sort_config_selectorIjN6thrust23THRUST_200600_302600_NS5tupleIffNS7_9null_typeES9_S9_S9_S9_S9_S9_S9_EEEEZNS1_21radix_sort_block_sortIS4_Lb0ENS7_6detail15normal_iteratorINS7_10device_ptrIjEEEESH_NSE_INSF_ISA_EEEESJ_NS0_19identity_decomposerEEE10hipError_tT1_T2_T3_T4_jRjT5_jjP12ihipStream_tbEUlT_E_NS1_11comp_targetILNS1_3genE5ELNS1_11target_archE942ELNS1_3gpuE9ELNS1_3repE0EEENS1_44radix_sort_block_sort_config_static_selectorELNS0_4arch9wavefront6targetE1EEEvSM_
	.globl	_ZN7rocprim17ROCPRIM_400000_NS6detail17trampoline_kernelINS0_13kernel_configILj256ELj4ELj4294967295EEENS1_37radix_sort_block_sort_config_selectorIjN6thrust23THRUST_200600_302600_NS5tupleIffNS7_9null_typeES9_S9_S9_S9_S9_S9_S9_EEEEZNS1_21radix_sort_block_sortIS4_Lb0ENS7_6detail15normal_iteratorINS7_10device_ptrIjEEEESH_NSE_INSF_ISA_EEEESJ_NS0_19identity_decomposerEEE10hipError_tT1_T2_T3_T4_jRjT5_jjP12ihipStream_tbEUlT_E_NS1_11comp_targetILNS1_3genE5ELNS1_11target_archE942ELNS1_3gpuE9ELNS1_3repE0EEENS1_44radix_sort_block_sort_config_static_selectorELNS0_4arch9wavefront6targetE1EEEvSM_
	.p2align	8
	.type	_ZN7rocprim17ROCPRIM_400000_NS6detail17trampoline_kernelINS0_13kernel_configILj256ELj4ELj4294967295EEENS1_37radix_sort_block_sort_config_selectorIjN6thrust23THRUST_200600_302600_NS5tupleIffNS7_9null_typeES9_S9_S9_S9_S9_S9_S9_EEEEZNS1_21radix_sort_block_sortIS4_Lb0ENS7_6detail15normal_iteratorINS7_10device_ptrIjEEEESH_NSE_INSF_ISA_EEEESJ_NS0_19identity_decomposerEEE10hipError_tT1_T2_T3_T4_jRjT5_jjP12ihipStream_tbEUlT_E_NS1_11comp_targetILNS1_3genE5ELNS1_11target_archE942ELNS1_3gpuE9ELNS1_3repE0EEENS1_44radix_sort_block_sort_config_static_selectorELNS0_4arch9wavefront6targetE1EEEvSM_,@function
_ZN7rocprim17ROCPRIM_400000_NS6detail17trampoline_kernelINS0_13kernel_configILj256ELj4ELj4294967295EEENS1_37radix_sort_block_sort_config_selectorIjN6thrust23THRUST_200600_302600_NS5tupleIffNS7_9null_typeES9_S9_S9_S9_S9_S9_S9_EEEEZNS1_21radix_sort_block_sortIS4_Lb0ENS7_6detail15normal_iteratorINS7_10device_ptrIjEEEESH_NSE_INSF_ISA_EEEESJ_NS0_19identity_decomposerEEE10hipError_tT1_T2_T3_T4_jRjT5_jjP12ihipStream_tbEUlT_E_NS1_11comp_targetILNS1_3genE5ELNS1_11target_archE942ELNS1_3gpuE9ELNS1_3repE0EEENS1_44radix_sort_block_sort_config_static_selectorELNS0_4arch9wavefront6targetE1EEEvSM_: ; @_ZN7rocprim17ROCPRIM_400000_NS6detail17trampoline_kernelINS0_13kernel_configILj256ELj4ELj4294967295EEENS1_37radix_sort_block_sort_config_selectorIjN6thrust23THRUST_200600_302600_NS5tupleIffNS7_9null_typeES9_S9_S9_S9_S9_S9_S9_EEEEZNS1_21radix_sort_block_sortIS4_Lb0ENS7_6detail15normal_iteratorINS7_10device_ptrIjEEEESH_NSE_INSF_ISA_EEEESJ_NS0_19identity_decomposerEEE10hipError_tT1_T2_T3_T4_jRjT5_jjP12ihipStream_tbEUlT_E_NS1_11comp_targetILNS1_3genE5ELNS1_11target_archE942ELNS1_3gpuE9ELNS1_3repE0EEENS1_44radix_sort_block_sort_config_static_selectorELNS0_4arch9wavefront6targetE1EEEvSM_
; %bb.0:
	.section	.rodata,"a",@progbits
	.p2align	6, 0x0
	.amdhsa_kernel _ZN7rocprim17ROCPRIM_400000_NS6detail17trampoline_kernelINS0_13kernel_configILj256ELj4ELj4294967295EEENS1_37radix_sort_block_sort_config_selectorIjN6thrust23THRUST_200600_302600_NS5tupleIffNS7_9null_typeES9_S9_S9_S9_S9_S9_S9_EEEEZNS1_21radix_sort_block_sortIS4_Lb0ENS7_6detail15normal_iteratorINS7_10device_ptrIjEEEESH_NSE_INSF_ISA_EEEESJ_NS0_19identity_decomposerEEE10hipError_tT1_T2_T3_T4_jRjT5_jjP12ihipStream_tbEUlT_E_NS1_11comp_targetILNS1_3genE5ELNS1_11target_archE942ELNS1_3gpuE9ELNS1_3repE0EEENS1_44radix_sort_block_sort_config_static_selectorELNS0_4arch9wavefront6targetE1EEEvSM_
		.amdhsa_group_segment_fixed_size 0
		.amdhsa_private_segment_fixed_size 0
		.amdhsa_kernarg_size 48
		.amdhsa_user_sgpr_count 6
		.amdhsa_user_sgpr_private_segment_buffer 1
		.amdhsa_user_sgpr_dispatch_ptr 0
		.amdhsa_user_sgpr_queue_ptr 0
		.amdhsa_user_sgpr_kernarg_segment_ptr 1
		.amdhsa_user_sgpr_dispatch_id 0
		.amdhsa_user_sgpr_flat_scratch_init 0
		.amdhsa_user_sgpr_kernarg_preload_length 0
		.amdhsa_user_sgpr_kernarg_preload_offset 0
		.amdhsa_user_sgpr_private_segment_size 0
		.amdhsa_uses_dynamic_stack 0
		.amdhsa_system_sgpr_private_segment_wavefront_offset 0
		.amdhsa_system_sgpr_workgroup_id_x 1
		.amdhsa_system_sgpr_workgroup_id_y 0
		.amdhsa_system_sgpr_workgroup_id_z 0
		.amdhsa_system_sgpr_workgroup_info 0
		.amdhsa_system_vgpr_workitem_id 0
		.amdhsa_next_free_vgpr 1
		.amdhsa_next_free_sgpr 0
		.amdhsa_accum_offset 4
		.amdhsa_reserve_vcc 0
		.amdhsa_reserve_flat_scratch 0
		.amdhsa_float_round_mode_32 0
		.amdhsa_float_round_mode_16_64 0
		.amdhsa_float_denorm_mode_32 3
		.amdhsa_float_denorm_mode_16_64 3
		.amdhsa_dx10_clamp 1
		.amdhsa_ieee_mode 1
		.amdhsa_fp16_overflow 0
		.amdhsa_tg_split 0
		.amdhsa_exception_fp_ieee_invalid_op 0
		.amdhsa_exception_fp_denorm_src 0
		.amdhsa_exception_fp_ieee_div_zero 0
		.amdhsa_exception_fp_ieee_overflow 0
		.amdhsa_exception_fp_ieee_underflow 0
		.amdhsa_exception_fp_ieee_inexact 0
		.amdhsa_exception_int_div_zero 0
	.end_amdhsa_kernel
	.section	.text._ZN7rocprim17ROCPRIM_400000_NS6detail17trampoline_kernelINS0_13kernel_configILj256ELj4ELj4294967295EEENS1_37radix_sort_block_sort_config_selectorIjN6thrust23THRUST_200600_302600_NS5tupleIffNS7_9null_typeES9_S9_S9_S9_S9_S9_S9_EEEEZNS1_21radix_sort_block_sortIS4_Lb0ENS7_6detail15normal_iteratorINS7_10device_ptrIjEEEESH_NSE_INSF_ISA_EEEESJ_NS0_19identity_decomposerEEE10hipError_tT1_T2_T3_T4_jRjT5_jjP12ihipStream_tbEUlT_E_NS1_11comp_targetILNS1_3genE5ELNS1_11target_archE942ELNS1_3gpuE9ELNS1_3repE0EEENS1_44radix_sort_block_sort_config_static_selectorELNS0_4arch9wavefront6targetE1EEEvSM_,"axG",@progbits,_ZN7rocprim17ROCPRIM_400000_NS6detail17trampoline_kernelINS0_13kernel_configILj256ELj4ELj4294967295EEENS1_37radix_sort_block_sort_config_selectorIjN6thrust23THRUST_200600_302600_NS5tupleIffNS7_9null_typeES9_S9_S9_S9_S9_S9_S9_EEEEZNS1_21radix_sort_block_sortIS4_Lb0ENS7_6detail15normal_iteratorINS7_10device_ptrIjEEEESH_NSE_INSF_ISA_EEEESJ_NS0_19identity_decomposerEEE10hipError_tT1_T2_T3_T4_jRjT5_jjP12ihipStream_tbEUlT_E_NS1_11comp_targetILNS1_3genE5ELNS1_11target_archE942ELNS1_3gpuE9ELNS1_3repE0EEENS1_44radix_sort_block_sort_config_static_selectorELNS0_4arch9wavefront6targetE1EEEvSM_,comdat
.Lfunc_end8:
	.size	_ZN7rocprim17ROCPRIM_400000_NS6detail17trampoline_kernelINS0_13kernel_configILj256ELj4ELj4294967295EEENS1_37radix_sort_block_sort_config_selectorIjN6thrust23THRUST_200600_302600_NS5tupleIffNS7_9null_typeES9_S9_S9_S9_S9_S9_S9_EEEEZNS1_21radix_sort_block_sortIS4_Lb0ENS7_6detail15normal_iteratorINS7_10device_ptrIjEEEESH_NSE_INSF_ISA_EEEESJ_NS0_19identity_decomposerEEE10hipError_tT1_T2_T3_T4_jRjT5_jjP12ihipStream_tbEUlT_E_NS1_11comp_targetILNS1_3genE5ELNS1_11target_archE942ELNS1_3gpuE9ELNS1_3repE0EEENS1_44radix_sort_block_sort_config_static_selectorELNS0_4arch9wavefront6targetE1EEEvSM_, .Lfunc_end8-_ZN7rocprim17ROCPRIM_400000_NS6detail17trampoline_kernelINS0_13kernel_configILj256ELj4ELj4294967295EEENS1_37radix_sort_block_sort_config_selectorIjN6thrust23THRUST_200600_302600_NS5tupleIffNS7_9null_typeES9_S9_S9_S9_S9_S9_S9_EEEEZNS1_21radix_sort_block_sortIS4_Lb0ENS7_6detail15normal_iteratorINS7_10device_ptrIjEEEESH_NSE_INSF_ISA_EEEESJ_NS0_19identity_decomposerEEE10hipError_tT1_T2_T3_T4_jRjT5_jjP12ihipStream_tbEUlT_E_NS1_11comp_targetILNS1_3genE5ELNS1_11target_archE942ELNS1_3gpuE9ELNS1_3repE0EEENS1_44radix_sort_block_sort_config_static_selectorELNS0_4arch9wavefront6targetE1EEEvSM_
                                        ; -- End function
	.section	.AMDGPU.csdata,"",@progbits
; Kernel info:
; codeLenInByte = 0
; NumSgprs: 4
; NumVgprs: 0
; NumAgprs: 0
; TotalNumVgprs: 0
; ScratchSize: 0
; MemoryBound: 0
; FloatMode: 240
; IeeeMode: 1
; LDSByteSize: 0 bytes/workgroup (compile time only)
; SGPRBlocks: 0
; VGPRBlocks: 0
; NumSGPRsForWavesPerEU: 4
; NumVGPRsForWavesPerEU: 1
; AccumOffset: 4
; Occupancy: 8
; WaveLimiterHint : 0
; COMPUTE_PGM_RSRC2:SCRATCH_EN: 0
; COMPUTE_PGM_RSRC2:USER_SGPR: 6
; COMPUTE_PGM_RSRC2:TRAP_HANDLER: 0
; COMPUTE_PGM_RSRC2:TGID_X_EN: 1
; COMPUTE_PGM_RSRC2:TGID_Y_EN: 0
; COMPUTE_PGM_RSRC2:TGID_Z_EN: 0
; COMPUTE_PGM_RSRC2:TIDIG_COMP_CNT: 0
; COMPUTE_PGM_RSRC3_GFX90A:ACCUM_OFFSET: 0
; COMPUTE_PGM_RSRC3_GFX90A:TG_SPLIT: 0
	.section	.text._ZN7rocprim17ROCPRIM_400000_NS6detail17trampoline_kernelINS0_13kernel_configILj256ELj4ELj4294967295EEENS1_37radix_sort_block_sort_config_selectorIjN6thrust23THRUST_200600_302600_NS5tupleIffNS7_9null_typeES9_S9_S9_S9_S9_S9_S9_EEEEZNS1_21radix_sort_block_sortIS4_Lb0ENS7_6detail15normal_iteratorINS7_10device_ptrIjEEEESH_NSE_INSF_ISA_EEEESJ_NS0_19identity_decomposerEEE10hipError_tT1_T2_T3_T4_jRjT5_jjP12ihipStream_tbEUlT_E_NS1_11comp_targetILNS1_3genE4ELNS1_11target_archE910ELNS1_3gpuE8ELNS1_3repE0EEENS1_44radix_sort_block_sort_config_static_selectorELNS0_4arch9wavefront6targetE1EEEvSM_,"axG",@progbits,_ZN7rocprim17ROCPRIM_400000_NS6detail17trampoline_kernelINS0_13kernel_configILj256ELj4ELj4294967295EEENS1_37radix_sort_block_sort_config_selectorIjN6thrust23THRUST_200600_302600_NS5tupleIffNS7_9null_typeES9_S9_S9_S9_S9_S9_S9_EEEEZNS1_21radix_sort_block_sortIS4_Lb0ENS7_6detail15normal_iteratorINS7_10device_ptrIjEEEESH_NSE_INSF_ISA_EEEESJ_NS0_19identity_decomposerEEE10hipError_tT1_T2_T3_T4_jRjT5_jjP12ihipStream_tbEUlT_E_NS1_11comp_targetILNS1_3genE4ELNS1_11target_archE910ELNS1_3gpuE8ELNS1_3repE0EEENS1_44radix_sort_block_sort_config_static_selectorELNS0_4arch9wavefront6targetE1EEEvSM_,comdat
	.protected	_ZN7rocprim17ROCPRIM_400000_NS6detail17trampoline_kernelINS0_13kernel_configILj256ELj4ELj4294967295EEENS1_37radix_sort_block_sort_config_selectorIjN6thrust23THRUST_200600_302600_NS5tupleIffNS7_9null_typeES9_S9_S9_S9_S9_S9_S9_EEEEZNS1_21radix_sort_block_sortIS4_Lb0ENS7_6detail15normal_iteratorINS7_10device_ptrIjEEEESH_NSE_INSF_ISA_EEEESJ_NS0_19identity_decomposerEEE10hipError_tT1_T2_T3_T4_jRjT5_jjP12ihipStream_tbEUlT_E_NS1_11comp_targetILNS1_3genE4ELNS1_11target_archE910ELNS1_3gpuE8ELNS1_3repE0EEENS1_44radix_sort_block_sort_config_static_selectorELNS0_4arch9wavefront6targetE1EEEvSM_ ; -- Begin function _ZN7rocprim17ROCPRIM_400000_NS6detail17trampoline_kernelINS0_13kernel_configILj256ELj4ELj4294967295EEENS1_37radix_sort_block_sort_config_selectorIjN6thrust23THRUST_200600_302600_NS5tupleIffNS7_9null_typeES9_S9_S9_S9_S9_S9_S9_EEEEZNS1_21radix_sort_block_sortIS4_Lb0ENS7_6detail15normal_iteratorINS7_10device_ptrIjEEEESH_NSE_INSF_ISA_EEEESJ_NS0_19identity_decomposerEEE10hipError_tT1_T2_T3_T4_jRjT5_jjP12ihipStream_tbEUlT_E_NS1_11comp_targetILNS1_3genE4ELNS1_11target_archE910ELNS1_3gpuE8ELNS1_3repE0EEENS1_44radix_sort_block_sort_config_static_selectorELNS0_4arch9wavefront6targetE1EEEvSM_
	.globl	_ZN7rocprim17ROCPRIM_400000_NS6detail17trampoline_kernelINS0_13kernel_configILj256ELj4ELj4294967295EEENS1_37radix_sort_block_sort_config_selectorIjN6thrust23THRUST_200600_302600_NS5tupleIffNS7_9null_typeES9_S9_S9_S9_S9_S9_S9_EEEEZNS1_21radix_sort_block_sortIS4_Lb0ENS7_6detail15normal_iteratorINS7_10device_ptrIjEEEESH_NSE_INSF_ISA_EEEESJ_NS0_19identity_decomposerEEE10hipError_tT1_T2_T3_T4_jRjT5_jjP12ihipStream_tbEUlT_E_NS1_11comp_targetILNS1_3genE4ELNS1_11target_archE910ELNS1_3gpuE8ELNS1_3repE0EEENS1_44radix_sort_block_sort_config_static_selectorELNS0_4arch9wavefront6targetE1EEEvSM_
	.p2align	8
	.type	_ZN7rocprim17ROCPRIM_400000_NS6detail17trampoline_kernelINS0_13kernel_configILj256ELj4ELj4294967295EEENS1_37radix_sort_block_sort_config_selectorIjN6thrust23THRUST_200600_302600_NS5tupleIffNS7_9null_typeES9_S9_S9_S9_S9_S9_S9_EEEEZNS1_21radix_sort_block_sortIS4_Lb0ENS7_6detail15normal_iteratorINS7_10device_ptrIjEEEESH_NSE_INSF_ISA_EEEESJ_NS0_19identity_decomposerEEE10hipError_tT1_T2_T3_T4_jRjT5_jjP12ihipStream_tbEUlT_E_NS1_11comp_targetILNS1_3genE4ELNS1_11target_archE910ELNS1_3gpuE8ELNS1_3repE0EEENS1_44radix_sort_block_sort_config_static_selectorELNS0_4arch9wavefront6targetE1EEEvSM_,@function
_ZN7rocprim17ROCPRIM_400000_NS6detail17trampoline_kernelINS0_13kernel_configILj256ELj4ELj4294967295EEENS1_37radix_sort_block_sort_config_selectorIjN6thrust23THRUST_200600_302600_NS5tupleIffNS7_9null_typeES9_S9_S9_S9_S9_S9_S9_EEEEZNS1_21radix_sort_block_sortIS4_Lb0ENS7_6detail15normal_iteratorINS7_10device_ptrIjEEEESH_NSE_INSF_ISA_EEEESJ_NS0_19identity_decomposerEEE10hipError_tT1_T2_T3_T4_jRjT5_jjP12ihipStream_tbEUlT_E_NS1_11comp_targetILNS1_3genE4ELNS1_11target_archE910ELNS1_3gpuE8ELNS1_3repE0EEENS1_44radix_sort_block_sort_config_static_selectorELNS0_4arch9wavefront6targetE1EEEvSM_: ; @_ZN7rocprim17ROCPRIM_400000_NS6detail17trampoline_kernelINS0_13kernel_configILj256ELj4ELj4294967295EEENS1_37radix_sort_block_sort_config_selectorIjN6thrust23THRUST_200600_302600_NS5tupleIffNS7_9null_typeES9_S9_S9_S9_S9_S9_S9_EEEEZNS1_21radix_sort_block_sortIS4_Lb0ENS7_6detail15normal_iteratorINS7_10device_ptrIjEEEESH_NSE_INSF_ISA_EEEESJ_NS0_19identity_decomposerEEE10hipError_tT1_T2_T3_T4_jRjT5_jjP12ihipStream_tbEUlT_E_NS1_11comp_targetILNS1_3genE4ELNS1_11target_archE910ELNS1_3gpuE8ELNS1_3repE0EEENS1_44radix_sort_block_sort_config_static_selectorELNS0_4arch9wavefront6targetE1EEEvSM_
; %bb.0:
	s_load_dword s2, s[4:5], 0x20
	s_load_dwordx8 s[36:43], s[4:5], 0x0
	s_mov_b32 s29, 0
	v_mbcnt_lo_u32_b32 v1, -1, 0
	v_mbcnt_hi_u32_b32 v1, -1, v1
	s_waitcnt lgkmcnt(0)
	s_lshr_b32 s0, s2, 10
	s_cmp_lg_u32 s6, s0
	s_cselect_b64 s[30:31], -1, 0
	s_lshl_b32 s28, s6, 10
	s_lshl_b64 s[34:35], s[28:29], 2
	s_add_u32 s1, s36, s34
	v_and_b32_e32 v8, 0x3ff, v0
	v_and_b32_e32 v10, 63, v1
	s_addc_u32 s3, s37, s35
	v_lshlrev_b32_e32 v9, 2, v8
	v_lshlrev_b32_e32 v2, 2, v10
	v_and_b32_e32 v12, 0x300, v9
	v_mov_b32_e32 v3, s3
	v_add_co_u32_e32 v2, vcc, s1, v2
	v_addc_co_u32_e32 v3, vcc, 0, v3, vcc
	v_lshlrev_b32_e32 v4, 2, v12
	v_add_co_u32_e32 v2, vcc, v2, v4
	s_cmp_eq_u32 s6, s0
	v_addc_co_u32_e32 v3, vcc, 0, v3, vcc
	v_lshlrev_b32_e32 v15, 3, v10
	v_lshlrev_b32_e32 v14, 3, v12
	v_or_b32_e32 v11, v10, v12
	s_cbranch_scc1 .LBB9_2
; %bb.1:
	s_lshl_b64 s[0:1], s[28:29], 3
	s_add_u32 s0, s40, s0
	s_addc_u32 s1, s41, s1
	v_mov_b32_e32 v13, s1
	v_add_co_u32_e32 v16, vcc, s0, v15
	v_addc_co_u32_e32 v13, vcc, 0, v13, vcc
	v_add_co_u32_e32 v16, vcc, v16, v14
	v_addc_co_u32_e32 v17, vcc, 0, v13, vcc
	global_load_dword v4, v[2:3], off
	global_load_dword v5, v[2:3], off offset:256
	global_load_dword v6, v[2:3], off offset:512
	;; [unrolled: 1-line block ×3, first 2 shown]
	global_load_dwordx2 v[24:25], v[16:17], off
	global_load_dwordx2 v[26:27], v[16:17], off offset:512
	global_load_dwordx2 v[28:29], v[16:17], off offset:1024
	;; [unrolled: 1-line block ×3, first 2 shown]
	v_or_b32_e32 v16, v10, v12
	v_or_b32_e32 v10, 64, v16
	;; [unrolled: 1-line block ×4, first 2 shown]
	s_load_dwordx2 s[36:37], s[4:5], 0x28
	s_sub_i32 s33, s2, s28
	s_cbranch_execz .LBB9_3
	s_branch .LBB9_20
.LBB9_2:
                                        ; implicit-def: $vgpr24_vgpr25
                                        ; implicit-def: $vgpr26_vgpr27
                                        ; implicit-def: $vgpr28_vgpr29
                                        ; implicit-def: $vgpr30_vgpr31
                                        ; implicit-def: $vgpr4_vgpr5_vgpr6_vgpr7
                                        ; implicit-def: $vgpr16
                                        ; implicit-def: $vgpr10
                                        ; implicit-def: $vgpr12
                                        ; implicit-def: $vgpr13
	s_load_dwordx2 s[36:37], s[4:5], 0x28
	s_sub_i32 s33, s2, s28
.LBB9_3:
	s_mov_b32 s0, -1
	s_mov_b32 s2, s0
	s_mov_b32 s3, s0
	s_mov_b32 s1, s0
	s_waitcnt vmcnt(4)
	v_pk_mov_b32 v[6:7], s[2:3], s[2:3] op_sel:[0,1]
	v_cmp_gt_u32_e32 vcc, s33, v11
	v_pk_mov_b32 v[4:5], s[0:1], s[0:1] op_sel:[0,1]
	s_and_saveexec_b64 s[0:1], vcc
	s_cbranch_execz .LBB9_5
; %bb.4:
	global_load_dword v4, v[2:3], off
	v_mov_b32_e32 v5, -1
	v_mov_b32_e32 v6, v5
	v_mov_b32_e32 v7, v5
.LBB9_5:
	s_or_b64 exec, exec, s[0:1]
	v_or_b32_e32 v10, 64, v11
	v_cmp_gt_u32_e64 s[0:1], s33, v10
	s_and_saveexec_b64 s[2:3], s[0:1]
	s_cbranch_execz .LBB9_7
; %bb.6:
	global_load_dword v5, v[2:3], off offset:256
.LBB9_7:
	s_or_b64 exec, exec, s[2:3]
	v_or_b32_e32 v12, 0x80, v11
	v_cmp_gt_u32_e64 s[2:3], s33, v12
	s_and_saveexec_b64 s[6:7], s[2:3]
	s_cbranch_execz .LBB9_9
; %bb.8:
	global_load_dword v6, v[2:3], off offset:512
.LBB9_9:
	;; [unrolled: 8-line block ×3, first 2 shown]
	s_or_b64 exec, exec, s[8:9]
	s_lshl_b64 s[8:9], s[28:29], 3
	s_add_u32 s8, s40, s8
	s_addc_u32 s9, s41, s9
	v_mov_b32_e32 v2, s9
	v_add_co_u32_e64 v3, s[8:9], s8, v15
	s_mov_b32 s10, 0
	v_addc_co_u32_e64 v15, s[8:9], 0, v2, s[8:9]
	v_add_co_u32_e64 v2, s[8:9], v3, v14
	s_mov_b32 s11, s10
	v_addc_co_u32_e64 v3, s[8:9], 0, v15, s[8:9]
	s_waitcnt vmcnt(3)
	v_pk_mov_b32 v[24:25], s[10:11], s[10:11] op_sel:[0,1]
	s_and_saveexec_b64 s[8:9], vcc
	s_cbranch_execz .LBB9_13
; %bb.12:
	global_load_dwordx2 v[24:25], v[2:3], off
.LBB9_13:
	s_or_b64 exec, exec, s[8:9]
	s_waitcnt vmcnt(2)
	v_pk_mov_b32 v[26:27], s[10:11], s[10:11] op_sel:[0,1]
	s_and_saveexec_b64 s[8:9], s[0:1]
	s_cbranch_execz .LBB9_15
; %bb.14:
	global_load_dwordx2 v[26:27], v[2:3], off offset:512
.LBB9_15:
	s_or_b64 exec, exec, s[8:9]
	s_mov_b32 s0, 0
	s_mov_b32 s1, s0
	s_waitcnt vmcnt(1)
	v_pk_mov_b32 v[28:29], s[0:1], s[0:1] op_sel:[0,1]
	s_and_saveexec_b64 s[8:9], s[2:3]
	s_cbranch_execz .LBB9_17
; %bb.16:
	global_load_dwordx2 v[28:29], v[2:3], off offset:1024
.LBB9_17:
	s_or_b64 exec, exec, s[8:9]
	s_waitcnt vmcnt(0)
	v_pk_mov_b32 v[30:31], s[0:1], s[0:1] op_sel:[0,1]
	s_and_saveexec_b64 s[0:1], s[6:7]
	s_cbranch_execz .LBB9_19
; %bb.18:
	global_load_dwordx2 v[30:31], v[2:3], off offset:1536
.LBB9_19:
	s_or_b64 exec, exec, s[0:1]
	v_mov_b32_e32 v16, v11
.LBB9_20:
	s_load_dword s2, s[4:5], 0x3c
	s_waitcnt lgkmcnt(0)
	s_add_i32 s40, s37, s36
	s_getpc_b64 s[0:1]
	s_add_u32 s0, s0, _ZN7rocprim17ROCPRIM_400000_NS16block_radix_sortIjLj256ELj4EN6thrust23THRUST_200600_302600_NS5tupleIffNS3_9null_typeES5_S5_S5_S5_S5_S5_S5_EELj1ELj1ELj0ELNS0_26block_radix_rank_algorithmE1ELNS0_18block_padding_hintE2ELNS0_4arch9wavefront6targetE1EE19radix_bits_per_passE@rel32@lo+4
	s_addc_u32 s1, s1, _ZN7rocprim17ROCPRIM_400000_NS16block_radix_sortIjLj256ELj4EN6thrust23THRUST_200600_302600_NS5tupleIffNS3_9null_typeES5_S5_S5_S5_S5_S5_S5_EELj1ELj1ELj0ELNS0_26block_radix_rank_algorithmE1ELNS0_18block_padding_hintE2ELNS0_4arch9wavefront6targetE1EE19radix_bits_per_passE@rel32@hi+12
	s_load_dword s41, s[0:1], 0x0
	v_bfe_u32 v2, v0, 10, 10
	s_lshr_b32 s0, s2, 16
	v_bfe_u32 v0, v0, 20, 10
	s_and_b32 s1, s2, 0xffff
	v_mad_u32_u24 v0, v0, s0, v2
	v_mad_u64_u32 v[2:3], s[0:1], v0, s1, v[8:9]
	v_and_b32_e32 v0, 15, v1
	v_cmp_eq_u32_e64 s[0:1], 0, v0
	v_cmp_lt_u32_e64 s[2:3], 1, v0
	v_cmp_lt_u32_e64 s[4:5], 3, v0
	;; [unrolled: 1-line block ×3, first 2 shown]
	v_and_b32_e32 v0, 16, v1
	v_cmp_eq_u32_e64 s[8:9], 0, v0
	v_and_b32_e32 v0, 0x3c0, v8
	v_min_u32_e32 v0, 0xc0, v0
	v_or_b32_e32 v0, 63, v0
	v_lshrrev_b32_e32 v33, 6, v2
	v_cmp_eq_u32_e64 s[12:13], v0, v8
	v_add_u32_e32 v0, -1, v1
	v_and_b32_e32 v2, 64, v1
	v_cmp_lt_i32_e32 vcc, v0, v2
	v_cndmask_b32_e32 v0, v0, v1, vcc
	s_mov_b32 s26, 0
	v_lshlrev_b32_e32 v35, 2, v0
	v_lshrrev_b32_e32 v0, 4, v8
	v_and_b32_e32 v36, 60, v0
	v_and_b32_e32 v0, 3, v1
	v_lshlrev_b32_e32 v38, 2, v16
	v_lshlrev_b32_e32 v39, 2, v10
	;; [unrolled: 1-line block ×4, first 2 shown]
	s_mov_b32 s27, s26
	s_mov_b32 s44, s26
	;; [unrolled: 1-line block ×3, first 2 shown]
	v_lshlrev_b32_e32 v32, 2, v9
	v_cmp_lt_u32_e64 s[10:11], 31, v1
	v_cmp_gt_u32_e64 s[14:15], 4, v8
	v_cmp_lt_u32_e64 s[16:17], 63, v8
	v_cmp_eq_u32_e64 s[18:19], 0, v1
	v_cmp_eq_u32_e64 s[20:21], 0, v8
	v_mul_i32_i24_e32 v34, -12, v8
	v_cmp_eq_u32_e64 s[22:23], 0, v0
	v_cmp_lt_u32_e64 s[24:25], 1, v0
	v_add_u32_e32 v37, -4, v36
	v_pk_mov_b32 v[18:19], s[26:27], s[26:27] op_sel:[0,1]
	v_pk_mov_b32 v[20:21], s[44:45], s[44:45] op_sel:[0,1]
	v_add_u32_e32 v42, v38, v38
	v_add_u32_e32 v43, v39, v39
	;; [unrolled: 1-line block ×4, first 2 shown]
	v_mov_b32_e32 v22, 0
	s_branch .LBB9_22
.LBB9_21:                               ;   in Loop: Header=BB9_22 Depth=1
	v_lshl_add_u32 v24, v49, 2, v52
	v_lshl_add_u32 v25, v48, 2, v51
	;; [unrolled: 1-line block ×4, first 2 shown]
	s_barrier
	ds_write_b32 v52, v0
	ds_write_b32 v51, v1
	;; [unrolled: 1-line block ×4, first 2 shown]
	s_waitcnt lgkmcnt(0)
	s_barrier
	ds_read_b32 v4, v38
	ds_read_b32 v5, v39
	;; [unrolled: 1-line block ×4, first 2 shown]
	s_waitcnt lgkmcnt(0)
	s_barrier
	ds_write_b64 v24, v[16:17]
	ds_write_b64 v25, v[14:15]
	;; [unrolled: 1-line block ×4, first 2 shown]
	s_waitcnt lgkmcnt(0)
	s_barrier
	ds_read_b64 v[24:25], v42
	ds_read_b64 v[26:27], v43
	;; [unrolled: 1-line block ×4, first 2 shown]
	s_add_i32 s37, s37, -8
	s_waitcnt lgkmcnt(0)
	s_barrier
	s_cbranch_execz .LBB9_38
.LBB9_22:                               ; =>This Inner Loop Header: Depth=1
	s_waitcnt lgkmcnt(0)
	s_min_u32 s26, s41, s37
	s_waitcnt vmcnt(4)
	v_pk_mov_b32 v[0:1], v[4:5], v[4:5] op_sel:[0,1]
	s_lshl_b32 s26, -1, s26
	v_pk_mov_b32 v[2:3], v[6:7], v[6:7] op_sel:[0,1]
	s_not_b32 s44, s26
	v_lshrrev_b32_e32 v4, s36, v0
	v_and_b32_e32 v4, s44, v4
	v_lshl_add_u32 v5, v4, 2, v33
	s_waitcnt vmcnt(3)
	v_pk_mov_b32 v[16:17], v[24:25], v[24:25] op_sel:[0,1]
	v_lshl_add_u32 v24, v5, 2, 16
	v_and_b32_e32 v5, 1, v4
	v_add_co_u32_e32 v6, vcc, -1, v5
	v_addc_co_u32_e64 v7, s[26:27], 0, -1, vcc
	v_cmp_ne_u32_e32 vcc, 0, v5
	v_lshlrev_b32_e32 v23, 30, v4
	v_xor_b32_e32 v5, vcc_hi, v7
	v_not_b32_e32 v7, v23
	v_xor_b32_e32 v6, vcc_lo, v6
	v_cmp_gt_i64_e32 vcc, 0, v[22:23]
	v_ashrrev_i32_e32 v7, 31, v7
	v_and_b32_e32 v5, exec_hi, v5
	v_xor_b32_e32 v23, vcc_hi, v7
	v_and_b32_e32 v6, exec_lo, v6
	v_xor_b32_e32 v7, vcc_lo, v7
	v_and_b32_e32 v5, v5, v23
	v_lshlrev_b32_e32 v23, 29, v4
	v_and_b32_e32 v6, v6, v7
	v_not_b32_e32 v7, v23
	v_cmp_gt_i64_e32 vcc, 0, v[22:23]
	v_ashrrev_i32_e32 v7, 31, v7
	v_xor_b32_e32 v23, vcc_hi, v7
	v_xor_b32_e32 v7, vcc_lo, v7
	v_and_b32_e32 v5, v5, v23
	v_lshlrev_b32_e32 v23, 28, v4
	v_and_b32_e32 v6, v6, v7
	v_not_b32_e32 v7, v23
	v_cmp_gt_i64_e32 vcc, 0, v[22:23]
	v_ashrrev_i32_e32 v7, 31, v7
	v_xor_b32_e32 v23, vcc_hi, v7
	;; [unrolled: 8-line block ×5, first 2 shown]
	v_and_b32_e32 v5, v5, v23
	v_lshlrev_b32_e32 v23, 24, v4
	v_not_b32_e32 v4, v23
	v_xor_b32_e32 v7, vcc_lo, v7
	v_cmp_gt_i64_e32 vcc, 0, v[22:23]
	v_ashrrev_i32_e32 v4, 31, v4
	v_and_b32_e32 v6, v6, v7
	v_xor_b32_e32 v7, vcc_hi, v4
	v_xor_b32_e32 v4, vcc_lo, v4
	v_and_b32_e32 v4, v6, v4
	v_and_b32_e32 v5, v5, v7
	v_mbcnt_lo_u32_b32 v6, v4, 0
	v_mbcnt_hi_u32_b32 v25, v5, v6
	v_cmp_eq_u32_e32 vcc, 0, v25
	v_cmp_ne_u64_e64 s[26:27], 0, v[4:5]
	s_waitcnt vmcnt(2)
	v_pk_mov_b32 v[14:15], v[26:27], v[26:27] op_sel:[0,1]
	s_waitcnt vmcnt(1)
	v_pk_mov_b32 v[12:13], v[28:29], v[28:29] op_sel:[0,1]
	s_waitcnt vmcnt(0)
	v_pk_mov_b32 v[10:11], v[30:31], v[30:31] op_sel:[0,1]
	s_and_b64 s[46:47], s[26:27], vcc
	ds_write2_b64 v32, v[18:19], v[20:21] offset0:2 offset1:3
	s_waitcnt lgkmcnt(0)
	s_barrier
	s_waitcnt lgkmcnt(0)
	; wave barrier
	s_and_saveexec_b64 s[26:27], s[46:47]
	s_cbranch_execz .LBB9_24
; %bb.23:                               ;   in Loop: Header=BB9_22 Depth=1
	v_bcnt_u32_b32 v4, v4, 0
	v_bcnt_u32_b32 v4, v5, v4
	ds_write_b32 v24, v4
.LBB9_24:                               ;   in Loop: Header=BB9_22 Depth=1
	s_or_b64 exec, exec, s[26:27]
	v_lshrrev_b32_e32 v4, s36, v1
	v_and_b32_e32 v4, s44, v4
	v_lshlrev_b32_e32 v5, 2, v4
	v_add_lshl_u32 v5, v5, v33, 2
	; wave barrier
	v_add_u32_e32 v27, 16, v5
	ds_read_b32 v26, v5 offset:16
	v_and_b32_e32 v5, 1, v4
	v_add_co_u32_e32 v6, vcc, -1, v5
	v_addc_co_u32_e64 v7, s[26:27], 0, -1, vcc
	v_cmp_ne_u32_e32 vcc, 0, v5
	v_lshlrev_b32_e32 v23, 30, v4
	v_xor_b32_e32 v5, vcc_hi, v7
	v_not_b32_e32 v7, v23
	v_xor_b32_e32 v6, vcc_lo, v6
	v_cmp_gt_i64_e32 vcc, 0, v[22:23]
	v_ashrrev_i32_e32 v7, 31, v7
	v_and_b32_e32 v5, exec_hi, v5
	v_xor_b32_e32 v23, vcc_hi, v7
	v_and_b32_e32 v6, exec_lo, v6
	v_xor_b32_e32 v7, vcc_lo, v7
	v_and_b32_e32 v5, v5, v23
	v_lshlrev_b32_e32 v23, 29, v4
	v_and_b32_e32 v6, v6, v7
	v_not_b32_e32 v7, v23
	v_cmp_gt_i64_e32 vcc, 0, v[22:23]
	v_ashrrev_i32_e32 v7, 31, v7
	v_xor_b32_e32 v23, vcc_hi, v7
	v_xor_b32_e32 v7, vcc_lo, v7
	v_and_b32_e32 v5, v5, v23
	v_lshlrev_b32_e32 v23, 28, v4
	v_and_b32_e32 v6, v6, v7
	v_not_b32_e32 v7, v23
	v_cmp_gt_i64_e32 vcc, 0, v[22:23]
	v_ashrrev_i32_e32 v7, 31, v7
	v_xor_b32_e32 v23, vcc_hi, v7
	;; [unrolled: 8-line block ×5, first 2 shown]
	v_and_b32_e32 v5, v5, v23
	v_lshlrev_b32_e32 v23, 24, v4
	v_not_b32_e32 v4, v23
	v_xor_b32_e32 v7, vcc_lo, v7
	v_cmp_gt_i64_e32 vcc, 0, v[22:23]
	v_ashrrev_i32_e32 v4, 31, v4
	v_and_b32_e32 v6, v6, v7
	v_xor_b32_e32 v7, vcc_hi, v4
	v_xor_b32_e32 v4, vcc_lo, v4
	v_and_b32_e32 v4, v6, v4
	v_and_b32_e32 v5, v5, v7
	v_mbcnt_lo_u32_b32 v6, v4, 0
	v_mbcnt_hi_u32_b32 v28, v5, v6
	v_cmp_eq_u32_e32 vcc, 0, v28
	v_cmp_ne_u64_e64 s[26:27], 0, v[4:5]
	s_and_b64 s[46:47], s[26:27], vcc
	; wave barrier
	s_and_saveexec_b64 s[26:27], s[46:47]
	s_cbranch_execz .LBB9_26
; %bb.25:                               ;   in Loop: Header=BB9_22 Depth=1
	v_bcnt_u32_b32 v4, v4, 0
	v_bcnt_u32_b32 v4, v5, v4
	s_waitcnt lgkmcnt(0)
	v_add_u32_e32 v4, v26, v4
	ds_write_b32 v27, v4
.LBB9_26:                               ;   in Loop: Header=BB9_22 Depth=1
	s_or_b64 exec, exec, s[26:27]
	v_lshrrev_b32_e32 v4, s36, v2
	v_and_b32_e32 v4, s44, v4
	v_lshlrev_b32_e32 v5, 2, v4
	v_add_lshl_u32 v5, v5, v33, 2
	; wave barrier
	v_add_u32_e32 v30, 16, v5
	ds_read_b32 v29, v5 offset:16
	v_and_b32_e32 v5, 1, v4
	v_add_co_u32_e32 v6, vcc, -1, v5
	v_addc_co_u32_e64 v7, s[26:27], 0, -1, vcc
	v_cmp_ne_u32_e32 vcc, 0, v5
	v_lshlrev_b32_e32 v23, 30, v4
	v_xor_b32_e32 v5, vcc_hi, v7
	v_not_b32_e32 v7, v23
	v_xor_b32_e32 v6, vcc_lo, v6
	v_cmp_gt_i64_e32 vcc, 0, v[22:23]
	v_ashrrev_i32_e32 v7, 31, v7
	v_and_b32_e32 v5, exec_hi, v5
	v_xor_b32_e32 v23, vcc_hi, v7
	v_and_b32_e32 v6, exec_lo, v6
	v_xor_b32_e32 v7, vcc_lo, v7
	v_and_b32_e32 v5, v5, v23
	v_lshlrev_b32_e32 v23, 29, v4
	v_and_b32_e32 v6, v6, v7
	v_not_b32_e32 v7, v23
	v_cmp_gt_i64_e32 vcc, 0, v[22:23]
	v_ashrrev_i32_e32 v7, 31, v7
	v_xor_b32_e32 v23, vcc_hi, v7
	v_xor_b32_e32 v7, vcc_lo, v7
	v_and_b32_e32 v5, v5, v23
	v_lshlrev_b32_e32 v23, 28, v4
	v_and_b32_e32 v6, v6, v7
	v_not_b32_e32 v7, v23
	v_cmp_gt_i64_e32 vcc, 0, v[22:23]
	v_ashrrev_i32_e32 v7, 31, v7
	v_xor_b32_e32 v23, vcc_hi, v7
	;; [unrolled: 8-line block ×5, first 2 shown]
	v_and_b32_e32 v5, v5, v23
	v_lshlrev_b32_e32 v23, 24, v4
	v_not_b32_e32 v4, v23
	v_xor_b32_e32 v7, vcc_lo, v7
	v_cmp_gt_i64_e32 vcc, 0, v[22:23]
	v_ashrrev_i32_e32 v4, 31, v4
	v_and_b32_e32 v6, v6, v7
	v_xor_b32_e32 v7, vcc_hi, v4
	v_xor_b32_e32 v4, vcc_lo, v4
	v_and_b32_e32 v4, v6, v4
	v_and_b32_e32 v5, v5, v7
	v_mbcnt_lo_u32_b32 v6, v4, 0
	v_mbcnt_hi_u32_b32 v31, v5, v6
	v_cmp_eq_u32_e32 vcc, 0, v31
	v_cmp_ne_u64_e64 s[26:27], 0, v[4:5]
	s_and_b64 s[46:47], s[26:27], vcc
	; wave barrier
	s_and_saveexec_b64 s[26:27], s[46:47]
	s_cbranch_execz .LBB9_28
; %bb.27:                               ;   in Loop: Header=BB9_22 Depth=1
	v_bcnt_u32_b32 v4, v4, 0
	v_bcnt_u32_b32 v4, v5, v4
	s_waitcnt lgkmcnt(0)
	v_add_u32_e32 v4, v29, v4
	ds_write_b32 v30, v4
.LBB9_28:                               ;   in Loop: Header=BB9_22 Depth=1
	s_or_b64 exec, exec, s[26:27]
	v_lshrrev_b32_e32 v4, s36, v3
	v_and_b32_e32 v4, s44, v4
	v_lshlrev_b32_e32 v5, 2, v4
	v_add_lshl_u32 v5, v5, v33, 2
	; wave barrier
	v_add_u32_e32 v47, 16, v5
	ds_read_b32 v46, v5 offset:16
	v_and_b32_e32 v5, 1, v4
	v_add_co_u32_e32 v6, vcc, -1, v5
	v_addc_co_u32_e64 v7, s[26:27], 0, -1, vcc
	v_cmp_ne_u32_e32 vcc, 0, v5
	v_lshlrev_b32_e32 v23, 30, v4
	v_xor_b32_e32 v5, vcc_hi, v7
	v_not_b32_e32 v7, v23
	v_xor_b32_e32 v6, vcc_lo, v6
	v_cmp_gt_i64_e32 vcc, 0, v[22:23]
	v_ashrrev_i32_e32 v7, 31, v7
	v_and_b32_e32 v5, exec_hi, v5
	v_xor_b32_e32 v23, vcc_hi, v7
	v_and_b32_e32 v6, exec_lo, v6
	v_xor_b32_e32 v7, vcc_lo, v7
	v_and_b32_e32 v5, v5, v23
	v_lshlrev_b32_e32 v23, 29, v4
	v_and_b32_e32 v6, v6, v7
	v_not_b32_e32 v7, v23
	v_cmp_gt_i64_e32 vcc, 0, v[22:23]
	v_ashrrev_i32_e32 v7, 31, v7
	v_xor_b32_e32 v23, vcc_hi, v7
	v_xor_b32_e32 v7, vcc_lo, v7
	v_and_b32_e32 v5, v5, v23
	v_lshlrev_b32_e32 v23, 28, v4
	v_and_b32_e32 v6, v6, v7
	v_not_b32_e32 v7, v23
	v_cmp_gt_i64_e32 vcc, 0, v[22:23]
	v_ashrrev_i32_e32 v7, 31, v7
	v_xor_b32_e32 v23, vcc_hi, v7
	;; [unrolled: 8-line block ×5, first 2 shown]
	v_and_b32_e32 v5, v5, v23
	v_lshlrev_b32_e32 v23, 24, v4
	v_not_b32_e32 v4, v23
	v_xor_b32_e32 v7, vcc_lo, v7
	v_cmp_gt_i64_e32 vcc, 0, v[22:23]
	v_ashrrev_i32_e32 v4, 31, v4
	v_and_b32_e32 v6, v6, v7
	v_xor_b32_e32 v7, vcc_hi, v4
	v_xor_b32_e32 v4, vcc_lo, v4
	v_and_b32_e32 v4, v6, v4
	v_and_b32_e32 v5, v5, v7
	v_mbcnt_lo_u32_b32 v6, v4, 0
	v_mbcnt_hi_u32_b32 v23, v5, v6
	v_cmp_eq_u32_e32 vcc, 0, v23
	v_cmp_ne_u64_e64 s[26:27], 0, v[4:5]
	s_and_b64 s[44:45], s[26:27], vcc
	; wave barrier
	s_and_saveexec_b64 s[26:27], s[44:45]
	s_cbranch_execz .LBB9_30
; %bb.29:                               ;   in Loop: Header=BB9_22 Depth=1
	v_bcnt_u32_b32 v4, v4, 0
	v_bcnt_u32_b32 v4, v5, v4
	s_waitcnt lgkmcnt(0)
	v_add_u32_e32 v4, v46, v4
	ds_write_b32 v47, v4
.LBB9_30:                               ;   in Loop: Header=BB9_22 Depth=1
	s_or_b64 exec, exec, s[26:27]
	; wave barrier
	s_waitcnt lgkmcnt(0)
	s_barrier
	ds_read2_b64 v[4:7], v32 offset0:2 offset1:3
	s_waitcnt lgkmcnt(0)
	v_add_u32_e32 v48, v5, v4
	v_add3_u32 v7, v48, v6, v7
	s_nop 1
	v_mov_b32_dpp v48, v7 row_shr:1 row_mask:0xf bank_mask:0xf
	v_cndmask_b32_e64 v48, v48, 0, s[0:1]
	v_add_u32_e32 v7, v48, v7
	s_nop 1
	v_mov_b32_dpp v48, v7 row_shr:2 row_mask:0xf bank_mask:0xf
	v_cndmask_b32_e64 v48, 0, v48, s[2:3]
	v_add_u32_e32 v7, v7, v48
	s_nop 1
	v_mov_b32_dpp v48, v7 row_shr:4 row_mask:0xf bank_mask:0xf
	v_cndmask_b32_e64 v48, 0, v48, s[4:5]
	v_add_u32_e32 v7, v7, v48
	s_nop 1
	v_mov_b32_dpp v48, v7 row_shr:8 row_mask:0xf bank_mask:0xf
	v_cndmask_b32_e64 v48, 0, v48, s[6:7]
	v_add_u32_e32 v7, v7, v48
	s_nop 1
	v_mov_b32_dpp v48, v7 row_bcast:15 row_mask:0xf bank_mask:0xf
	v_cndmask_b32_e64 v48, v48, 0, s[8:9]
	v_add_u32_e32 v7, v7, v48
	s_nop 1
	v_mov_b32_dpp v48, v7 row_bcast:31 row_mask:0xf bank_mask:0xf
	v_cndmask_b32_e64 v48, 0, v48, s[10:11]
	v_add_u32_e32 v7, v7, v48
	s_and_saveexec_b64 s[26:27], s[12:13]
	s_cbranch_execz .LBB9_32
; %bb.31:                               ;   in Loop: Header=BB9_22 Depth=1
	ds_write_b32 v36, v7
.LBB9_32:                               ;   in Loop: Header=BB9_22 Depth=1
	s_or_b64 exec, exec, s[26:27]
	s_waitcnt lgkmcnt(0)
	s_barrier
	s_and_saveexec_b64 s[26:27], s[14:15]
	s_cbranch_execz .LBB9_34
; %bb.33:                               ;   in Loop: Header=BB9_22 Depth=1
	v_add_u32_e32 v48, v32, v34
	ds_read_b32 v49, v48
	s_waitcnt lgkmcnt(0)
	s_nop 0
	v_mov_b32_dpp v50, v49 row_shr:1 row_mask:0xf bank_mask:0xf
	v_cndmask_b32_e64 v50, v50, 0, s[22:23]
	v_add_u32_e32 v49, v50, v49
	s_nop 1
	v_mov_b32_dpp v50, v49 row_shr:2 row_mask:0xf bank_mask:0xf
	v_cndmask_b32_e64 v50, 0, v50, s[24:25]
	v_add_u32_e32 v49, v49, v50
	ds_write_b32 v48, v49
.LBB9_34:                               ;   in Loop: Header=BB9_22 Depth=1
	s_or_b64 exec, exec, s[26:27]
	v_mov_b32_e32 v48, 0
	s_waitcnt lgkmcnt(0)
	s_barrier
	s_and_saveexec_b64 s[26:27], s[16:17]
	s_cbranch_execz .LBB9_36
; %bb.35:                               ;   in Loop: Header=BB9_22 Depth=1
	ds_read_b32 v48, v37
.LBB9_36:                               ;   in Loop: Header=BB9_22 Depth=1
	s_or_b64 exec, exec, s[26:27]
	s_waitcnt lgkmcnt(0)
	v_add_u32_e32 v7, v48, v7
	ds_bpermute_b32 v7, v35, v7
	s_add_i32 s36, s36, 8
	s_cmp_ge_u32 s36, s40
	s_waitcnt lgkmcnt(0)
	v_cndmask_b32_e64 v7, v7, v48, s[18:19]
	v_cndmask_b32_e64 v48, v7, 0, s[20:21]
	v_add_u32_e32 v49, v48, v4
	v_add_u32_e32 v4, v49, v5
	;; [unrolled: 1-line block ×3, first 2 shown]
	ds_write2_b64 v32, v[48:49], v[4:5] offset0:2 offset1:3
	s_waitcnt lgkmcnt(0)
	s_barrier
	ds_read_b32 v4, v24
	ds_read_b32 v5, v27
	;; [unrolled: 1-line block ×4, first 2 shown]
	s_waitcnt lgkmcnt(0)
	v_add_u32_e32 v49, v4, v25
	v_add3_u32 v48, v28, v26, v5
	v_add3_u32 v47, v31, v29, v6
	;; [unrolled: 1-line block ×3, first 2 shown]
	v_lshlrev_b32_e32 v52, 2, v49
	v_lshlrev_b32_e32 v51, 2, v48
	;; [unrolled: 1-line block ×4, first 2 shown]
	s_cbranch_scc0 .LBB9_21
; %bb.37:
                                        ; implicit-def: $vgpr24_vgpr25
                                        ; implicit-def: $vgpr26_vgpr27
                                        ; implicit-def: $vgpr28_vgpr29
                                        ; implicit-def: $vgpr30_vgpr31
                                        ; implicit-def: $sgpr36
                                        ; implicit-def: $vgpr4_vgpr5_vgpr6_vgpr7
.LBB9_38:
	s_barrier
	ds_write_b32 v52, v0
	ds_write_b32 v51, v1
	;; [unrolled: 1-line block ×4, first 2 shown]
	v_add_u32_e32 v0, v32, v34
	s_waitcnt lgkmcnt(0)
	s_barrier
	ds_read2st64_b32 v[18:19], v9 offset0:4 offset1:8
	ds_read_b32 v21, v0
	ds_read_b32 v20, v9 offset:3072
	v_lshl_add_u32 v0, v49, 2, v52
	s_waitcnt lgkmcnt(0)
	s_barrier
	ds_write_b64 v0, v[16:17]
	v_lshl_add_u32 v0, v48, 2, v51
	ds_write_b64 v0, v[14:15]
	v_lshl_add_u32 v0, v47, 2, v50
	;; [unrolled: 2-line block ×3, first 2 shown]
	ds_write_b64 v0, v[10:11]
	v_add_u32_e32 v0, v9, v9
	s_waitcnt lgkmcnt(0)
	s_barrier
	ds_read2st64_b64 v[4:7], v0 offset1:4
	ds_read2st64_b64 v[0:3], v0 offset0:8 offset1:12
	s_add_u32 s0, s38, s34
	s_addc_u32 s1, s39, s35
	v_mov_b32_e32 v11, s1
	v_add_co_u32_e32 v10, vcc, s0, v9
	v_addc_co_u32_e32 v11, vcc, 0, v11, vcc
	s_andn2_b64 vcc, exec, s[30:31]
	v_lshlrev_b32_e32 v12, 3, v8
	s_cbranch_vccnz .LBB9_40
; %bb.39:
	s_lshl_b64 s[0:1], s[28:29], 3
	s_add_u32 s0, s42, s0
	s_addc_u32 s1, s43, s1
	v_mov_b32_e32 v9, s1
	v_add_co_u32_e32 v13, vcc, s0, v12
	v_addc_co_u32_e32 v9, vcc, 0, v9, vcc
	v_add_co_u32_e32 v14, vcc, 0x1000, v13
	global_store_dword v[10:11], v21, off
	global_store_dword v[10:11], v18, off offset:1024
	global_store_dword v[10:11], v19, off offset:2048
	;; [unrolled: 1-line block ×3, first 2 shown]
	s_waitcnt lgkmcnt(1)
	global_store_dwordx2 v12, v[4:5], s[0:1]
	global_store_dwordx2 v12, v[6:7], s[0:1] offset:2048
	v_addc_co_u32_e32 v15, vcc, 0, v9, vcc
	s_mov_b64 s[6:7], -1
	s_waitcnt lgkmcnt(0)
	global_store_dwordx2 v[14:15], v[0:1], off
	s_cbranch_execz .LBB9_41
	s_branch .LBB9_54
.LBB9_40:
	s_mov_b64 s[6:7], 0
.LBB9_41:
	v_cmp_gt_u32_e32 vcc, s33, v8
	s_and_saveexec_b64 s[0:1], vcc
	s_cbranch_execz .LBB9_43
; %bb.42:
	global_store_dword v[10:11], v21, off
.LBB9_43:
	s_or_b64 exec, exec, s[0:1]
	v_add_u32_e32 v9, 0x100, v8
	v_cmp_gt_u32_e64 s[0:1], s33, v9
	s_and_saveexec_b64 s[2:3], s[0:1]
	s_cbranch_execz .LBB9_45
; %bb.44:
	global_store_dword v[10:11], v18, off offset:1024
.LBB9_45:
	s_or_b64 exec, exec, s[2:3]
	v_add_u32_e32 v9, 0x200, v8
	v_cmp_gt_u32_e64 s[2:3], s33, v9
	s_and_saveexec_b64 s[4:5], s[2:3]
	s_cbranch_execz .LBB9_47
; %bb.46:
	global_store_dword v[10:11], v19, off offset:2048
.LBB9_47:
	;; [unrolled: 8-line block ×3, first 2 shown]
	s_or_b64 exec, exec, s[4:5]
	s_lshl_b64 s[4:5], s[28:29], 3
	s_add_u32 s4, s42, s4
	s_addc_u32 s5, s43, s5
	v_mov_b32_e32 v9, s5
	v_add_co_u32_e64 v8, s[4:5], s4, v12
	v_addc_co_u32_e64 v9, s[4:5], 0, v9, s[4:5]
	s_and_saveexec_b64 s[4:5], vcc
	s_cbranch_execnz .LBB9_57
; %bb.50:
	s_or_b64 exec, exec, s[4:5]
	s_and_saveexec_b64 s[4:5], s[0:1]
	s_cbranch_execnz .LBB9_58
.LBB9_51:
	s_or_b64 exec, exec, s[4:5]
	s_and_saveexec_b64 s[0:1], s[2:3]
	s_cbranch_execz .LBB9_53
.LBB9_52:
	s_waitcnt lgkmcnt(1)
	v_add_co_u32_e32 v4, vcc, 0x1000, v8
	v_addc_co_u32_e32 v5, vcc, 0, v9, vcc
	s_waitcnt lgkmcnt(0)
	global_store_dwordx2 v[4:5], v[0:1], off
.LBB9_53:
	s_or_b64 exec, exec, s[0:1]
.LBB9_54:
	s_and_saveexec_b64 s[0:1], s[6:7]
	s_cbranch_execnz .LBB9_56
; %bb.55:
	s_endpgm
.LBB9_56:
	s_lshl_b64 s[0:1], s[28:29], 3
	s_add_u32 s0, s42, s0
	s_addc_u32 s1, s43, s1
	s_waitcnt lgkmcnt(0)
	v_mov_b32_e32 v0, s1
	v_add_co_u32_e32 v1, vcc, s0, v12
	v_addc_co_u32_e32 v4, vcc, 0, v0, vcc
	v_add_co_u32_e32 v0, vcc, 0x1000, v1
	v_addc_co_u32_e32 v1, vcc, 0, v4, vcc
	global_store_dwordx2 v[0:1], v[2:3], off offset:2048
	s_endpgm
.LBB9_57:
	s_waitcnt lgkmcnt(1)
	global_store_dwordx2 v[8:9], v[4:5], off
	s_or_b64 exec, exec, s[4:5]
	s_and_saveexec_b64 s[4:5], s[0:1]
	s_cbranch_execz .LBB9_51
.LBB9_58:
	s_waitcnt lgkmcnt(1)
	global_store_dwordx2 v[8:9], v[6:7], off offset:2048
	s_or_b64 exec, exec, s[4:5]
	s_and_saveexec_b64 s[0:1], s[2:3]
	s_cbranch_execnz .LBB9_52
	s_branch .LBB9_53
	.section	.rodata,"a",@progbits
	.p2align	6, 0x0
	.amdhsa_kernel _ZN7rocprim17ROCPRIM_400000_NS6detail17trampoline_kernelINS0_13kernel_configILj256ELj4ELj4294967295EEENS1_37radix_sort_block_sort_config_selectorIjN6thrust23THRUST_200600_302600_NS5tupleIffNS7_9null_typeES9_S9_S9_S9_S9_S9_S9_EEEEZNS1_21radix_sort_block_sortIS4_Lb0ENS7_6detail15normal_iteratorINS7_10device_ptrIjEEEESH_NSE_INSF_ISA_EEEESJ_NS0_19identity_decomposerEEE10hipError_tT1_T2_T3_T4_jRjT5_jjP12ihipStream_tbEUlT_E_NS1_11comp_targetILNS1_3genE4ELNS1_11target_archE910ELNS1_3gpuE8ELNS1_3repE0EEENS1_44radix_sort_block_sort_config_static_selectorELNS0_4arch9wavefront6targetE1EEEvSM_
		.amdhsa_group_segment_fixed_size 8192
		.amdhsa_private_segment_fixed_size 0
		.amdhsa_kernarg_size 304
		.amdhsa_user_sgpr_count 6
		.amdhsa_user_sgpr_private_segment_buffer 1
		.amdhsa_user_sgpr_dispatch_ptr 0
		.amdhsa_user_sgpr_queue_ptr 0
		.amdhsa_user_sgpr_kernarg_segment_ptr 1
		.amdhsa_user_sgpr_dispatch_id 0
		.amdhsa_user_sgpr_flat_scratch_init 0
		.amdhsa_user_sgpr_kernarg_preload_length 0
		.amdhsa_user_sgpr_kernarg_preload_offset 0
		.amdhsa_user_sgpr_private_segment_size 0
		.amdhsa_uses_dynamic_stack 0
		.amdhsa_system_sgpr_private_segment_wavefront_offset 0
		.amdhsa_system_sgpr_workgroup_id_x 1
		.amdhsa_system_sgpr_workgroup_id_y 0
		.amdhsa_system_sgpr_workgroup_id_z 0
		.amdhsa_system_sgpr_workgroup_info 0
		.amdhsa_system_vgpr_workitem_id 2
		.amdhsa_next_free_vgpr 53
		.amdhsa_next_free_sgpr 48
		.amdhsa_accum_offset 56
		.amdhsa_reserve_vcc 1
		.amdhsa_reserve_flat_scratch 0
		.amdhsa_float_round_mode_32 0
		.amdhsa_float_round_mode_16_64 0
		.amdhsa_float_denorm_mode_32 3
		.amdhsa_float_denorm_mode_16_64 3
		.amdhsa_dx10_clamp 1
		.amdhsa_ieee_mode 1
		.amdhsa_fp16_overflow 0
		.amdhsa_tg_split 0
		.amdhsa_exception_fp_ieee_invalid_op 0
		.amdhsa_exception_fp_denorm_src 0
		.amdhsa_exception_fp_ieee_div_zero 0
		.amdhsa_exception_fp_ieee_overflow 0
		.amdhsa_exception_fp_ieee_underflow 0
		.amdhsa_exception_fp_ieee_inexact 0
		.amdhsa_exception_int_div_zero 0
	.end_amdhsa_kernel
	.section	.text._ZN7rocprim17ROCPRIM_400000_NS6detail17trampoline_kernelINS0_13kernel_configILj256ELj4ELj4294967295EEENS1_37radix_sort_block_sort_config_selectorIjN6thrust23THRUST_200600_302600_NS5tupleIffNS7_9null_typeES9_S9_S9_S9_S9_S9_S9_EEEEZNS1_21radix_sort_block_sortIS4_Lb0ENS7_6detail15normal_iteratorINS7_10device_ptrIjEEEESH_NSE_INSF_ISA_EEEESJ_NS0_19identity_decomposerEEE10hipError_tT1_T2_T3_T4_jRjT5_jjP12ihipStream_tbEUlT_E_NS1_11comp_targetILNS1_3genE4ELNS1_11target_archE910ELNS1_3gpuE8ELNS1_3repE0EEENS1_44radix_sort_block_sort_config_static_selectorELNS0_4arch9wavefront6targetE1EEEvSM_,"axG",@progbits,_ZN7rocprim17ROCPRIM_400000_NS6detail17trampoline_kernelINS0_13kernel_configILj256ELj4ELj4294967295EEENS1_37radix_sort_block_sort_config_selectorIjN6thrust23THRUST_200600_302600_NS5tupleIffNS7_9null_typeES9_S9_S9_S9_S9_S9_S9_EEEEZNS1_21radix_sort_block_sortIS4_Lb0ENS7_6detail15normal_iteratorINS7_10device_ptrIjEEEESH_NSE_INSF_ISA_EEEESJ_NS0_19identity_decomposerEEE10hipError_tT1_T2_T3_T4_jRjT5_jjP12ihipStream_tbEUlT_E_NS1_11comp_targetILNS1_3genE4ELNS1_11target_archE910ELNS1_3gpuE8ELNS1_3repE0EEENS1_44radix_sort_block_sort_config_static_selectorELNS0_4arch9wavefront6targetE1EEEvSM_,comdat
.Lfunc_end9:
	.size	_ZN7rocprim17ROCPRIM_400000_NS6detail17trampoline_kernelINS0_13kernel_configILj256ELj4ELj4294967295EEENS1_37radix_sort_block_sort_config_selectorIjN6thrust23THRUST_200600_302600_NS5tupleIffNS7_9null_typeES9_S9_S9_S9_S9_S9_S9_EEEEZNS1_21radix_sort_block_sortIS4_Lb0ENS7_6detail15normal_iteratorINS7_10device_ptrIjEEEESH_NSE_INSF_ISA_EEEESJ_NS0_19identity_decomposerEEE10hipError_tT1_T2_T3_T4_jRjT5_jjP12ihipStream_tbEUlT_E_NS1_11comp_targetILNS1_3genE4ELNS1_11target_archE910ELNS1_3gpuE8ELNS1_3repE0EEENS1_44radix_sort_block_sort_config_static_selectorELNS0_4arch9wavefront6targetE1EEEvSM_, .Lfunc_end9-_ZN7rocprim17ROCPRIM_400000_NS6detail17trampoline_kernelINS0_13kernel_configILj256ELj4ELj4294967295EEENS1_37radix_sort_block_sort_config_selectorIjN6thrust23THRUST_200600_302600_NS5tupleIffNS7_9null_typeES9_S9_S9_S9_S9_S9_S9_EEEEZNS1_21radix_sort_block_sortIS4_Lb0ENS7_6detail15normal_iteratorINS7_10device_ptrIjEEEESH_NSE_INSF_ISA_EEEESJ_NS0_19identity_decomposerEEE10hipError_tT1_T2_T3_T4_jRjT5_jjP12ihipStream_tbEUlT_E_NS1_11comp_targetILNS1_3genE4ELNS1_11target_archE910ELNS1_3gpuE8ELNS1_3repE0EEENS1_44radix_sort_block_sort_config_static_selectorELNS0_4arch9wavefront6targetE1EEEvSM_
                                        ; -- End function
	.section	.AMDGPU.csdata,"",@progbits
; Kernel info:
; codeLenInByte = 3908
; NumSgprs: 52
; NumVgprs: 53
; NumAgprs: 0
; TotalNumVgprs: 53
; ScratchSize: 0
; MemoryBound: 0
; FloatMode: 240
; IeeeMode: 1
; LDSByteSize: 8192 bytes/workgroup (compile time only)
; SGPRBlocks: 6
; VGPRBlocks: 6
; NumSGPRsForWavesPerEU: 52
; NumVGPRsForWavesPerEU: 53
; AccumOffset: 56
; Occupancy: 8
; WaveLimiterHint : 1
; COMPUTE_PGM_RSRC2:SCRATCH_EN: 0
; COMPUTE_PGM_RSRC2:USER_SGPR: 6
; COMPUTE_PGM_RSRC2:TRAP_HANDLER: 0
; COMPUTE_PGM_RSRC2:TGID_X_EN: 1
; COMPUTE_PGM_RSRC2:TGID_Y_EN: 0
; COMPUTE_PGM_RSRC2:TGID_Z_EN: 0
; COMPUTE_PGM_RSRC2:TIDIG_COMP_CNT: 2
; COMPUTE_PGM_RSRC3_GFX90A:ACCUM_OFFSET: 13
; COMPUTE_PGM_RSRC3_GFX90A:TG_SPLIT: 0
	.section	.text._ZN7rocprim17ROCPRIM_400000_NS6detail17trampoline_kernelINS0_13kernel_configILj256ELj4ELj4294967295EEENS1_37radix_sort_block_sort_config_selectorIjN6thrust23THRUST_200600_302600_NS5tupleIffNS7_9null_typeES9_S9_S9_S9_S9_S9_S9_EEEEZNS1_21radix_sort_block_sortIS4_Lb0ENS7_6detail15normal_iteratorINS7_10device_ptrIjEEEESH_NSE_INSF_ISA_EEEESJ_NS0_19identity_decomposerEEE10hipError_tT1_T2_T3_T4_jRjT5_jjP12ihipStream_tbEUlT_E_NS1_11comp_targetILNS1_3genE3ELNS1_11target_archE908ELNS1_3gpuE7ELNS1_3repE0EEENS1_44radix_sort_block_sort_config_static_selectorELNS0_4arch9wavefront6targetE1EEEvSM_,"axG",@progbits,_ZN7rocprim17ROCPRIM_400000_NS6detail17trampoline_kernelINS0_13kernel_configILj256ELj4ELj4294967295EEENS1_37radix_sort_block_sort_config_selectorIjN6thrust23THRUST_200600_302600_NS5tupleIffNS7_9null_typeES9_S9_S9_S9_S9_S9_S9_EEEEZNS1_21radix_sort_block_sortIS4_Lb0ENS7_6detail15normal_iteratorINS7_10device_ptrIjEEEESH_NSE_INSF_ISA_EEEESJ_NS0_19identity_decomposerEEE10hipError_tT1_T2_T3_T4_jRjT5_jjP12ihipStream_tbEUlT_E_NS1_11comp_targetILNS1_3genE3ELNS1_11target_archE908ELNS1_3gpuE7ELNS1_3repE0EEENS1_44radix_sort_block_sort_config_static_selectorELNS0_4arch9wavefront6targetE1EEEvSM_,comdat
	.protected	_ZN7rocprim17ROCPRIM_400000_NS6detail17trampoline_kernelINS0_13kernel_configILj256ELj4ELj4294967295EEENS1_37radix_sort_block_sort_config_selectorIjN6thrust23THRUST_200600_302600_NS5tupleIffNS7_9null_typeES9_S9_S9_S9_S9_S9_S9_EEEEZNS1_21radix_sort_block_sortIS4_Lb0ENS7_6detail15normal_iteratorINS7_10device_ptrIjEEEESH_NSE_INSF_ISA_EEEESJ_NS0_19identity_decomposerEEE10hipError_tT1_T2_T3_T4_jRjT5_jjP12ihipStream_tbEUlT_E_NS1_11comp_targetILNS1_3genE3ELNS1_11target_archE908ELNS1_3gpuE7ELNS1_3repE0EEENS1_44radix_sort_block_sort_config_static_selectorELNS0_4arch9wavefront6targetE1EEEvSM_ ; -- Begin function _ZN7rocprim17ROCPRIM_400000_NS6detail17trampoline_kernelINS0_13kernel_configILj256ELj4ELj4294967295EEENS1_37radix_sort_block_sort_config_selectorIjN6thrust23THRUST_200600_302600_NS5tupleIffNS7_9null_typeES9_S9_S9_S9_S9_S9_S9_EEEEZNS1_21radix_sort_block_sortIS4_Lb0ENS7_6detail15normal_iteratorINS7_10device_ptrIjEEEESH_NSE_INSF_ISA_EEEESJ_NS0_19identity_decomposerEEE10hipError_tT1_T2_T3_T4_jRjT5_jjP12ihipStream_tbEUlT_E_NS1_11comp_targetILNS1_3genE3ELNS1_11target_archE908ELNS1_3gpuE7ELNS1_3repE0EEENS1_44radix_sort_block_sort_config_static_selectorELNS0_4arch9wavefront6targetE1EEEvSM_
	.globl	_ZN7rocprim17ROCPRIM_400000_NS6detail17trampoline_kernelINS0_13kernel_configILj256ELj4ELj4294967295EEENS1_37radix_sort_block_sort_config_selectorIjN6thrust23THRUST_200600_302600_NS5tupleIffNS7_9null_typeES9_S9_S9_S9_S9_S9_S9_EEEEZNS1_21radix_sort_block_sortIS4_Lb0ENS7_6detail15normal_iteratorINS7_10device_ptrIjEEEESH_NSE_INSF_ISA_EEEESJ_NS0_19identity_decomposerEEE10hipError_tT1_T2_T3_T4_jRjT5_jjP12ihipStream_tbEUlT_E_NS1_11comp_targetILNS1_3genE3ELNS1_11target_archE908ELNS1_3gpuE7ELNS1_3repE0EEENS1_44radix_sort_block_sort_config_static_selectorELNS0_4arch9wavefront6targetE1EEEvSM_
	.p2align	8
	.type	_ZN7rocprim17ROCPRIM_400000_NS6detail17trampoline_kernelINS0_13kernel_configILj256ELj4ELj4294967295EEENS1_37radix_sort_block_sort_config_selectorIjN6thrust23THRUST_200600_302600_NS5tupleIffNS7_9null_typeES9_S9_S9_S9_S9_S9_S9_EEEEZNS1_21radix_sort_block_sortIS4_Lb0ENS7_6detail15normal_iteratorINS7_10device_ptrIjEEEESH_NSE_INSF_ISA_EEEESJ_NS0_19identity_decomposerEEE10hipError_tT1_T2_T3_T4_jRjT5_jjP12ihipStream_tbEUlT_E_NS1_11comp_targetILNS1_3genE3ELNS1_11target_archE908ELNS1_3gpuE7ELNS1_3repE0EEENS1_44radix_sort_block_sort_config_static_selectorELNS0_4arch9wavefront6targetE1EEEvSM_,@function
_ZN7rocprim17ROCPRIM_400000_NS6detail17trampoline_kernelINS0_13kernel_configILj256ELj4ELj4294967295EEENS1_37radix_sort_block_sort_config_selectorIjN6thrust23THRUST_200600_302600_NS5tupleIffNS7_9null_typeES9_S9_S9_S9_S9_S9_S9_EEEEZNS1_21radix_sort_block_sortIS4_Lb0ENS7_6detail15normal_iteratorINS7_10device_ptrIjEEEESH_NSE_INSF_ISA_EEEESJ_NS0_19identity_decomposerEEE10hipError_tT1_T2_T3_T4_jRjT5_jjP12ihipStream_tbEUlT_E_NS1_11comp_targetILNS1_3genE3ELNS1_11target_archE908ELNS1_3gpuE7ELNS1_3repE0EEENS1_44radix_sort_block_sort_config_static_selectorELNS0_4arch9wavefront6targetE1EEEvSM_: ; @_ZN7rocprim17ROCPRIM_400000_NS6detail17trampoline_kernelINS0_13kernel_configILj256ELj4ELj4294967295EEENS1_37radix_sort_block_sort_config_selectorIjN6thrust23THRUST_200600_302600_NS5tupleIffNS7_9null_typeES9_S9_S9_S9_S9_S9_S9_EEEEZNS1_21radix_sort_block_sortIS4_Lb0ENS7_6detail15normal_iteratorINS7_10device_ptrIjEEEESH_NSE_INSF_ISA_EEEESJ_NS0_19identity_decomposerEEE10hipError_tT1_T2_T3_T4_jRjT5_jjP12ihipStream_tbEUlT_E_NS1_11comp_targetILNS1_3genE3ELNS1_11target_archE908ELNS1_3gpuE7ELNS1_3repE0EEENS1_44radix_sort_block_sort_config_static_selectorELNS0_4arch9wavefront6targetE1EEEvSM_
; %bb.0:
	.section	.rodata,"a",@progbits
	.p2align	6, 0x0
	.amdhsa_kernel _ZN7rocprim17ROCPRIM_400000_NS6detail17trampoline_kernelINS0_13kernel_configILj256ELj4ELj4294967295EEENS1_37radix_sort_block_sort_config_selectorIjN6thrust23THRUST_200600_302600_NS5tupleIffNS7_9null_typeES9_S9_S9_S9_S9_S9_S9_EEEEZNS1_21radix_sort_block_sortIS4_Lb0ENS7_6detail15normal_iteratorINS7_10device_ptrIjEEEESH_NSE_INSF_ISA_EEEESJ_NS0_19identity_decomposerEEE10hipError_tT1_T2_T3_T4_jRjT5_jjP12ihipStream_tbEUlT_E_NS1_11comp_targetILNS1_3genE3ELNS1_11target_archE908ELNS1_3gpuE7ELNS1_3repE0EEENS1_44radix_sort_block_sort_config_static_selectorELNS0_4arch9wavefront6targetE1EEEvSM_
		.amdhsa_group_segment_fixed_size 0
		.amdhsa_private_segment_fixed_size 0
		.amdhsa_kernarg_size 48
		.amdhsa_user_sgpr_count 6
		.amdhsa_user_sgpr_private_segment_buffer 1
		.amdhsa_user_sgpr_dispatch_ptr 0
		.amdhsa_user_sgpr_queue_ptr 0
		.amdhsa_user_sgpr_kernarg_segment_ptr 1
		.amdhsa_user_sgpr_dispatch_id 0
		.amdhsa_user_sgpr_flat_scratch_init 0
		.amdhsa_user_sgpr_kernarg_preload_length 0
		.amdhsa_user_sgpr_kernarg_preload_offset 0
		.amdhsa_user_sgpr_private_segment_size 0
		.amdhsa_uses_dynamic_stack 0
		.amdhsa_system_sgpr_private_segment_wavefront_offset 0
		.amdhsa_system_sgpr_workgroup_id_x 1
		.amdhsa_system_sgpr_workgroup_id_y 0
		.amdhsa_system_sgpr_workgroup_id_z 0
		.amdhsa_system_sgpr_workgroup_info 0
		.amdhsa_system_vgpr_workitem_id 0
		.amdhsa_next_free_vgpr 1
		.amdhsa_next_free_sgpr 0
		.amdhsa_accum_offset 4
		.amdhsa_reserve_vcc 0
		.amdhsa_reserve_flat_scratch 0
		.amdhsa_float_round_mode_32 0
		.amdhsa_float_round_mode_16_64 0
		.amdhsa_float_denorm_mode_32 3
		.amdhsa_float_denorm_mode_16_64 3
		.amdhsa_dx10_clamp 1
		.amdhsa_ieee_mode 1
		.amdhsa_fp16_overflow 0
		.amdhsa_tg_split 0
		.amdhsa_exception_fp_ieee_invalid_op 0
		.amdhsa_exception_fp_denorm_src 0
		.amdhsa_exception_fp_ieee_div_zero 0
		.amdhsa_exception_fp_ieee_overflow 0
		.amdhsa_exception_fp_ieee_underflow 0
		.amdhsa_exception_fp_ieee_inexact 0
		.amdhsa_exception_int_div_zero 0
	.end_amdhsa_kernel
	.section	.text._ZN7rocprim17ROCPRIM_400000_NS6detail17trampoline_kernelINS0_13kernel_configILj256ELj4ELj4294967295EEENS1_37radix_sort_block_sort_config_selectorIjN6thrust23THRUST_200600_302600_NS5tupleIffNS7_9null_typeES9_S9_S9_S9_S9_S9_S9_EEEEZNS1_21radix_sort_block_sortIS4_Lb0ENS7_6detail15normal_iteratorINS7_10device_ptrIjEEEESH_NSE_INSF_ISA_EEEESJ_NS0_19identity_decomposerEEE10hipError_tT1_T2_T3_T4_jRjT5_jjP12ihipStream_tbEUlT_E_NS1_11comp_targetILNS1_3genE3ELNS1_11target_archE908ELNS1_3gpuE7ELNS1_3repE0EEENS1_44radix_sort_block_sort_config_static_selectorELNS0_4arch9wavefront6targetE1EEEvSM_,"axG",@progbits,_ZN7rocprim17ROCPRIM_400000_NS6detail17trampoline_kernelINS0_13kernel_configILj256ELj4ELj4294967295EEENS1_37radix_sort_block_sort_config_selectorIjN6thrust23THRUST_200600_302600_NS5tupleIffNS7_9null_typeES9_S9_S9_S9_S9_S9_S9_EEEEZNS1_21radix_sort_block_sortIS4_Lb0ENS7_6detail15normal_iteratorINS7_10device_ptrIjEEEESH_NSE_INSF_ISA_EEEESJ_NS0_19identity_decomposerEEE10hipError_tT1_T2_T3_T4_jRjT5_jjP12ihipStream_tbEUlT_E_NS1_11comp_targetILNS1_3genE3ELNS1_11target_archE908ELNS1_3gpuE7ELNS1_3repE0EEENS1_44radix_sort_block_sort_config_static_selectorELNS0_4arch9wavefront6targetE1EEEvSM_,comdat
.Lfunc_end10:
	.size	_ZN7rocprim17ROCPRIM_400000_NS6detail17trampoline_kernelINS0_13kernel_configILj256ELj4ELj4294967295EEENS1_37radix_sort_block_sort_config_selectorIjN6thrust23THRUST_200600_302600_NS5tupleIffNS7_9null_typeES9_S9_S9_S9_S9_S9_S9_EEEEZNS1_21radix_sort_block_sortIS4_Lb0ENS7_6detail15normal_iteratorINS7_10device_ptrIjEEEESH_NSE_INSF_ISA_EEEESJ_NS0_19identity_decomposerEEE10hipError_tT1_T2_T3_T4_jRjT5_jjP12ihipStream_tbEUlT_E_NS1_11comp_targetILNS1_3genE3ELNS1_11target_archE908ELNS1_3gpuE7ELNS1_3repE0EEENS1_44radix_sort_block_sort_config_static_selectorELNS0_4arch9wavefront6targetE1EEEvSM_, .Lfunc_end10-_ZN7rocprim17ROCPRIM_400000_NS6detail17trampoline_kernelINS0_13kernel_configILj256ELj4ELj4294967295EEENS1_37radix_sort_block_sort_config_selectorIjN6thrust23THRUST_200600_302600_NS5tupleIffNS7_9null_typeES9_S9_S9_S9_S9_S9_S9_EEEEZNS1_21radix_sort_block_sortIS4_Lb0ENS7_6detail15normal_iteratorINS7_10device_ptrIjEEEESH_NSE_INSF_ISA_EEEESJ_NS0_19identity_decomposerEEE10hipError_tT1_T2_T3_T4_jRjT5_jjP12ihipStream_tbEUlT_E_NS1_11comp_targetILNS1_3genE3ELNS1_11target_archE908ELNS1_3gpuE7ELNS1_3repE0EEENS1_44radix_sort_block_sort_config_static_selectorELNS0_4arch9wavefront6targetE1EEEvSM_
                                        ; -- End function
	.section	.AMDGPU.csdata,"",@progbits
; Kernel info:
; codeLenInByte = 0
; NumSgprs: 4
; NumVgprs: 0
; NumAgprs: 0
; TotalNumVgprs: 0
; ScratchSize: 0
; MemoryBound: 0
; FloatMode: 240
; IeeeMode: 1
; LDSByteSize: 0 bytes/workgroup (compile time only)
; SGPRBlocks: 0
; VGPRBlocks: 0
; NumSGPRsForWavesPerEU: 4
; NumVGPRsForWavesPerEU: 1
; AccumOffset: 4
; Occupancy: 8
; WaveLimiterHint : 0
; COMPUTE_PGM_RSRC2:SCRATCH_EN: 0
; COMPUTE_PGM_RSRC2:USER_SGPR: 6
; COMPUTE_PGM_RSRC2:TRAP_HANDLER: 0
; COMPUTE_PGM_RSRC2:TGID_X_EN: 1
; COMPUTE_PGM_RSRC2:TGID_Y_EN: 0
; COMPUTE_PGM_RSRC2:TGID_Z_EN: 0
; COMPUTE_PGM_RSRC2:TIDIG_COMP_CNT: 0
; COMPUTE_PGM_RSRC3_GFX90A:ACCUM_OFFSET: 0
; COMPUTE_PGM_RSRC3_GFX90A:TG_SPLIT: 0
	.section	.text._ZN7rocprim17ROCPRIM_400000_NS6detail17trampoline_kernelINS0_13kernel_configILj256ELj4ELj4294967295EEENS1_37radix_sort_block_sort_config_selectorIjN6thrust23THRUST_200600_302600_NS5tupleIffNS7_9null_typeES9_S9_S9_S9_S9_S9_S9_EEEEZNS1_21radix_sort_block_sortIS4_Lb0ENS7_6detail15normal_iteratorINS7_10device_ptrIjEEEESH_NSE_INSF_ISA_EEEESJ_NS0_19identity_decomposerEEE10hipError_tT1_T2_T3_T4_jRjT5_jjP12ihipStream_tbEUlT_E_NS1_11comp_targetILNS1_3genE2ELNS1_11target_archE906ELNS1_3gpuE6ELNS1_3repE0EEENS1_44radix_sort_block_sort_config_static_selectorELNS0_4arch9wavefront6targetE1EEEvSM_,"axG",@progbits,_ZN7rocprim17ROCPRIM_400000_NS6detail17trampoline_kernelINS0_13kernel_configILj256ELj4ELj4294967295EEENS1_37radix_sort_block_sort_config_selectorIjN6thrust23THRUST_200600_302600_NS5tupleIffNS7_9null_typeES9_S9_S9_S9_S9_S9_S9_EEEEZNS1_21radix_sort_block_sortIS4_Lb0ENS7_6detail15normal_iteratorINS7_10device_ptrIjEEEESH_NSE_INSF_ISA_EEEESJ_NS0_19identity_decomposerEEE10hipError_tT1_T2_T3_T4_jRjT5_jjP12ihipStream_tbEUlT_E_NS1_11comp_targetILNS1_3genE2ELNS1_11target_archE906ELNS1_3gpuE6ELNS1_3repE0EEENS1_44radix_sort_block_sort_config_static_selectorELNS0_4arch9wavefront6targetE1EEEvSM_,comdat
	.protected	_ZN7rocprim17ROCPRIM_400000_NS6detail17trampoline_kernelINS0_13kernel_configILj256ELj4ELj4294967295EEENS1_37radix_sort_block_sort_config_selectorIjN6thrust23THRUST_200600_302600_NS5tupleIffNS7_9null_typeES9_S9_S9_S9_S9_S9_S9_EEEEZNS1_21radix_sort_block_sortIS4_Lb0ENS7_6detail15normal_iteratorINS7_10device_ptrIjEEEESH_NSE_INSF_ISA_EEEESJ_NS0_19identity_decomposerEEE10hipError_tT1_T2_T3_T4_jRjT5_jjP12ihipStream_tbEUlT_E_NS1_11comp_targetILNS1_3genE2ELNS1_11target_archE906ELNS1_3gpuE6ELNS1_3repE0EEENS1_44radix_sort_block_sort_config_static_selectorELNS0_4arch9wavefront6targetE1EEEvSM_ ; -- Begin function _ZN7rocprim17ROCPRIM_400000_NS6detail17trampoline_kernelINS0_13kernel_configILj256ELj4ELj4294967295EEENS1_37radix_sort_block_sort_config_selectorIjN6thrust23THRUST_200600_302600_NS5tupleIffNS7_9null_typeES9_S9_S9_S9_S9_S9_S9_EEEEZNS1_21radix_sort_block_sortIS4_Lb0ENS7_6detail15normal_iteratorINS7_10device_ptrIjEEEESH_NSE_INSF_ISA_EEEESJ_NS0_19identity_decomposerEEE10hipError_tT1_T2_T3_T4_jRjT5_jjP12ihipStream_tbEUlT_E_NS1_11comp_targetILNS1_3genE2ELNS1_11target_archE906ELNS1_3gpuE6ELNS1_3repE0EEENS1_44radix_sort_block_sort_config_static_selectorELNS0_4arch9wavefront6targetE1EEEvSM_
	.globl	_ZN7rocprim17ROCPRIM_400000_NS6detail17trampoline_kernelINS0_13kernel_configILj256ELj4ELj4294967295EEENS1_37radix_sort_block_sort_config_selectorIjN6thrust23THRUST_200600_302600_NS5tupleIffNS7_9null_typeES9_S9_S9_S9_S9_S9_S9_EEEEZNS1_21radix_sort_block_sortIS4_Lb0ENS7_6detail15normal_iteratorINS7_10device_ptrIjEEEESH_NSE_INSF_ISA_EEEESJ_NS0_19identity_decomposerEEE10hipError_tT1_T2_T3_T4_jRjT5_jjP12ihipStream_tbEUlT_E_NS1_11comp_targetILNS1_3genE2ELNS1_11target_archE906ELNS1_3gpuE6ELNS1_3repE0EEENS1_44radix_sort_block_sort_config_static_selectorELNS0_4arch9wavefront6targetE1EEEvSM_
	.p2align	8
	.type	_ZN7rocprim17ROCPRIM_400000_NS6detail17trampoline_kernelINS0_13kernel_configILj256ELj4ELj4294967295EEENS1_37radix_sort_block_sort_config_selectorIjN6thrust23THRUST_200600_302600_NS5tupleIffNS7_9null_typeES9_S9_S9_S9_S9_S9_S9_EEEEZNS1_21radix_sort_block_sortIS4_Lb0ENS7_6detail15normal_iteratorINS7_10device_ptrIjEEEESH_NSE_INSF_ISA_EEEESJ_NS0_19identity_decomposerEEE10hipError_tT1_T2_T3_T4_jRjT5_jjP12ihipStream_tbEUlT_E_NS1_11comp_targetILNS1_3genE2ELNS1_11target_archE906ELNS1_3gpuE6ELNS1_3repE0EEENS1_44radix_sort_block_sort_config_static_selectorELNS0_4arch9wavefront6targetE1EEEvSM_,@function
_ZN7rocprim17ROCPRIM_400000_NS6detail17trampoline_kernelINS0_13kernel_configILj256ELj4ELj4294967295EEENS1_37radix_sort_block_sort_config_selectorIjN6thrust23THRUST_200600_302600_NS5tupleIffNS7_9null_typeES9_S9_S9_S9_S9_S9_S9_EEEEZNS1_21radix_sort_block_sortIS4_Lb0ENS7_6detail15normal_iteratorINS7_10device_ptrIjEEEESH_NSE_INSF_ISA_EEEESJ_NS0_19identity_decomposerEEE10hipError_tT1_T2_T3_T4_jRjT5_jjP12ihipStream_tbEUlT_E_NS1_11comp_targetILNS1_3genE2ELNS1_11target_archE906ELNS1_3gpuE6ELNS1_3repE0EEENS1_44radix_sort_block_sort_config_static_selectorELNS0_4arch9wavefront6targetE1EEEvSM_: ; @_ZN7rocprim17ROCPRIM_400000_NS6detail17trampoline_kernelINS0_13kernel_configILj256ELj4ELj4294967295EEENS1_37radix_sort_block_sort_config_selectorIjN6thrust23THRUST_200600_302600_NS5tupleIffNS7_9null_typeES9_S9_S9_S9_S9_S9_S9_EEEEZNS1_21radix_sort_block_sortIS4_Lb0ENS7_6detail15normal_iteratorINS7_10device_ptrIjEEEESH_NSE_INSF_ISA_EEEESJ_NS0_19identity_decomposerEEE10hipError_tT1_T2_T3_T4_jRjT5_jjP12ihipStream_tbEUlT_E_NS1_11comp_targetILNS1_3genE2ELNS1_11target_archE906ELNS1_3gpuE6ELNS1_3repE0EEENS1_44radix_sort_block_sort_config_static_selectorELNS0_4arch9wavefront6targetE1EEEvSM_
; %bb.0:
	.section	.rodata,"a",@progbits
	.p2align	6, 0x0
	.amdhsa_kernel _ZN7rocprim17ROCPRIM_400000_NS6detail17trampoline_kernelINS0_13kernel_configILj256ELj4ELj4294967295EEENS1_37radix_sort_block_sort_config_selectorIjN6thrust23THRUST_200600_302600_NS5tupleIffNS7_9null_typeES9_S9_S9_S9_S9_S9_S9_EEEEZNS1_21radix_sort_block_sortIS4_Lb0ENS7_6detail15normal_iteratorINS7_10device_ptrIjEEEESH_NSE_INSF_ISA_EEEESJ_NS0_19identity_decomposerEEE10hipError_tT1_T2_T3_T4_jRjT5_jjP12ihipStream_tbEUlT_E_NS1_11comp_targetILNS1_3genE2ELNS1_11target_archE906ELNS1_3gpuE6ELNS1_3repE0EEENS1_44radix_sort_block_sort_config_static_selectorELNS0_4arch9wavefront6targetE1EEEvSM_
		.amdhsa_group_segment_fixed_size 0
		.amdhsa_private_segment_fixed_size 0
		.amdhsa_kernarg_size 48
		.amdhsa_user_sgpr_count 6
		.amdhsa_user_sgpr_private_segment_buffer 1
		.amdhsa_user_sgpr_dispatch_ptr 0
		.amdhsa_user_sgpr_queue_ptr 0
		.amdhsa_user_sgpr_kernarg_segment_ptr 1
		.amdhsa_user_sgpr_dispatch_id 0
		.amdhsa_user_sgpr_flat_scratch_init 0
		.amdhsa_user_sgpr_kernarg_preload_length 0
		.amdhsa_user_sgpr_kernarg_preload_offset 0
		.amdhsa_user_sgpr_private_segment_size 0
		.amdhsa_uses_dynamic_stack 0
		.amdhsa_system_sgpr_private_segment_wavefront_offset 0
		.amdhsa_system_sgpr_workgroup_id_x 1
		.amdhsa_system_sgpr_workgroup_id_y 0
		.amdhsa_system_sgpr_workgroup_id_z 0
		.amdhsa_system_sgpr_workgroup_info 0
		.amdhsa_system_vgpr_workitem_id 0
		.amdhsa_next_free_vgpr 1
		.amdhsa_next_free_sgpr 0
		.amdhsa_accum_offset 4
		.amdhsa_reserve_vcc 0
		.amdhsa_reserve_flat_scratch 0
		.amdhsa_float_round_mode_32 0
		.amdhsa_float_round_mode_16_64 0
		.amdhsa_float_denorm_mode_32 3
		.amdhsa_float_denorm_mode_16_64 3
		.amdhsa_dx10_clamp 1
		.amdhsa_ieee_mode 1
		.amdhsa_fp16_overflow 0
		.amdhsa_tg_split 0
		.amdhsa_exception_fp_ieee_invalid_op 0
		.amdhsa_exception_fp_denorm_src 0
		.amdhsa_exception_fp_ieee_div_zero 0
		.amdhsa_exception_fp_ieee_overflow 0
		.amdhsa_exception_fp_ieee_underflow 0
		.amdhsa_exception_fp_ieee_inexact 0
		.amdhsa_exception_int_div_zero 0
	.end_amdhsa_kernel
	.section	.text._ZN7rocprim17ROCPRIM_400000_NS6detail17trampoline_kernelINS0_13kernel_configILj256ELj4ELj4294967295EEENS1_37radix_sort_block_sort_config_selectorIjN6thrust23THRUST_200600_302600_NS5tupleIffNS7_9null_typeES9_S9_S9_S9_S9_S9_S9_EEEEZNS1_21radix_sort_block_sortIS4_Lb0ENS7_6detail15normal_iteratorINS7_10device_ptrIjEEEESH_NSE_INSF_ISA_EEEESJ_NS0_19identity_decomposerEEE10hipError_tT1_T2_T3_T4_jRjT5_jjP12ihipStream_tbEUlT_E_NS1_11comp_targetILNS1_3genE2ELNS1_11target_archE906ELNS1_3gpuE6ELNS1_3repE0EEENS1_44radix_sort_block_sort_config_static_selectorELNS0_4arch9wavefront6targetE1EEEvSM_,"axG",@progbits,_ZN7rocprim17ROCPRIM_400000_NS6detail17trampoline_kernelINS0_13kernel_configILj256ELj4ELj4294967295EEENS1_37radix_sort_block_sort_config_selectorIjN6thrust23THRUST_200600_302600_NS5tupleIffNS7_9null_typeES9_S9_S9_S9_S9_S9_S9_EEEEZNS1_21radix_sort_block_sortIS4_Lb0ENS7_6detail15normal_iteratorINS7_10device_ptrIjEEEESH_NSE_INSF_ISA_EEEESJ_NS0_19identity_decomposerEEE10hipError_tT1_T2_T3_T4_jRjT5_jjP12ihipStream_tbEUlT_E_NS1_11comp_targetILNS1_3genE2ELNS1_11target_archE906ELNS1_3gpuE6ELNS1_3repE0EEENS1_44radix_sort_block_sort_config_static_selectorELNS0_4arch9wavefront6targetE1EEEvSM_,comdat
.Lfunc_end11:
	.size	_ZN7rocprim17ROCPRIM_400000_NS6detail17trampoline_kernelINS0_13kernel_configILj256ELj4ELj4294967295EEENS1_37radix_sort_block_sort_config_selectorIjN6thrust23THRUST_200600_302600_NS5tupleIffNS7_9null_typeES9_S9_S9_S9_S9_S9_S9_EEEEZNS1_21radix_sort_block_sortIS4_Lb0ENS7_6detail15normal_iteratorINS7_10device_ptrIjEEEESH_NSE_INSF_ISA_EEEESJ_NS0_19identity_decomposerEEE10hipError_tT1_T2_T3_T4_jRjT5_jjP12ihipStream_tbEUlT_E_NS1_11comp_targetILNS1_3genE2ELNS1_11target_archE906ELNS1_3gpuE6ELNS1_3repE0EEENS1_44radix_sort_block_sort_config_static_selectorELNS0_4arch9wavefront6targetE1EEEvSM_, .Lfunc_end11-_ZN7rocprim17ROCPRIM_400000_NS6detail17trampoline_kernelINS0_13kernel_configILj256ELj4ELj4294967295EEENS1_37radix_sort_block_sort_config_selectorIjN6thrust23THRUST_200600_302600_NS5tupleIffNS7_9null_typeES9_S9_S9_S9_S9_S9_S9_EEEEZNS1_21radix_sort_block_sortIS4_Lb0ENS7_6detail15normal_iteratorINS7_10device_ptrIjEEEESH_NSE_INSF_ISA_EEEESJ_NS0_19identity_decomposerEEE10hipError_tT1_T2_T3_T4_jRjT5_jjP12ihipStream_tbEUlT_E_NS1_11comp_targetILNS1_3genE2ELNS1_11target_archE906ELNS1_3gpuE6ELNS1_3repE0EEENS1_44radix_sort_block_sort_config_static_selectorELNS0_4arch9wavefront6targetE1EEEvSM_
                                        ; -- End function
	.section	.AMDGPU.csdata,"",@progbits
; Kernel info:
; codeLenInByte = 0
; NumSgprs: 4
; NumVgprs: 0
; NumAgprs: 0
; TotalNumVgprs: 0
; ScratchSize: 0
; MemoryBound: 0
; FloatMode: 240
; IeeeMode: 1
; LDSByteSize: 0 bytes/workgroup (compile time only)
; SGPRBlocks: 0
; VGPRBlocks: 0
; NumSGPRsForWavesPerEU: 4
; NumVGPRsForWavesPerEU: 1
; AccumOffset: 4
; Occupancy: 8
; WaveLimiterHint : 0
; COMPUTE_PGM_RSRC2:SCRATCH_EN: 0
; COMPUTE_PGM_RSRC2:USER_SGPR: 6
; COMPUTE_PGM_RSRC2:TRAP_HANDLER: 0
; COMPUTE_PGM_RSRC2:TGID_X_EN: 1
; COMPUTE_PGM_RSRC2:TGID_Y_EN: 0
; COMPUTE_PGM_RSRC2:TGID_Z_EN: 0
; COMPUTE_PGM_RSRC2:TIDIG_COMP_CNT: 0
; COMPUTE_PGM_RSRC3_GFX90A:ACCUM_OFFSET: 0
; COMPUTE_PGM_RSRC3_GFX90A:TG_SPLIT: 0
	.section	.text._ZN7rocprim17ROCPRIM_400000_NS6detail17trampoline_kernelINS0_13kernel_configILj256ELj4ELj4294967295EEENS1_37radix_sort_block_sort_config_selectorIjN6thrust23THRUST_200600_302600_NS5tupleIffNS7_9null_typeES9_S9_S9_S9_S9_S9_S9_EEEEZNS1_21radix_sort_block_sortIS4_Lb0ENS7_6detail15normal_iteratorINS7_10device_ptrIjEEEESH_NSE_INSF_ISA_EEEESJ_NS0_19identity_decomposerEEE10hipError_tT1_T2_T3_T4_jRjT5_jjP12ihipStream_tbEUlT_E_NS1_11comp_targetILNS1_3genE10ELNS1_11target_archE1201ELNS1_3gpuE5ELNS1_3repE0EEENS1_44radix_sort_block_sort_config_static_selectorELNS0_4arch9wavefront6targetE1EEEvSM_,"axG",@progbits,_ZN7rocprim17ROCPRIM_400000_NS6detail17trampoline_kernelINS0_13kernel_configILj256ELj4ELj4294967295EEENS1_37radix_sort_block_sort_config_selectorIjN6thrust23THRUST_200600_302600_NS5tupleIffNS7_9null_typeES9_S9_S9_S9_S9_S9_S9_EEEEZNS1_21radix_sort_block_sortIS4_Lb0ENS7_6detail15normal_iteratorINS7_10device_ptrIjEEEESH_NSE_INSF_ISA_EEEESJ_NS0_19identity_decomposerEEE10hipError_tT1_T2_T3_T4_jRjT5_jjP12ihipStream_tbEUlT_E_NS1_11comp_targetILNS1_3genE10ELNS1_11target_archE1201ELNS1_3gpuE5ELNS1_3repE0EEENS1_44radix_sort_block_sort_config_static_selectorELNS0_4arch9wavefront6targetE1EEEvSM_,comdat
	.protected	_ZN7rocprim17ROCPRIM_400000_NS6detail17trampoline_kernelINS0_13kernel_configILj256ELj4ELj4294967295EEENS1_37radix_sort_block_sort_config_selectorIjN6thrust23THRUST_200600_302600_NS5tupleIffNS7_9null_typeES9_S9_S9_S9_S9_S9_S9_EEEEZNS1_21radix_sort_block_sortIS4_Lb0ENS7_6detail15normal_iteratorINS7_10device_ptrIjEEEESH_NSE_INSF_ISA_EEEESJ_NS0_19identity_decomposerEEE10hipError_tT1_T2_T3_T4_jRjT5_jjP12ihipStream_tbEUlT_E_NS1_11comp_targetILNS1_3genE10ELNS1_11target_archE1201ELNS1_3gpuE5ELNS1_3repE0EEENS1_44radix_sort_block_sort_config_static_selectorELNS0_4arch9wavefront6targetE1EEEvSM_ ; -- Begin function _ZN7rocprim17ROCPRIM_400000_NS6detail17trampoline_kernelINS0_13kernel_configILj256ELj4ELj4294967295EEENS1_37radix_sort_block_sort_config_selectorIjN6thrust23THRUST_200600_302600_NS5tupleIffNS7_9null_typeES9_S9_S9_S9_S9_S9_S9_EEEEZNS1_21radix_sort_block_sortIS4_Lb0ENS7_6detail15normal_iteratorINS7_10device_ptrIjEEEESH_NSE_INSF_ISA_EEEESJ_NS0_19identity_decomposerEEE10hipError_tT1_T2_T3_T4_jRjT5_jjP12ihipStream_tbEUlT_E_NS1_11comp_targetILNS1_3genE10ELNS1_11target_archE1201ELNS1_3gpuE5ELNS1_3repE0EEENS1_44radix_sort_block_sort_config_static_selectorELNS0_4arch9wavefront6targetE1EEEvSM_
	.globl	_ZN7rocprim17ROCPRIM_400000_NS6detail17trampoline_kernelINS0_13kernel_configILj256ELj4ELj4294967295EEENS1_37radix_sort_block_sort_config_selectorIjN6thrust23THRUST_200600_302600_NS5tupleIffNS7_9null_typeES9_S9_S9_S9_S9_S9_S9_EEEEZNS1_21radix_sort_block_sortIS4_Lb0ENS7_6detail15normal_iteratorINS7_10device_ptrIjEEEESH_NSE_INSF_ISA_EEEESJ_NS0_19identity_decomposerEEE10hipError_tT1_T2_T3_T4_jRjT5_jjP12ihipStream_tbEUlT_E_NS1_11comp_targetILNS1_3genE10ELNS1_11target_archE1201ELNS1_3gpuE5ELNS1_3repE0EEENS1_44radix_sort_block_sort_config_static_selectorELNS0_4arch9wavefront6targetE1EEEvSM_
	.p2align	8
	.type	_ZN7rocprim17ROCPRIM_400000_NS6detail17trampoline_kernelINS0_13kernel_configILj256ELj4ELj4294967295EEENS1_37radix_sort_block_sort_config_selectorIjN6thrust23THRUST_200600_302600_NS5tupleIffNS7_9null_typeES9_S9_S9_S9_S9_S9_S9_EEEEZNS1_21radix_sort_block_sortIS4_Lb0ENS7_6detail15normal_iteratorINS7_10device_ptrIjEEEESH_NSE_INSF_ISA_EEEESJ_NS0_19identity_decomposerEEE10hipError_tT1_T2_T3_T4_jRjT5_jjP12ihipStream_tbEUlT_E_NS1_11comp_targetILNS1_3genE10ELNS1_11target_archE1201ELNS1_3gpuE5ELNS1_3repE0EEENS1_44radix_sort_block_sort_config_static_selectorELNS0_4arch9wavefront6targetE1EEEvSM_,@function
_ZN7rocprim17ROCPRIM_400000_NS6detail17trampoline_kernelINS0_13kernel_configILj256ELj4ELj4294967295EEENS1_37radix_sort_block_sort_config_selectorIjN6thrust23THRUST_200600_302600_NS5tupleIffNS7_9null_typeES9_S9_S9_S9_S9_S9_S9_EEEEZNS1_21radix_sort_block_sortIS4_Lb0ENS7_6detail15normal_iteratorINS7_10device_ptrIjEEEESH_NSE_INSF_ISA_EEEESJ_NS0_19identity_decomposerEEE10hipError_tT1_T2_T3_T4_jRjT5_jjP12ihipStream_tbEUlT_E_NS1_11comp_targetILNS1_3genE10ELNS1_11target_archE1201ELNS1_3gpuE5ELNS1_3repE0EEENS1_44radix_sort_block_sort_config_static_selectorELNS0_4arch9wavefront6targetE1EEEvSM_: ; @_ZN7rocprim17ROCPRIM_400000_NS6detail17trampoline_kernelINS0_13kernel_configILj256ELj4ELj4294967295EEENS1_37radix_sort_block_sort_config_selectorIjN6thrust23THRUST_200600_302600_NS5tupleIffNS7_9null_typeES9_S9_S9_S9_S9_S9_S9_EEEEZNS1_21radix_sort_block_sortIS4_Lb0ENS7_6detail15normal_iteratorINS7_10device_ptrIjEEEESH_NSE_INSF_ISA_EEEESJ_NS0_19identity_decomposerEEE10hipError_tT1_T2_T3_T4_jRjT5_jjP12ihipStream_tbEUlT_E_NS1_11comp_targetILNS1_3genE10ELNS1_11target_archE1201ELNS1_3gpuE5ELNS1_3repE0EEENS1_44radix_sort_block_sort_config_static_selectorELNS0_4arch9wavefront6targetE1EEEvSM_
; %bb.0:
	.section	.rodata,"a",@progbits
	.p2align	6, 0x0
	.amdhsa_kernel _ZN7rocprim17ROCPRIM_400000_NS6detail17trampoline_kernelINS0_13kernel_configILj256ELj4ELj4294967295EEENS1_37radix_sort_block_sort_config_selectorIjN6thrust23THRUST_200600_302600_NS5tupleIffNS7_9null_typeES9_S9_S9_S9_S9_S9_S9_EEEEZNS1_21radix_sort_block_sortIS4_Lb0ENS7_6detail15normal_iteratorINS7_10device_ptrIjEEEESH_NSE_INSF_ISA_EEEESJ_NS0_19identity_decomposerEEE10hipError_tT1_T2_T3_T4_jRjT5_jjP12ihipStream_tbEUlT_E_NS1_11comp_targetILNS1_3genE10ELNS1_11target_archE1201ELNS1_3gpuE5ELNS1_3repE0EEENS1_44radix_sort_block_sort_config_static_selectorELNS0_4arch9wavefront6targetE1EEEvSM_
		.amdhsa_group_segment_fixed_size 0
		.amdhsa_private_segment_fixed_size 0
		.amdhsa_kernarg_size 48
		.amdhsa_user_sgpr_count 6
		.amdhsa_user_sgpr_private_segment_buffer 1
		.amdhsa_user_sgpr_dispatch_ptr 0
		.amdhsa_user_sgpr_queue_ptr 0
		.amdhsa_user_sgpr_kernarg_segment_ptr 1
		.amdhsa_user_sgpr_dispatch_id 0
		.amdhsa_user_sgpr_flat_scratch_init 0
		.amdhsa_user_sgpr_kernarg_preload_length 0
		.amdhsa_user_sgpr_kernarg_preload_offset 0
		.amdhsa_user_sgpr_private_segment_size 0
		.amdhsa_uses_dynamic_stack 0
		.amdhsa_system_sgpr_private_segment_wavefront_offset 0
		.amdhsa_system_sgpr_workgroup_id_x 1
		.amdhsa_system_sgpr_workgroup_id_y 0
		.amdhsa_system_sgpr_workgroup_id_z 0
		.amdhsa_system_sgpr_workgroup_info 0
		.amdhsa_system_vgpr_workitem_id 0
		.amdhsa_next_free_vgpr 1
		.amdhsa_next_free_sgpr 0
		.amdhsa_accum_offset 4
		.amdhsa_reserve_vcc 0
		.amdhsa_reserve_flat_scratch 0
		.amdhsa_float_round_mode_32 0
		.amdhsa_float_round_mode_16_64 0
		.amdhsa_float_denorm_mode_32 3
		.amdhsa_float_denorm_mode_16_64 3
		.amdhsa_dx10_clamp 1
		.amdhsa_ieee_mode 1
		.amdhsa_fp16_overflow 0
		.amdhsa_tg_split 0
		.amdhsa_exception_fp_ieee_invalid_op 0
		.amdhsa_exception_fp_denorm_src 0
		.amdhsa_exception_fp_ieee_div_zero 0
		.amdhsa_exception_fp_ieee_overflow 0
		.amdhsa_exception_fp_ieee_underflow 0
		.amdhsa_exception_fp_ieee_inexact 0
		.amdhsa_exception_int_div_zero 0
	.end_amdhsa_kernel
	.section	.text._ZN7rocprim17ROCPRIM_400000_NS6detail17trampoline_kernelINS0_13kernel_configILj256ELj4ELj4294967295EEENS1_37radix_sort_block_sort_config_selectorIjN6thrust23THRUST_200600_302600_NS5tupleIffNS7_9null_typeES9_S9_S9_S9_S9_S9_S9_EEEEZNS1_21radix_sort_block_sortIS4_Lb0ENS7_6detail15normal_iteratorINS7_10device_ptrIjEEEESH_NSE_INSF_ISA_EEEESJ_NS0_19identity_decomposerEEE10hipError_tT1_T2_T3_T4_jRjT5_jjP12ihipStream_tbEUlT_E_NS1_11comp_targetILNS1_3genE10ELNS1_11target_archE1201ELNS1_3gpuE5ELNS1_3repE0EEENS1_44radix_sort_block_sort_config_static_selectorELNS0_4arch9wavefront6targetE1EEEvSM_,"axG",@progbits,_ZN7rocprim17ROCPRIM_400000_NS6detail17trampoline_kernelINS0_13kernel_configILj256ELj4ELj4294967295EEENS1_37radix_sort_block_sort_config_selectorIjN6thrust23THRUST_200600_302600_NS5tupleIffNS7_9null_typeES9_S9_S9_S9_S9_S9_S9_EEEEZNS1_21radix_sort_block_sortIS4_Lb0ENS7_6detail15normal_iteratorINS7_10device_ptrIjEEEESH_NSE_INSF_ISA_EEEESJ_NS0_19identity_decomposerEEE10hipError_tT1_T2_T3_T4_jRjT5_jjP12ihipStream_tbEUlT_E_NS1_11comp_targetILNS1_3genE10ELNS1_11target_archE1201ELNS1_3gpuE5ELNS1_3repE0EEENS1_44radix_sort_block_sort_config_static_selectorELNS0_4arch9wavefront6targetE1EEEvSM_,comdat
.Lfunc_end12:
	.size	_ZN7rocprim17ROCPRIM_400000_NS6detail17trampoline_kernelINS0_13kernel_configILj256ELj4ELj4294967295EEENS1_37radix_sort_block_sort_config_selectorIjN6thrust23THRUST_200600_302600_NS5tupleIffNS7_9null_typeES9_S9_S9_S9_S9_S9_S9_EEEEZNS1_21radix_sort_block_sortIS4_Lb0ENS7_6detail15normal_iteratorINS7_10device_ptrIjEEEESH_NSE_INSF_ISA_EEEESJ_NS0_19identity_decomposerEEE10hipError_tT1_T2_T3_T4_jRjT5_jjP12ihipStream_tbEUlT_E_NS1_11comp_targetILNS1_3genE10ELNS1_11target_archE1201ELNS1_3gpuE5ELNS1_3repE0EEENS1_44radix_sort_block_sort_config_static_selectorELNS0_4arch9wavefront6targetE1EEEvSM_, .Lfunc_end12-_ZN7rocprim17ROCPRIM_400000_NS6detail17trampoline_kernelINS0_13kernel_configILj256ELj4ELj4294967295EEENS1_37radix_sort_block_sort_config_selectorIjN6thrust23THRUST_200600_302600_NS5tupleIffNS7_9null_typeES9_S9_S9_S9_S9_S9_S9_EEEEZNS1_21radix_sort_block_sortIS4_Lb0ENS7_6detail15normal_iteratorINS7_10device_ptrIjEEEESH_NSE_INSF_ISA_EEEESJ_NS0_19identity_decomposerEEE10hipError_tT1_T2_T3_T4_jRjT5_jjP12ihipStream_tbEUlT_E_NS1_11comp_targetILNS1_3genE10ELNS1_11target_archE1201ELNS1_3gpuE5ELNS1_3repE0EEENS1_44radix_sort_block_sort_config_static_selectorELNS0_4arch9wavefront6targetE1EEEvSM_
                                        ; -- End function
	.section	.AMDGPU.csdata,"",@progbits
; Kernel info:
; codeLenInByte = 0
; NumSgprs: 4
; NumVgprs: 0
; NumAgprs: 0
; TotalNumVgprs: 0
; ScratchSize: 0
; MemoryBound: 0
; FloatMode: 240
; IeeeMode: 1
; LDSByteSize: 0 bytes/workgroup (compile time only)
; SGPRBlocks: 0
; VGPRBlocks: 0
; NumSGPRsForWavesPerEU: 4
; NumVGPRsForWavesPerEU: 1
; AccumOffset: 4
; Occupancy: 8
; WaveLimiterHint : 0
; COMPUTE_PGM_RSRC2:SCRATCH_EN: 0
; COMPUTE_PGM_RSRC2:USER_SGPR: 6
; COMPUTE_PGM_RSRC2:TRAP_HANDLER: 0
; COMPUTE_PGM_RSRC2:TGID_X_EN: 1
; COMPUTE_PGM_RSRC2:TGID_Y_EN: 0
; COMPUTE_PGM_RSRC2:TGID_Z_EN: 0
; COMPUTE_PGM_RSRC2:TIDIG_COMP_CNT: 0
; COMPUTE_PGM_RSRC3_GFX90A:ACCUM_OFFSET: 0
; COMPUTE_PGM_RSRC3_GFX90A:TG_SPLIT: 0
	.section	.text._ZN7rocprim17ROCPRIM_400000_NS6detail17trampoline_kernelINS0_13kernel_configILj256ELj4ELj4294967295EEENS1_37radix_sort_block_sort_config_selectorIjN6thrust23THRUST_200600_302600_NS5tupleIffNS7_9null_typeES9_S9_S9_S9_S9_S9_S9_EEEEZNS1_21radix_sort_block_sortIS4_Lb0ENS7_6detail15normal_iteratorINS7_10device_ptrIjEEEESH_NSE_INSF_ISA_EEEESJ_NS0_19identity_decomposerEEE10hipError_tT1_T2_T3_T4_jRjT5_jjP12ihipStream_tbEUlT_E_NS1_11comp_targetILNS1_3genE10ELNS1_11target_archE1200ELNS1_3gpuE4ELNS1_3repE0EEENS1_44radix_sort_block_sort_config_static_selectorELNS0_4arch9wavefront6targetE1EEEvSM_,"axG",@progbits,_ZN7rocprim17ROCPRIM_400000_NS6detail17trampoline_kernelINS0_13kernel_configILj256ELj4ELj4294967295EEENS1_37radix_sort_block_sort_config_selectorIjN6thrust23THRUST_200600_302600_NS5tupleIffNS7_9null_typeES9_S9_S9_S9_S9_S9_S9_EEEEZNS1_21radix_sort_block_sortIS4_Lb0ENS7_6detail15normal_iteratorINS7_10device_ptrIjEEEESH_NSE_INSF_ISA_EEEESJ_NS0_19identity_decomposerEEE10hipError_tT1_T2_T3_T4_jRjT5_jjP12ihipStream_tbEUlT_E_NS1_11comp_targetILNS1_3genE10ELNS1_11target_archE1200ELNS1_3gpuE4ELNS1_3repE0EEENS1_44radix_sort_block_sort_config_static_selectorELNS0_4arch9wavefront6targetE1EEEvSM_,comdat
	.protected	_ZN7rocprim17ROCPRIM_400000_NS6detail17trampoline_kernelINS0_13kernel_configILj256ELj4ELj4294967295EEENS1_37radix_sort_block_sort_config_selectorIjN6thrust23THRUST_200600_302600_NS5tupleIffNS7_9null_typeES9_S9_S9_S9_S9_S9_S9_EEEEZNS1_21radix_sort_block_sortIS4_Lb0ENS7_6detail15normal_iteratorINS7_10device_ptrIjEEEESH_NSE_INSF_ISA_EEEESJ_NS0_19identity_decomposerEEE10hipError_tT1_T2_T3_T4_jRjT5_jjP12ihipStream_tbEUlT_E_NS1_11comp_targetILNS1_3genE10ELNS1_11target_archE1200ELNS1_3gpuE4ELNS1_3repE0EEENS1_44radix_sort_block_sort_config_static_selectorELNS0_4arch9wavefront6targetE1EEEvSM_ ; -- Begin function _ZN7rocprim17ROCPRIM_400000_NS6detail17trampoline_kernelINS0_13kernel_configILj256ELj4ELj4294967295EEENS1_37radix_sort_block_sort_config_selectorIjN6thrust23THRUST_200600_302600_NS5tupleIffNS7_9null_typeES9_S9_S9_S9_S9_S9_S9_EEEEZNS1_21radix_sort_block_sortIS4_Lb0ENS7_6detail15normal_iteratorINS7_10device_ptrIjEEEESH_NSE_INSF_ISA_EEEESJ_NS0_19identity_decomposerEEE10hipError_tT1_T2_T3_T4_jRjT5_jjP12ihipStream_tbEUlT_E_NS1_11comp_targetILNS1_3genE10ELNS1_11target_archE1200ELNS1_3gpuE4ELNS1_3repE0EEENS1_44radix_sort_block_sort_config_static_selectorELNS0_4arch9wavefront6targetE1EEEvSM_
	.globl	_ZN7rocprim17ROCPRIM_400000_NS6detail17trampoline_kernelINS0_13kernel_configILj256ELj4ELj4294967295EEENS1_37radix_sort_block_sort_config_selectorIjN6thrust23THRUST_200600_302600_NS5tupleIffNS7_9null_typeES9_S9_S9_S9_S9_S9_S9_EEEEZNS1_21radix_sort_block_sortIS4_Lb0ENS7_6detail15normal_iteratorINS7_10device_ptrIjEEEESH_NSE_INSF_ISA_EEEESJ_NS0_19identity_decomposerEEE10hipError_tT1_T2_T3_T4_jRjT5_jjP12ihipStream_tbEUlT_E_NS1_11comp_targetILNS1_3genE10ELNS1_11target_archE1200ELNS1_3gpuE4ELNS1_3repE0EEENS1_44radix_sort_block_sort_config_static_selectorELNS0_4arch9wavefront6targetE1EEEvSM_
	.p2align	8
	.type	_ZN7rocprim17ROCPRIM_400000_NS6detail17trampoline_kernelINS0_13kernel_configILj256ELj4ELj4294967295EEENS1_37radix_sort_block_sort_config_selectorIjN6thrust23THRUST_200600_302600_NS5tupleIffNS7_9null_typeES9_S9_S9_S9_S9_S9_S9_EEEEZNS1_21radix_sort_block_sortIS4_Lb0ENS7_6detail15normal_iteratorINS7_10device_ptrIjEEEESH_NSE_INSF_ISA_EEEESJ_NS0_19identity_decomposerEEE10hipError_tT1_T2_T3_T4_jRjT5_jjP12ihipStream_tbEUlT_E_NS1_11comp_targetILNS1_3genE10ELNS1_11target_archE1200ELNS1_3gpuE4ELNS1_3repE0EEENS1_44radix_sort_block_sort_config_static_selectorELNS0_4arch9wavefront6targetE1EEEvSM_,@function
_ZN7rocprim17ROCPRIM_400000_NS6detail17trampoline_kernelINS0_13kernel_configILj256ELj4ELj4294967295EEENS1_37radix_sort_block_sort_config_selectorIjN6thrust23THRUST_200600_302600_NS5tupleIffNS7_9null_typeES9_S9_S9_S9_S9_S9_S9_EEEEZNS1_21radix_sort_block_sortIS4_Lb0ENS7_6detail15normal_iteratorINS7_10device_ptrIjEEEESH_NSE_INSF_ISA_EEEESJ_NS0_19identity_decomposerEEE10hipError_tT1_T2_T3_T4_jRjT5_jjP12ihipStream_tbEUlT_E_NS1_11comp_targetILNS1_3genE10ELNS1_11target_archE1200ELNS1_3gpuE4ELNS1_3repE0EEENS1_44radix_sort_block_sort_config_static_selectorELNS0_4arch9wavefront6targetE1EEEvSM_: ; @_ZN7rocprim17ROCPRIM_400000_NS6detail17trampoline_kernelINS0_13kernel_configILj256ELj4ELj4294967295EEENS1_37radix_sort_block_sort_config_selectorIjN6thrust23THRUST_200600_302600_NS5tupleIffNS7_9null_typeES9_S9_S9_S9_S9_S9_S9_EEEEZNS1_21radix_sort_block_sortIS4_Lb0ENS7_6detail15normal_iteratorINS7_10device_ptrIjEEEESH_NSE_INSF_ISA_EEEESJ_NS0_19identity_decomposerEEE10hipError_tT1_T2_T3_T4_jRjT5_jjP12ihipStream_tbEUlT_E_NS1_11comp_targetILNS1_3genE10ELNS1_11target_archE1200ELNS1_3gpuE4ELNS1_3repE0EEENS1_44radix_sort_block_sort_config_static_selectorELNS0_4arch9wavefront6targetE1EEEvSM_
; %bb.0:
	.section	.rodata,"a",@progbits
	.p2align	6, 0x0
	.amdhsa_kernel _ZN7rocprim17ROCPRIM_400000_NS6detail17trampoline_kernelINS0_13kernel_configILj256ELj4ELj4294967295EEENS1_37radix_sort_block_sort_config_selectorIjN6thrust23THRUST_200600_302600_NS5tupleIffNS7_9null_typeES9_S9_S9_S9_S9_S9_S9_EEEEZNS1_21radix_sort_block_sortIS4_Lb0ENS7_6detail15normal_iteratorINS7_10device_ptrIjEEEESH_NSE_INSF_ISA_EEEESJ_NS0_19identity_decomposerEEE10hipError_tT1_T2_T3_T4_jRjT5_jjP12ihipStream_tbEUlT_E_NS1_11comp_targetILNS1_3genE10ELNS1_11target_archE1200ELNS1_3gpuE4ELNS1_3repE0EEENS1_44radix_sort_block_sort_config_static_selectorELNS0_4arch9wavefront6targetE1EEEvSM_
		.amdhsa_group_segment_fixed_size 0
		.amdhsa_private_segment_fixed_size 0
		.amdhsa_kernarg_size 48
		.amdhsa_user_sgpr_count 6
		.amdhsa_user_sgpr_private_segment_buffer 1
		.amdhsa_user_sgpr_dispatch_ptr 0
		.amdhsa_user_sgpr_queue_ptr 0
		.amdhsa_user_sgpr_kernarg_segment_ptr 1
		.amdhsa_user_sgpr_dispatch_id 0
		.amdhsa_user_sgpr_flat_scratch_init 0
		.amdhsa_user_sgpr_kernarg_preload_length 0
		.amdhsa_user_sgpr_kernarg_preload_offset 0
		.amdhsa_user_sgpr_private_segment_size 0
		.amdhsa_uses_dynamic_stack 0
		.amdhsa_system_sgpr_private_segment_wavefront_offset 0
		.amdhsa_system_sgpr_workgroup_id_x 1
		.amdhsa_system_sgpr_workgroup_id_y 0
		.amdhsa_system_sgpr_workgroup_id_z 0
		.amdhsa_system_sgpr_workgroup_info 0
		.amdhsa_system_vgpr_workitem_id 0
		.amdhsa_next_free_vgpr 1
		.amdhsa_next_free_sgpr 0
		.amdhsa_accum_offset 4
		.amdhsa_reserve_vcc 0
		.amdhsa_reserve_flat_scratch 0
		.amdhsa_float_round_mode_32 0
		.amdhsa_float_round_mode_16_64 0
		.amdhsa_float_denorm_mode_32 3
		.amdhsa_float_denorm_mode_16_64 3
		.amdhsa_dx10_clamp 1
		.amdhsa_ieee_mode 1
		.amdhsa_fp16_overflow 0
		.amdhsa_tg_split 0
		.amdhsa_exception_fp_ieee_invalid_op 0
		.amdhsa_exception_fp_denorm_src 0
		.amdhsa_exception_fp_ieee_div_zero 0
		.amdhsa_exception_fp_ieee_overflow 0
		.amdhsa_exception_fp_ieee_underflow 0
		.amdhsa_exception_fp_ieee_inexact 0
		.amdhsa_exception_int_div_zero 0
	.end_amdhsa_kernel
	.section	.text._ZN7rocprim17ROCPRIM_400000_NS6detail17trampoline_kernelINS0_13kernel_configILj256ELj4ELj4294967295EEENS1_37radix_sort_block_sort_config_selectorIjN6thrust23THRUST_200600_302600_NS5tupleIffNS7_9null_typeES9_S9_S9_S9_S9_S9_S9_EEEEZNS1_21radix_sort_block_sortIS4_Lb0ENS7_6detail15normal_iteratorINS7_10device_ptrIjEEEESH_NSE_INSF_ISA_EEEESJ_NS0_19identity_decomposerEEE10hipError_tT1_T2_T3_T4_jRjT5_jjP12ihipStream_tbEUlT_E_NS1_11comp_targetILNS1_3genE10ELNS1_11target_archE1200ELNS1_3gpuE4ELNS1_3repE0EEENS1_44radix_sort_block_sort_config_static_selectorELNS0_4arch9wavefront6targetE1EEEvSM_,"axG",@progbits,_ZN7rocprim17ROCPRIM_400000_NS6detail17trampoline_kernelINS0_13kernel_configILj256ELj4ELj4294967295EEENS1_37radix_sort_block_sort_config_selectorIjN6thrust23THRUST_200600_302600_NS5tupleIffNS7_9null_typeES9_S9_S9_S9_S9_S9_S9_EEEEZNS1_21radix_sort_block_sortIS4_Lb0ENS7_6detail15normal_iteratorINS7_10device_ptrIjEEEESH_NSE_INSF_ISA_EEEESJ_NS0_19identity_decomposerEEE10hipError_tT1_T2_T3_T4_jRjT5_jjP12ihipStream_tbEUlT_E_NS1_11comp_targetILNS1_3genE10ELNS1_11target_archE1200ELNS1_3gpuE4ELNS1_3repE0EEENS1_44radix_sort_block_sort_config_static_selectorELNS0_4arch9wavefront6targetE1EEEvSM_,comdat
.Lfunc_end13:
	.size	_ZN7rocprim17ROCPRIM_400000_NS6detail17trampoline_kernelINS0_13kernel_configILj256ELj4ELj4294967295EEENS1_37radix_sort_block_sort_config_selectorIjN6thrust23THRUST_200600_302600_NS5tupleIffNS7_9null_typeES9_S9_S9_S9_S9_S9_S9_EEEEZNS1_21radix_sort_block_sortIS4_Lb0ENS7_6detail15normal_iteratorINS7_10device_ptrIjEEEESH_NSE_INSF_ISA_EEEESJ_NS0_19identity_decomposerEEE10hipError_tT1_T2_T3_T4_jRjT5_jjP12ihipStream_tbEUlT_E_NS1_11comp_targetILNS1_3genE10ELNS1_11target_archE1200ELNS1_3gpuE4ELNS1_3repE0EEENS1_44radix_sort_block_sort_config_static_selectorELNS0_4arch9wavefront6targetE1EEEvSM_, .Lfunc_end13-_ZN7rocprim17ROCPRIM_400000_NS6detail17trampoline_kernelINS0_13kernel_configILj256ELj4ELj4294967295EEENS1_37radix_sort_block_sort_config_selectorIjN6thrust23THRUST_200600_302600_NS5tupleIffNS7_9null_typeES9_S9_S9_S9_S9_S9_S9_EEEEZNS1_21radix_sort_block_sortIS4_Lb0ENS7_6detail15normal_iteratorINS7_10device_ptrIjEEEESH_NSE_INSF_ISA_EEEESJ_NS0_19identity_decomposerEEE10hipError_tT1_T2_T3_T4_jRjT5_jjP12ihipStream_tbEUlT_E_NS1_11comp_targetILNS1_3genE10ELNS1_11target_archE1200ELNS1_3gpuE4ELNS1_3repE0EEENS1_44radix_sort_block_sort_config_static_selectorELNS0_4arch9wavefront6targetE1EEEvSM_
                                        ; -- End function
	.section	.AMDGPU.csdata,"",@progbits
; Kernel info:
; codeLenInByte = 0
; NumSgprs: 4
; NumVgprs: 0
; NumAgprs: 0
; TotalNumVgprs: 0
; ScratchSize: 0
; MemoryBound: 0
; FloatMode: 240
; IeeeMode: 1
; LDSByteSize: 0 bytes/workgroup (compile time only)
; SGPRBlocks: 0
; VGPRBlocks: 0
; NumSGPRsForWavesPerEU: 4
; NumVGPRsForWavesPerEU: 1
; AccumOffset: 4
; Occupancy: 8
; WaveLimiterHint : 0
; COMPUTE_PGM_RSRC2:SCRATCH_EN: 0
; COMPUTE_PGM_RSRC2:USER_SGPR: 6
; COMPUTE_PGM_RSRC2:TRAP_HANDLER: 0
; COMPUTE_PGM_RSRC2:TGID_X_EN: 1
; COMPUTE_PGM_RSRC2:TGID_Y_EN: 0
; COMPUTE_PGM_RSRC2:TGID_Z_EN: 0
; COMPUTE_PGM_RSRC2:TIDIG_COMP_CNT: 0
; COMPUTE_PGM_RSRC3_GFX90A:ACCUM_OFFSET: 0
; COMPUTE_PGM_RSRC3_GFX90A:TG_SPLIT: 0
	.section	.text._ZN7rocprim17ROCPRIM_400000_NS6detail17trampoline_kernelINS0_13kernel_configILj256ELj4ELj4294967295EEENS1_37radix_sort_block_sort_config_selectorIjN6thrust23THRUST_200600_302600_NS5tupleIffNS7_9null_typeES9_S9_S9_S9_S9_S9_S9_EEEEZNS1_21radix_sort_block_sortIS4_Lb0ENS7_6detail15normal_iteratorINS7_10device_ptrIjEEEESH_NSE_INSF_ISA_EEEESJ_NS0_19identity_decomposerEEE10hipError_tT1_T2_T3_T4_jRjT5_jjP12ihipStream_tbEUlT_E_NS1_11comp_targetILNS1_3genE9ELNS1_11target_archE1100ELNS1_3gpuE3ELNS1_3repE0EEENS1_44radix_sort_block_sort_config_static_selectorELNS0_4arch9wavefront6targetE1EEEvSM_,"axG",@progbits,_ZN7rocprim17ROCPRIM_400000_NS6detail17trampoline_kernelINS0_13kernel_configILj256ELj4ELj4294967295EEENS1_37radix_sort_block_sort_config_selectorIjN6thrust23THRUST_200600_302600_NS5tupleIffNS7_9null_typeES9_S9_S9_S9_S9_S9_S9_EEEEZNS1_21radix_sort_block_sortIS4_Lb0ENS7_6detail15normal_iteratorINS7_10device_ptrIjEEEESH_NSE_INSF_ISA_EEEESJ_NS0_19identity_decomposerEEE10hipError_tT1_T2_T3_T4_jRjT5_jjP12ihipStream_tbEUlT_E_NS1_11comp_targetILNS1_3genE9ELNS1_11target_archE1100ELNS1_3gpuE3ELNS1_3repE0EEENS1_44radix_sort_block_sort_config_static_selectorELNS0_4arch9wavefront6targetE1EEEvSM_,comdat
	.protected	_ZN7rocprim17ROCPRIM_400000_NS6detail17trampoline_kernelINS0_13kernel_configILj256ELj4ELj4294967295EEENS1_37radix_sort_block_sort_config_selectorIjN6thrust23THRUST_200600_302600_NS5tupleIffNS7_9null_typeES9_S9_S9_S9_S9_S9_S9_EEEEZNS1_21radix_sort_block_sortIS4_Lb0ENS7_6detail15normal_iteratorINS7_10device_ptrIjEEEESH_NSE_INSF_ISA_EEEESJ_NS0_19identity_decomposerEEE10hipError_tT1_T2_T3_T4_jRjT5_jjP12ihipStream_tbEUlT_E_NS1_11comp_targetILNS1_3genE9ELNS1_11target_archE1100ELNS1_3gpuE3ELNS1_3repE0EEENS1_44radix_sort_block_sort_config_static_selectorELNS0_4arch9wavefront6targetE1EEEvSM_ ; -- Begin function _ZN7rocprim17ROCPRIM_400000_NS6detail17trampoline_kernelINS0_13kernel_configILj256ELj4ELj4294967295EEENS1_37radix_sort_block_sort_config_selectorIjN6thrust23THRUST_200600_302600_NS5tupleIffNS7_9null_typeES9_S9_S9_S9_S9_S9_S9_EEEEZNS1_21radix_sort_block_sortIS4_Lb0ENS7_6detail15normal_iteratorINS7_10device_ptrIjEEEESH_NSE_INSF_ISA_EEEESJ_NS0_19identity_decomposerEEE10hipError_tT1_T2_T3_T4_jRjT5_jjP12ihipStream_tbEUlT_E_NS1_11comp_targetILNS1_3genE9ELNS1_11target_archE1100ELNS1_3gpuE3ELNS1_3repE0EEENS1_44radix_sort_block_sort_config_static_selectorELNS0_4arch9wavefront6targetE1EEEvSM_
	.globl	_ZN7rocprim17ROCPRIM_400000_NS6detail17trampoline_kernelINS0_13kernel_configILj256ELj4ELj4294967295EEENS1_37radix_sort_block_sort_config_selectorIjN6thrust23THRUST_200600_302600_NS5tupleIffNS7_9null_typeES9_S9_S9_S9_S9_S9_S9_EEEEZNS1_21radix_sort_block_sortIS4_Lb0ENS7_6detail15normal_iteratorINS7_10device_ptrIjEEEESH_NSE_INSF_ISA_EEEESJ_NS0_19identity_decomposerEEE10hipError_tT1_T2_T3_T4_jRjT5_jjP12ihipStream_tbEUlT_E_NS1_11comp_targetILNS1_3genE9ELNS1_11target_archE1100ELNS1_3gpuE3ELNS1_3repE0EEENS1_44radix_sort_block_sort_config_static_selectorELNS0_4arch9wavefront6targetE1EEEvSM_
	.p2align	8
	.type	_ZN7rocprim17ROCPRIM_400000_NS6detail17trampoline_kernelINS0_13kernel_configILj256ELj4ELj4294967295EEENS1_37radix_sort_block_sort_config_selectorIjN6thrust23THRUST_200600_302600_NS5tupleIffNS7_9null_typeES9_S9_S9_S9_S9_S9_S9_EEEEZNS1_21radix_sort_block_sortIS4_Lb0ENS7_6detail15normal_iteratorINS7_10device_ptrIjEEEESH_NSE_INSF_ISA_EEEESJ_NS0_19identity_decomposerEEE10hipError_tT1_T2_T3_T4_jRjT5_jjP12ihipStream_tbEUlT_E_NS1_11comp_targetILNS1_3genE9ELNS1_11target_archE1100ELNS1_3gpuE3ELNS1_3repE0EEENS1_44radix_sort_block_sort_config_static_selectorELNS0_4arch9wavefront6targetE1EEEvSM_,@function
_ZN7rocprim17ROCPRIM_400000_NS6detail17trampoline_kernelINS0_13kernel_configILj256ELj4ELj4294967295EEENS1_37radix_sort_block_sort_config_selectorIjN6thrust23THRUST_200600_302600_NS5tupleIffNS7_9null_typeES9_S9_S9_S9_S9_S9_S9_EEEEZNS1_21radix_sort_block_sortIS4_Lb0ENS7_6detail15normal_iteratorINS7_10device_ptrIjEEEESH_NSE_INSF_ISA_EEEESJ_NS0_19identity_decomposerEEE10hipError_tT1_T2_T3_T4_jRjT5_jjP12ihipStream_tbEUlT_E_NS1_11comp_targetILNS1_3genE9ELNS1_11target_archE1100ELNS1_3gpuE3ELNS1_3repE0EEENS1_44radix_sort_block_sort_config_static_selectorELNS0_4arch9wavefront6targetE1EEEvSM_: ; @_ZN7rocprim17ROCPRIM_400000_NS6detail17trampoline_kernelINS0_13kernel_configILj256ELj4ELj4294967295EEENS1_37radix_sort_block_sort_config_selectorIjN6thrust23THRUST_200600_302600_NS5tupleIffNS7_9null_typeES9_S9_S9_S9_S9_S9_S9_EEEEZNS1_21radix_sort_block_sortIS4_Lb0ENS7_6detail15normal_iteratorINS7_10device_ptrIjEEEESH_NSE_INSF_ISA_EEEESJ_NS0_19identity_decomposerEEE10hipError_tT1_T2_T3_T4_jRjT5_jjP12ihipStream_tbEUlT_E_NS1_11comp_targetILNS1_3genE9ELNS1_11target_archE1100ELNS1_3gpuE3ELNS1_3repE0EEENS1_44radix_sort_block_sort_config_static_selectorELNS0_4arch9wavefront6targetE1EEEvSM_
; %bb.0:
	.section	.rodata,"a",@progbits
	.p2align	6, 0x0
	.amdhsa_kernel _ZN7rocprim17ROCPRIM_400000_NS6detail17trampoline_kernelINS0_13kernel_configILj256ELj4ELj4294967295EEENS1_37radix_sort_block_sort_config_selectorIjN6thrust23THRUST_200600_302600_NS5tupleIffNS7_9null_typeES9_S9_S9_S9_S9_S9_S9_EEEEZNS1_21radix_sort_block_sortIS4_Lb0ENS7_6detail15normal_iteratorINS7_10device_ptrIjEEEESH_NSE_INSF_ISA_EEEESJ_NS0_19identity_decomposerEEE10hipError_tT1_T2_T3_T4_jRjT5_jjP12ihipStream_tbEUlT_E_NS1_11comp_targetILNS1_3genE9ELNS1_11target_archE1100ELNS1_3gpuE3ELNS1_3repE0EEENS1_44radix_sort_block_sort_config_static_selectorELNS0_4arch9wavefront6targetE1EEEvSM_
		.amdhsa_group_segment_fixed_size 0
		.amdhsa_private_segment_fixed_size 0
		.amdhsa_kernarg_size 48
		.amdhsa_user_sgpr_count 6
		.amdhsa_user_sgpr_private_segment_buffer 1
		.amdhsa_user_sgpr_dispatch_ptr 0
		.amdhsa_user_sgpr_queue_ptr 0
		.amdhsa_user_sgpr_kernarg_segment_ptr 1
		.amdhsa_user_sgpr_dispatch_id 0
		.amdhsa_user_sgpr_flat_scratch_init 0
		.amdhsa_user_sgpr_kernarg_preload_length 0
		.amdhsa_user_sgpr_kernarg_preload_offset 0
		.amdhsa_user_sgpr_private_segment_size 0
		.amdhsa_uses_dynamic_stack 0
		.amdhsa_system_sgpr_private_segment_wavefront_offset 0
		.amdhsa_system_sgpr_workgroup_id_x 1
		.amdhsa_system_sgpr_workgroup_id_y 0
		.amdhsa_system_sgpr_workgroup_id_z 0
		.amdhsa_system_sgpr_workgroup_info 0
		.amdhsa_system_vgpr_workitem_id 0
		.amdhsa_next_free_vgpr 1
		.amdhsa_next_free_sgpr 0
		.amdhsa_accum_offset 4
		.amdhsa_reserve_vcc 0
		.amdhsa_reserve_flat_scratch 0
		.amdhsa_float_round_mode_32 0
		.amdhsa_float_round_mode_16_64 0
		.amdhsa_float_denorm_mode_32 3
		.amdhsa_float_denorm_mode_16_64 3
		.amdhsa_dx10_clamp 1
		.amdhsa_ieee_mode 1
		.amdhsa_fp16_overflow 0
		.amdhsa_tg_split 0
		.amdhsa_exception_fp_ieee_invalid_op 0
		.amdhsa_exception_fp_denorm_src 0
		.amdhsa_exception_fp_ieee_div_zero 0
		.amdhsa_exception_fp_ieee_overflow 0
		.amdhsa_exception_fp_ieee_underflow 0
		.amdhsa_exception_fp_ieee_inexact 0
		.amdhsa_exception_int_div_zero 0
	.end_amdhsa_kernel
	.section	.text._ZN7rocprim17ROCPRIM_400000_NS6detail17trampoline_kernelINS0_13kernel_configILj256ELj4ELj4294967295EEENS1_37radix_sort_block_sort_config_selectorIjN6thrust23THRUST_200600_302600_NS5tupleIffNS7_9null_typeES9_S9_S9_S9_S9_S9_S9_EEEEZNS1_21radix_sort_block_sortIS4_Lb0ENS7_6detail15normal_iteratorINS7_10device_ptrIjEEEESH_NSE_INSF_ISA_EEEESJ_NS0_19identity_decomposerEEE10hipError_tT1_T2_T3_T4_jRjT5_jjP12ihipStream_tbEUlT_E_NS1_11comp_targetILNS1_3genE9ELNS1_11target_archE1100ELNS1_3gpuE3ELNS1_3repE0EEENS1_44radix_sort_block_sort_config_static_selectorELNS0_4arch9wavefront6targetE1EEEvSM_,"axG",@progbits,_ZN7rocprim17ROCPRIM_400000_NS6detail17trampoline_kernelINS0_13kernel_configILj256ELj4ELj4294967295EEENS1_37radix_sort_block_sort_config_selectorIjN6thrust23THRUST_200600_302600_NS5tupleIffNS7_9null_typeES9_S9_S9_S9_S9_S9_S9_EEEEZNS1_21radix_sort_block_sortIS4_Lb0ENS7_6detail15normal_iteratorINS7_10device_ptrIjEEEESH_NSE_INSF_ISA_EEEESJ_NS0_19identity_decomposerEEE10hipError_tT1_T2_T3_T4_jRjT5_jjP12ihipStream_tbEUlT_E_NS1_11comp_targetILNS1_3genE9ELNS1_11target_archE1100ELNS1_3gpuE3ELNS1_3repE0EEENS1_44radix_sort_block_sort_config_static_selectorELNS0_4arch9wavefront6targetE1EEEvSM_,comdat
.Lfunc_end14:
	.size	_ZN7rocprim17ROCPRIM_400000_NS6detail17trampoline_kernelINS0_13kernel_configILj256ELj4ELj4294967295EEENS1_37radix_sort_block_sort_config_selectorIjN6thrust23THRUST_200600_302600_NS5tupleIffNS7_9null_typeES9_S9_S9_S9_S9_S9_S9_EEEEZNS1_21radix_sort_block_sortIS4_Lb0ENS7_6detail15normal_iteratorINS7_10device_ptrIjEEEESH_NSE_INSF_ISA_EEEESJ_NS0_19identity_decomposerEEE10hipError_tT1_T2_T3_T4_jRjT5_jjP12ihipStream_tbEUlT_E_NS1_11comp_targetILNS1_3genE9ELNS1_11target_archE1100ELNS1_3gpuE3ELNS1_3repE0EEENS1_44radix_sort_block_sort_config_static_selectorELNS0_4arch9wavefront6targetE1EEEvSM_, .Lfunc_end14-_ZN7rocprim17ROCPRIM_400000_NS6detail17trampoline_kernelINS0_13kernel_configILj256ELj4ELj4294967295EEENS1_37radix_sort_block_sort_config_selectorIjN6thrust23THRUST_200600_302600_NS5tupleIffNS7_9null_typeES9_S9_S9_S9_S9_S9_S9_EEEEZNS1_21radix_sort_block_sortIS4_Lb0ENS7_6detail15normal_iteratorINS7_10device_ptrIjEEEESH_NSE_INSF_ISA_EEEESJ_NS0_19identity_decomposerEEE10hipError_tT1_T2_T3_T4_jRjT5_jjP12ihipStream_tbEUlT_E_NS1_11comp_targetILNS1_3genE9ELNS1_11target_archE1100ELNS1_3gpuE3ELNS1_3repE0EEENS1_44radix_sort_block_sort_config_static_selectorELNS0_4arch9wavefront6targetE1EEEvSM_
                                        ; -- End function
	.section	.AMDGPU.csdata,"",@progbits
; Kernel info:
; codeLenInByte = 0
; NumSgprs: 4
; NumVgprs: 0
; NumAgprs: 0
; TotalNumVgprs: 0
; ScratchSize: 0
; MemoryBound: 0
; FloatMode: 240
; IeeeMode: 1
; LDSByteSize: 0 bytes/workgroup (compile time only)
; SGPRBlocks: 0
; VGPRBlocks: 0
; NumSGPRsForWavesPerEU: 4
; NumVGPRsForWavesPerEU: 1
; AccumOffset: 4
; Occupancy: 8
; WaveLimiterHint : 0
; COMPUTE_PGM_RSRC2:SCRATCH_EN: 0
; COMPUTE_PGM_RSRC2:USER_SGPR: 6
; COMPUTE_PGM_RSRC2:TRAP_HANDLER: 0
; COMPUTE_PGM_RSRC2:TGID_X_EN: 1
; COMPUTE_PGM_RSRC2:TGID_Y_EN: 0
; COMPUTE_PGM_RSRC2:TGID_Z_EN: 0
; COMPUTE_PGM_RSRC2:TIDIG_COMP_CNT: 0
; COMPUTE_PGM_RSRC3_GFX90A:ACCUM_OFFSET: 0
; COMPUTE_PGM_RSRC3_GFX90A:TG_SPLIT: 0
	.section	.text._ZN7rocprim17ROCPRIM_400000_NS6detail17trampoline_kernelINS0_13kernel_configILj256ELj4ELj4294967295EEENS1_37radix_sort_block_sort_config_selectorIjN6thrust23THRUST_200600_302600_NS5tupleIffNS7_9null_typeES9_S9_S9_S9_S9_S9_S9_EEEEZNS1_21radix_sort_block_sortIS4_Lb0ENS7_6detail15normal_iteratorINS7_10device_ptrIjEEEESH_NSE_INSF_ISA_EEEESJ_NS0_19identity_decomposerEEE10hipError_tT1_T2_T3_T4_jRjT5_jjP12ihipStream_tbEUlT_E_NS1_11comp_targetILNS1_3genE8ELNS1_11target_archE1030ELNS1_3gpuE2ELNS1_3repE0EEENS1_44radix_sort_block_sort_config_static_selectorELNS0_4arch9wavefront6targetE1EEEvSM_,"axG",@progbits,_ZN7rocprim17ROCPRIM_400000_NS6detail17trampoline_kernelINS0_13kernel_configILj256ELj4ELj4294967295EEENS1_37radix_sort_block_sort_config_selectorIjN6thrust23THRUST_200600_302600_NS5tupleIffNS7_9null_typeES9_S9_S9_S9_S9_S9_S9_EEEEZNS1_21radix_sort_block_sortIS4_Lb0ENS7_6detail15normal_iteratorINS7_10device_ptrIjEEEESH_NSE_INSF_ISA_EEEESJ_NS0_19identity_decomposerEEE10hipError_tT1_T2_T3_T4_jRjT5_jjP12ihipStream_tbEUlT_E_NS1_11comp_targetILNS1_3genE8ELNS1_11target_archE1030ELNS1_3gpuE2ELNS1_3repE0EEENS1_44radix_sort_block_sort_config_static_selectorELNS0_4arch9wavefront6targetE1EEEvSM_,comdat
	.protected	_ZN7rocprim17ROCPRIM_400000_NS6detail17trampoline_kernelINS0_13kernel_configILj256ELj4ELj4294967295EEENS1_37radix_sort_block_sort_config_selectorIjN6thrust23THRUST_200600_302600_NS5tupleIffNS7_9null_typeES9_S9_S9_S9_S9_S9_S9_EEEEZNS1_21radix_sort_block_sortIS4_Lb0ENS7_6detail15normal_iteratorINS7_10device_ptrIjEEEESH_NSE_INSF_ISA_EEEESJ_NS0_19identity_decomposerEEE10hipError_tT1_T2_T3_T4_jRjT5_jjP12ihipStream_tbEUlT_E_NS1_11comp_targetILNS1_3genE8ELNS1_11target_archE1030ELNS1_3gpuE2ELNS1_3repE0EEENS1_44radix_sort_block_sort_config_static_selectorELNS0_4arch9wavefront6targetE1EEEvSM_ ; -- Begin function _ZN7rocprim17ROCPRIM_400000_NS6detail17trampoline_kernelINS0_13kernel_configILj256ELj4ELj4294967295EEENS1_37radix_sort_block_sort_config_selectorIjN6thrust23THRUST_200600_302600_NS5tupleIffNS7_9null_typeES9_S9_S9_S9_S9_S9_S9_EEEEZNS1_21radix_sort_block_sortIS4_Lb0ENS7_6detail15normal_iteratorINS7_10device_ptrIjEEEESH_NSE_INSF_ISA_EEEESJ_NS0_19identity_decomposerEEE10hipError_tT1_T2_T3_T4_jRjT5_jjP12ihipStream_tbEUlT_E_NS1_11comp_targetILNS1_3genE8ELNS1_11target_archE1030ELNS1_3gpuE2ELNS1_3repE0EEENS1_44radix_sort_block_sort_config_static_selectorELNS0_4arch9wavefront6targetE1EEEvSM_
	.globl	_ZN7rocprim17ROCPRIM_400000_NS6detail17trampoline_kernelINS0_13kernel_configILj256ELj4ELj4294967295EEENS1_37radix_sort_block_sort_config_selectorIjN6thrust23THRUST_200600_302600_NS5tupleIffNS7_9null_typeES9_S9_S9_S9_S9_S9_S9_EEEEZNS1_21radix_sort_block_sortIS4_Lb0ENS7_6detail15normal_iteratorINS7_10device_ptrIjEEEESH_NSE_INSF_ISA_EEEESJ_NS0_19identity_decomposerEEE10hipError_tT1_T2_T3_T4_jRjT5_jjP12ihipStream_tbEUlT_E_NS1_11comp_targetILNS1_3genE8ELNS1_11target_archE1030ELNS1_3gpuE2ELNS1_3repE0EEENS1_44radix_sort_block_sort_config_static_selectorELNS0_4arch9wavefront6targetE1EEEvSM_
	.p2align	8
	.type	_ZN7rocprim17ROCPRIM_400000_NS6detail17trampoline_kernelINS0_13kernel_configILj256ELj4ELj4294967295EEENS1_37radix_sort_block_sort_config_selectorIjN6thrust23THRUST_200600_302600_NS5tupleIffNS7_9null_typeES9_S9_S9_S9_S9_S9_S9_EEEEZNS1_21radix_sort_block_sortIS4_Lb0ENS7_6detail15normal_iteratorINS7_10device_ptrIjEEEESH_NSE_INSF_ISA_EEEESJ_NS0_19identity_decomposerEEE10hipError_tT1_T2_T3_T4_jRjT5_jjP12ihipStream_tbEUlT_E_NS1_11comp_targetILNS1_3genE8ELNS1_11target_archE1030ELNS1_3gpuE2ELNS1_3repE0EEENS1_44radix_sort_block_sort_config_static_selectorELNS0_4arch9wavefront6targetE1EEEvSM_,@function
_ZN7rocprim17ROCPRIM_400000_NS6detail17trampoline_kernelINS0_13kernel_configILj256ELj4ELj4294967295EEENS1_37radix_sort_block_sort_config_selectorIjN6thrust23THRUST_200600_302600_NS5tupleIffNS7_9null_typeES9_S9_S9_S9_S9_S9_S9_EEEEZNS1_21radix_sort_block_sortIS4_Lb0ENS7_6detail15normal_iteratorINS7_10device_ptrIjEEEESH_NSE_INSF_ISA_EEEESJ_NS0_19identity_decomposerEEE10hipError_tT1_T2_T3_T4_jRjT5_jjP12ihipStream_tbEUlT_E_NS1_11comp_targetILNS1_3genE8ELNS1_11target_archE1030ELNS1_3gpuE2ELNS1_3repE0EEENS1_44radix_sort_block_sort_config_static_selectorELNS0_4arch9wavefront6targetE1EEEvSM_: ; @_ZN7rocprim17ROCPRIM_400000_NS6detail17trampoline_kernelINS0_13kernel_configILj256ELj4ELj4294967295EEENS1_37radix_sort_block_sort_config_selectorIjN6thrust23THRUST_200600_302600_NS5tupleIffNS7_9null_typeES9_S9_S9_S9_S9_S9_S9_EEEEZNS1_21radix_sort_block_sortIS4_Lb0ENS7_6detail15normal_iteratorINS7_10device_ptrIjEEEESH_NSE_INSF_ISA_EEEESJ_NS0_19identity_decomposerEEE10hipError_tT1_T2_T3_T4_jRjT5_jjP12ihipStream_tbEUlT_E_NS1_11comp_targetILNS1_3genE8ELNS1_11target_archE1030ELNS1_3gpuE2ELNS1_3repE0EEENS1_44radix_sort_block_sort_config_static_selectorELNS0_4arch9wavefront6targetE1EEEvSM_
; %bb.0:
	.section	.rodata,"a",@progbits
	.p2align	6, 0x0
	.amdhsa_kernel _ZN7rocprim17ROCPRIM_400000_NS6detail17trampoline_kernelINS0_13kernel_configILj256ELj4ELj4294967295EEENS1_37radix_sort_block_sort_config_selectorIjN6thrust23THRUST_200600_302600_NS5tupleIffNS7_9null_typeES9_S9_S9_S9_S9_S9_S9_EEEEZNS1_21radix_sort_block_sortIS4_Lb0ENS7_6detail15normal_iteratorINS7_10device_ptrIjEEEESH_NSE_INSF_ISA_EEEESJ_NS0_19identity_decomposerEEE10hipError_tT1_T2_T3_T4_jRjT5_jjP12ihipStream_tbEUlT_E_NS1_11comp_targetILNS1_3genE8ELNS1_11target_archE1030ELNS1_3gpuE2ELNS1_3repE0EEENS1_44radix_sort_block_sort_config_static_selectorELNS0_4arch9wavefront6targetE1EEEvSM_
		.amdhsa_group_segment_fixed_size 0
		.amdhsa_private_segment_fixed_size 0
		.amdhsa_kernarg_size 48
		.amdhsa_user_sgpr_count 6
		.amdhsa_user_sgpr_private_segment_buffer 1
		.amdhsa_user_sgpr_dispatch_ptr 0
		.amdhsa_user_sgpr_queue_ptr 0
		.amdhsa_user_sgpr_kernarg_segment_ptr 1
		.amdhsa_user_sgpr_dispatch_id 0
		.amdhsa_user_sgpr_flat_scratch_init 0
		.amdhsa_user_sgpr_kernarg_preload_length 0
		.amdhsa_user_sgpr_kernarg_preload_offset 0
		.amdhsa_user_sgpr_private_segment_size 0
		.amdhsa_uses_dynamic_stack 0
		.amdhsa_system_sgpr_private_segment_wavefront_offset 0
		.amdhsa_system_sgpr_workgroup_id_x 1
		.amdhsa_system_sgpr_workgroup_id_y 0
		.amdhsa_system_sgpr_workgroup_id_z 0
		.amdhsa_system_sgpr_workgroup_info 0
		.amdhsa_system_vgpr_workitem_id 0
		.amdhsa_next_free_vgpr 1
		.amdhsa_next_free_sgpr 0
		.amdhsa_accum_offset 4
		.amdhsa_reserve_vcc 0
		.amdhsa_reserve_flat_scratch 0
		.amdhsa_float_round_mode_32 0
		.amdhsa_float_round_mode_16_64 0
		.amdhsa_float_denorm_mode_32 3
		.amdhsa_float_denorm_mode_16_64 3
		.amdhsa_dx10_clamp 1
		.amdhsa_ieee_mode 1
		.amdhsa_fp16_overflow 0
		.amdhsa_tg_split 0
		.amdhsa_exception_fp_ieee_invalid_op 0
		.amdhsa_exception_fp_denorm_src 0
		.amdhsa_exception_fp_ieee_div_zero 0
		.amdhsa_exception_fp_ieee_overflow 0
		.amdhsa_exception_fp_ieee_underflow 0
		.amdhsa_exception_fp_ieee_inexact 0
		.amdhsa_exception_int_div_zero 0
	.end_amdhsa_kernel
	.section	.text._ZN7rocprim17ROCPRIM_400000_NS6detail17trampoline_kernelINS0_13kernel_configILj256ELj4ELj4294967295EEENS1_37radix_sort_block_sort_config_selectorIjN6thrust23THRUST_200600_302600_NS5tupleIffNS7_9null_typeES9_S9_S9_S9_S9_S9_S9_EEEEZNS1_21radix_sort_block_sortIS4_Lb0ENS7_6detail15normal_iteratorINS7_10device_ptrIjEEEESH_NSE_INSF_ISA_EEEESJ_NS0_19identity_decomposerEEE10hipError_tT1_T2_T3_T4_jRjT5_jjP12ihipStream_tbEUlT_E_NS1_11comp_targetILNS1_3genE8ELNS1_11target_archE1030ELNS1_3gpuE2ELNS1_3repE0EEENS1_44radix_sort_block_sort_config_static_selectorELNS0_4arch9wavefront6targetE1EEEvSM_,"axG",@progbits,_ZN7rocprim17ROCPRIM_400000_NS6detail17trampoline_kernelINS0_13kernel_configILj256ELj4ELj4294967295EEENS1_37radix_sort_block_sort_config_selectorIjN6thrust23THRUST_200600_302600_NS5tupleIffNS7_9null_typeES9_S9_S9_S9_S9_S9_S9_EEEEZNS1_21radix_sort_block_sortIS4_Lb0ENS7_6detail15normal_iteratorINS7_10device_ptrIjEEEESH_NSE_INSF_ISA_EEEESJ_NS0_19identity_decomposerEEE10hipError_tT1_T2_T3_T4_jRjT5_jjP12ihipStream_tbEUlT_E_NS1_11comp_targetILNS1_3genE8ELNS1_11target_archE1030ELNS1_3gpuE2ELNS1_3repE0EEENS1_44radix_sort_block_sort_config_static_selectorELNS0_4arch9wavefront6targetE1EEEvSM_,comdat
.Lfunc_end15:
	.size	_ZN7rocprim17ROCPRIM_400000_NS6detail17trampoline_kernelINS0_13kernel_configILj256ELj4ELj4294967295EEENS1_37radix_sort_block_sort_config_selectorIjN6thrust23THRUST_200600_302600_NS5tupleIffNS7_9null_typeES9_S9_S9_S9_S9_S9_S9_EEEEZNS1_21radix_sort_block_sortIS4_Lb0ENS7_6detail15normal_iteratorINS7_10device_ptrIjEEEESH_NSE_INSF_ISA_EEEESJ_NS0_19identity_decomposerEEE10hipError_tT1_T2_T3_T4_jRjT5_jjP12ihipStream_tbEUlT_E_NS1_11comp_targetILNS1_3genE8ELNS1_11target_archE1030ELNS1_3gpuE2ELNS1_3repE0EEENS1_44radix_sort_block_sort_config_static_selectorELNS0_4arch9wavefront6targetE1EEEvSM_, .Lfunc_end15-_ZN7rocprim17ROCPRIM_400000_NS6detail17trampoline_kernelINS0_13kernel_configILj256ELj4ELj4294967295EEENS1_37radix_sort_block_sort_config_selectorIjN6thrust23THRUST_200600_302600_NS5tupleIffNS7_9null_typeES9_S9_S9_S9_S9_S9_S9_EEEEZNS1_21radix_sort_block_sortIS4_Lb0ENS7_6detail15normal_iteratorINS7_10device_ptrIjEEEESH_NSE_INSF_ISA_EEEESJ_NS0_19identity_decomposerEEE10hipError_tT1_T2_T3_T4_jRjT5_jjP12ihipStream_tbEUlT_E_NS1_11comp_targetILNS1_3genE8ELNS1_11target_archE1030ELNS1_3gpuE2ELNS1_3repE0EEENS1_44radix_sort_block_sort_config_static_selectorELNS0_4arch9wavefront6targetE1EEEvSM_
                                        ; -- End function
	.section	.AMDGPU.csdata,"",@progbits
; Kernel info:
; codeLenInByte = 0
; NumSgprs: 4
; NumVgprs: 0
; NumAgprs: 0
; TotalNumVgprs: 0
; ScratchSize: 0
; MemoryBound: 0
; FloatMode: 240
; IeeeMode: 1
; LDSByteSize: 0 bytes/workgroup (compile time only)
; SGPRBlocks: 0
; VGPRBlocks: 0
; NumSGPRsForWavesPerEU: 4
; NumVGPRsForWavesPerEU: 1
; AccumOffset: 4
; Occupancy: 8
; WaveLimiterHint : 0
; COMPUTE_PGM_RSRC2:SCRATCH_EN: 0
; COMPUTE_PGM_RSRC2:USER_SGPR: 6
; COMPUTE_PGM_RSRC2:TRAP_HANDLER: 0
; COMPUTE_PGM_RSRC2:TGID_X_EN: 1
; COMPUTE_PGM_RSRC2:TGID_Y_EN: 0
; COMPUTE_PGM_RSRC2:TGID_Z_EN: 0
; COMPUTE_PGM_RSRC2:TIDIG_COMP_CNT: 0
; COMPUTE_PGM_RSRC3_GFX90A:ACCUM_OFFSET: 0
; COMPUTE_PGM_RSRC3_GFX90A:TG_SPLIT: 0
	.section	.text._ZN7rocprim17ROCPRIM_400000_NS6detail44device_merge_sort_compile_time_verifier_archINS1_11comp_targetILNS1_3genE0ELNS1_11target_archE4294967295ELNS1_3gpuE0ELNS1_3repE0EEES8_NS1_28merge_sort_block_sort_configILj256ELj4ELNS0_20block_sort_algorithmE0EEENS0_14default_configENS1_37merge_sort_block_sort_config_selectorIjN6thrust23THRUST_200600_302600_NS5tupleIffNSF_9null_typeESH_SH_SH_SH_SH_SH_SH_EEEENS1_38merge_sort_block_merge_config_selectorIjSI_EEEEvv,"axG",@progbits,_ZN7rocprim17ROCPRIM_400000_NS6detail44device_merge_sort_compile_time_verifier_archINS1_11comp_targetILNS1_3genE0ELNS1_11target_archE4294967295ELNS1_3gpuE0ELNS1_3repE0EEES8_NS1_28merge_sort_block_sort_configILj256ELj4ELNS0_20block_sort_algorithmE0EEENS0_14default_configENS1_37merge_sort_block_sort_config_selectorIjN6thrust23THRUST_200600_302600_NS5tupleIffNSF_9null_typeESH_SH_SH_SH_SH_SH_SH_EEEENS1_38merge_sort_block_merge_config_selectorIjSI_EEEEvv,comdat
	.protected	_ZN7rocprim17ROCPRIM_400000_NS6detail44device_merge_sort_compile_time_verifier_archINS1_11comp_targetILNS1_3genE0ELNS1_11target_archE4294967295ELNS1_3gpuE0ELNS1_3repE0EEES8_NS1_28merge_sort_block_sort_configILj256ELj4ELNS0_20block_sort_algorithmE0EEENS0_14default_configENS1_37merge_sort_block_sort_config_selectorIjN6thrust23THRUST_200600_302600_NS5tupleIffNSF_9null_typeESH_SH_SH_SH_SH_SH_SH_EEEENS1_38merge_sort_block_merge_config_selectorIjSI_EEEEvv ; -- Begin function _ZN7rocprim17ROCPRIM_400000_NS6detail44device_merge_sort_compile_time_verifier_archINS1_11comp_targetILNS1_3genE0ELNS1_11target_archE4294967295ELNS1_3gpuE0ELNS1_3repE0EEES8_NS1_28merge_sort_block_sort_configILj256ELj4ELNS0_20block_sort_algorithmE0EEENS0_14default_configENS1_37merge_sort_block_sort_config_selectorIjN6thrust23THRUST_200600_302600_NS5tupleIffNSF_9null_typeESH_SH_SH_SH_SH_SH_SH_EEEENS1_38merge_sort_block_merge_config_selectorIjSI_EEEEvv
	.globl	_ZN7rocprim17ROCPRIM_400000_NS6detail44device_merge_sort_compile_time_verifier_archINS1_11comp_targetILNS1_3genE0ELNS1_11target_archE4294967295ELNS1_3gpuE0ELNS1_3repE0EEES8_NS1_28merge_sort_block_sort_configILj256ELj4ELNS0_20block_sort_algorithmE0EEENS0_14default_configENS1_37merge_sort_block_sort_config_selectorIjN6thrust23THRUST_200600_302600_NS5tupleIffNSF_9null_typeESH_SH_SH_SH_SH_SH_SH_EEEENS1_38merge_sort_block_merge_config_selectorIjSI_EEEEvv
	.p2align	8
	.type	_ZN7rocprim17ROCPRIM_400000_NS6detail44device_merge_sort_compile_time_verifier_archINS1_11comp_targetILNS1_3genE0ELNS1_11target_archE4294967295ELNS1_3gpuE0ELNS1_3repE0EEES8_NS1_28merge_sort_block_sort_configILj256ELj4ELNS0_20block_sort_algorithmE0EEENS0_14default_configENS1_37merge_sort_block_sort_config_selectorIjN6thrust23THRUST_200600_302600_NS5tupleIffNSF_9null_typeESH_SH_SH_SH_SH_SH_SH_EEEENS1_38merge_sort_block_merge_config_selectorIjSI_EEEEvv,@function
_ZN7rocprim17ROCPRIM_400000_NS6detail44device_merge_sort_compile_time_verifier_archINS1_11comp_targetILNS1_3genE0ELNS1_11target_archE4294967295ELNS1_3gpuE0ELNS1_3repE0EEES8_NS1_28merge_sort_block_sort_configILj256ELj4ELNS0_20block_sort_algorithmE0EEENS0_14default_configENS1_37merge_sort_block_sort_config_selectorIjN6thrust23THRUST_200600_302600_NS5tupleIffNSF_9null_typeESH_SH_SH_SH_SH_SH_SH_EEEENS1_38merge_sort_block_merge_config_selectorIjSI_EEEEvv: ; @_ZN7rocprim17ROCPRIM_400000_NS6detail44device_merge_sort_compile_time_verifier_archINS1_11comp_targetILNS1_3genE0ELNS1_11target_archE4294967295ELNS1_3gpuE0ELNS1_3repE0EEES8_NS1_28merge_sort_block_sort_configILj256ELj4ELNS0_20block_sort_algorithmE0EEENS0_14default_configENS1_37merge_sort_block_sort_config_selectorIjN6thrust23THRUST_200600_302600_NS5tupleIffNSF_9null_typeESH_SH_SH_SH_SH_SH_SH_EEEENS1_38merge_sort_block_merge_config_selectorIjSI_EEEEvv
; %bb.0:
	s_endpgm
	.section	.rodata,"a",@progbits
	.p2align	6, 0x0
	.amdhsa_kernel _ZN7rocprim17ROCPRIM_400000_NS6detail44device_merge_sort_compile_time_verifier_archINS1_11comp_targetILNS1_3genE0ELNS1_11target_archE4294967295ELNS1_3gpuE0ELNS1_3repE0EEES8_NS1_28merge_sort_block_sort_configILj256ELj4ELNS0_20block_sort_algorithmE0EEENS0_14default_configENS1_37merge_sort_block_sort_config_selectorIjN6thrust23THRUST_200600_302600_NS5tupleIffNSF_9null_typeESH_SH_SH_SH_SH_SH_SH_EEEENS1_38merge_sort_block_merge_config_selectorIjSI_EEEEvv
		.amdhsa_group_segment_fixed_size 0
		.amdhsa_private_segment_fixed_size 0
		.amdhsa_kernarg_size 0
		.amdhsa_user_sgpr_count 4
		.amdhsa_user_sgpr_private_segment_buffer 1
		.amdhsa_user_sgpr_dispatch_ptr 0
		.amdhsa_user_sgpr_queue_ptr 0
		.amdhsa_user_sgpr_kernarg_segment_ptr 0
		.amdhsa_user_sgpr_dispatch_id 0
		.amdhsa_user_sgpr_flat_scratch_init 0
		.amdhsa_user_sgpr_kernarg_preload_length 0
		.amdhsa_user_sgpr_kernarg_preload_offset 0
		.amdhsa_user_sgpr_private_segment_size 0
		.amdhsa_uses_dynamic_stack 0
		.amdhsa_system_sgpr_private_segment_wavefront_offset 0
		.amdhsa_system_sgpr_workgroup_id_x 1
		.amdhsa_system_sgpr_workgroup_id_y 0
		.amdhsa_system_sgpr_workgroup_id_z 0
		.amdhsa_system_sgpr_workgroup_info 0
		.amdhsa_system_vgpr_workitem_id 0
		.amdhsa_next_free_vgpr 1
		.amdhsa_next_free_sgpr 0
		.amdhsa_accum_offset 4
		.amdhsa_reserve_vcc 0
		.amdhsa_reserve_flat_scratch 0
		.amdhsa_float_round_mode_32 0
		.amdhsa_float_round_mode_16_64 0
		.amdhsa_float_denorm_mode_32 3
		.amdhsa_float_denorm_mode_16_64 3
		.amdhsa_dx10_clamp 1
		.amdhsa_ieee_mode 1
		.amdhsa_fp16_overflow 0
		.amdhsa_tg_split 0
		.amdhsa_exception_fp_ieee_invalid_op 0
		.amdhsa_exception_fp_denorm_src 0
		.amdhsa_exception_fp_ieee_div_zero 0
		.amdhsa_exception_fp_ieee_overflow 0
		.amdhsa_exception_fp_ieee_underflow 0
		.amdhsa_exception_fp_ieee_inexact 0
		.amdhsa_exception_int_div_zero 0
	.end_amdhsa_kernel
	.section	.text._ZN7rocprim17ROCPRIM_400000_NS6detail44device_merge_sort_compile_time_verifier_archINS1_11comp_targetILNS1_3genE0ELNS1_11target_archE4294967295ELNS1_3gpuE0ELNS1_3repE0EEES8_NS1_28merge_sort_block_sort_configILj256ELj4ELNS0_20block_sort_algorithmE0EEENS0_14default_configENS1_37merge_sort_block_sort_config_selectorIjN6thrust23THRUST_200600_302600_NS5tupleIffNSF_9null_typeESH_SH_SH_SH_SH_SH_SH_EEEENS1_38merge_sort_block_merge_config_selectorIjSI_EEEEvv,"axG",@progbits,_ZN7rocprim17ROCPRIM_400000_NS6detail44device_merge_sort_compile_time_verifier_archINS1_11comp_targetILNS1_3genE0ELNS1_11target_archE4294967295ELNS1_3gpuE0ELNS1_3repE0EEES8_NS1_28merge_sort_block_sort_configILj256ELj4ELNS0_20block_sort_algorithmE0EEENS0_14default_configENS1_37merge_sort_block_sort_config_selectorIjN6thrust23THRUST_200600_302600_NS5tupleIffNSF_9null_typeESH_SH_SH_SH_SH_SH_SH_EEEENS1_38merge_sort_block_merge_config_selectorIjSI_EEEEvv,comdat
.Lfunc_end16:
	.size	_ZN7rocprim17ROCPRIM_400000_NS6detail44device_merge_sort_compile_time_verifier_archINS1_11comp_targetILNS1_3genE0ELNS1_11target_archE4294967295ELNS1_3gpuE0ELNS1_3repE0EEES8_NS1_28merge_sort_block_sort_configILj256ELj4ELNS0_20block_sort_algorithmE0EEENS0_14default_configENS1_37merge_sort_block_sort_config_selectorIjN6thrust23THRUST_200600_302600_NS5tupleIffNSF_9null_typeESH_SH_SH_SH_SH_SH_SH_EEEENS1_38merge_sort_block_merge_config_selectorIjSI_EEEEvv, .Lfunc_end16-_ZN7rocprim17ROCPRIM_400000_NS6detail44device_merge_sort_compile_time_verifier_archINS1_11comp_targetILNS1_3genE0ELNS1_11target_archE4294967295ELNS1_3gpuE0ELNS1_3repE0EEES8_NS1_28merge_sort_block_sort_configILj256ELj4ELNS0_20block_sort_algorithmE0EEENS0_14default_configENS1_37merge_sort_block_sort_config_selectorIjN6thrust23THRUST_200600_302600_NS5tupleIffNSF_9null_typeESH_SH_SH_SH_SH_SH_SH_EEEENS1_38merge_sort_block_merge_config_selectorIjSI_EEEEvv
                                        ; -- End function
	.section	.AMDGPU.csdata,"",@progbits
; Kernel info:
; codeLenInByte = 4
; NumSgprs: 4
; NumVgprs: 0
; NumAgprs: 0
; TotalNumVgprs: 0
; ScratchSize: 0
; MemoryBound: 0
; FloatMode: 240
; IeeeMode: 1
; LDSByteSize: 0 bytes/workgroup (compile time only)
; SGPRBlocks: 0
; VGPRBlocks: 0
; NumSGPRsForWavesPerEU: 4
; NumVGPRsForWavesPerEU: 1
; AccumOffset: 4
; Occupancy: 8
; WaveLimiterHint : 0
; COMPUTE_PGM_RSRC2:SCRATCH_EN: 0
; COMPUTE_PGM_RSRC2:USER_SGPR: 4
; COMPUTE_PGM_RSRC2:TRAP_HANDLER: 0
; COMPUTE_PGM_RSRC2:TGID_X_EN: 1
; COMPUTE_PGM_RSRC2:TGID_Y_EN: 0
; COMPUTE_PGM_RSRC2:TGID_Z_EN: 0
; COMPUTE_PGM_RSRC2:TIDIG_COMP_CNT: 0
; COMPUTE_PGM_RSRC3_GFX90A:ACCUM_OFFSET: 0
; COMPUTE_PGM_RSRC3_GFX90A:TG_SPLIT: 0
	.section	.text._ZN7rocprim17ROCPRIM_400000_NS6detail44device_merge_sort_compile_time_verifier_archINS1_11comp_targetILNS1_3genE5ELNS1_11target_archE942ELNS1_3gpuE9ELNS1_3repE0EEES8_NS1_28merge_sort_block_sort_configILj256ELj4ELNS0_20block_sort_algorithmE0EEENS0_14default_configENS1_37merge_sort_block_sort_config_selectorIjN6thrust23THRUST_200600_302600_NS5tupleIffNSF_9null_typeESH_SH_SH_SH_SH_SH_SH_EEEENS1_38merge_sort_block_merge_config_selectorIjSI_EEEEvv,"axG",@progbits,_ZN7rocprim17ROCPRIM_400000_NS6detail44device_merge_sort_compile_time_verifier_archINS1_11comp_targetILNS1_3genE5ELNS1_11target_archE942ELNS1_3gpuE9ELNS1_3repE0EEES8_NS1_28merge_sort_block_sort_configILj256ELj4ELNS0_20block_sort_algorithmE0EEENS0_14default_configENS1_37merge_sort_block_sort_config_selectorIjN6thrust23THRUST_200600_302600_NS5tupleIffNSF_9null_typeESH_SH_SH_SH_SH_SH_SH_EEEENS1_38merge_sort_block_merge_config_selectorIjSI_EEEEvv,comdat
	.protected	_ZN7rocprim17ROCPRIM_400000_NS6detail44device_merge_sort_compile_time_verifier_archINS1_11comp_targetILNS1_3genE5ELNS1_11target_archE942ELNS1_3gpuE9ELNS1_3repE0EEES8_NS1_28merge_sort_block_sort_configILj256ELj4ELNS0_20block_sort_algorithmE0EEENS0_14default_configENS1_37merge_sort_block_sort_config_selectorIjN6thrust23THRUST_200600_302600_NS5tupleIffNSF_9null_typeESH_SH_SH_SH_SH_SH_SH_EEEENS1_38merge_sort_block_merge_config_selectorIjSI_EEEEvv ; -- Begin function _ZN7rocprim17ROCPRIM_400000_NS6detail44device_merge_sort_compile_time_verifier_archINS1_11comp_targetILNS1_3genE5ELNS1_11target_archE942ELNS1_3gpuE9ELNS1_3repE0EEES8_NS1_28merge_sort_block_sort_configILj256ELj4ELNS0_20block_sort_algorithmE0EEENS0_14default_configENS1_37merge_sort_block_sort_config_selectorIjN6thrust23THRUST_200600_302600_NS5tupleIffNSF_9null_typeESH_SH_SH_SH_SH_SH_SH_EEEENS1_38merge_sort_block_merge_config_selectorIjSI_EEEEvv
	.globl	_ZN7rocprim17ROCPRIM_400000_NS6detail44device_merge_sort_compile_time_verifier_archINS1_11comp_targetILNS1_3genE5ELNS1_11target_archE942ELNS1_3gpuE9ELNS1_3repE0EEES8_NS1_28merge_sort_block_sort_configILj256ELj4ELNS0_20block_sort_algorithmE0EEENS0_14default_configENS1_37merge_sort_block_sort_config_selectorIjN6thrust23THRUST_200600_302600_NS5tupleIffNSF_9null_typeESH_SH_SH_SH_SH_SH_SH_EEEENS1_38merge_sort_block_merge_config_selectorIjSI_EEEEvv
	.p2align	8
	.type	_ZN7rocprim17ROCPRIM_400000_NS6detail44device_merge_sort_compile_time_verifier_archINS1_11comp_targetILNS1_3genE5ELNS1_11target_archE942ELNS1_3gpuE9ELNS1_3repE0EEES8_NS1_28merge_sort_block_sort_configILj256ELj4ELNS0_20block_sort_algorithmE0EEENS0_14default_configENS1_37merge_sort_block_sort_config_selectorIjN6thrust23THRUST_200600_302600_NS5tupleIffNSF_9null_typeESH_SH_SH_SH_SH_SH_SH_EEEENS1_38merge_sort_block_merge_config_selectorIjSI_EEEEvv,@function
_ZN7rocprim17ROCPRIM_400000_NS6detail44device_merge_sort_compile_time_verifier_archINS1_11comp_targetILNS1_3genE5ELNS1_11target_archE942ELNS1_3gpuE9ELNS1_3repE0EEES8_NS1_28merge_sort_block_sort_configILj256ELj4ELNS0_20block_sort_algorithmE0EEENS0_14default_configENS1_37merge_sort_block_sort_config_selectorIjN6thrust23THRUST_200600_302600_NS5tupleIffNSF_9null_typeESH_SH_SH_SH_SH_SH_SH_EEEENS1_38merge_sort_block_merge_config_selectorIjSI_EEEEvv: ; @_ZN7rocprim17ROCPRIM_400000_NS6detail44device_merge_sort_compile_time_verifier_archINS1_11comp_targetILNS1_3genE5ELNS1_11target_archE942ELNS1_3gpuE9ELNS1_3repE0EEES8_NS1_28merge_sort_block_sort_configILj256ELj4ELNS0_20block_sort_algorithmE0EEENS0_14default_configENS1_37merge_sort_block_sort_config_selectorIjN6thrust23THRUST_200600_302600_NS5tupleIffNSF_9null_typeESH_SH_SH_SH_SH_SH_SH_EEEENS1_38merge_sort_block_merge_config_selectorIjSI_EEEEvv
; %bb.0:
	s_endpgm
	.section	.rodata,"a",@progbits
	.p2align	6, 0x0
	.amdhsa_kernel _ZN7rocprim17ROCPRIM_400000_NS6detail44device_merge_sort_compile_time_verifier_archINS1_11comp_targetILNS1_3genE5ELNS1_11target_archE942ELNS1_3gpuE9ELNS1_3repE0EEES8_NS1_28merge_sort_block_sort_configILj256ELj4ELNS0_20block_sort_algorithmE0EEENS0_14default_configENS1_37merge_sort_block_sort_config_selectorIjN6thrust23THRUST_200600_302600_NS5tupleIffNSF_9null_typeESH_SH_SH_SH_SH_SH_SH_EEEENS1_38merge_sort_block_merge_config_selectorIjSI_EEEEvv
		.amdhsa_group_segment_fixed_size 0
		.amdhsa_private_segment_fixed_size 0
		.amdhsa_kernarg_size 0
		.amdhsa_user_sgpr_count 4
		.amdhsa_user_sgpr_private_segment_buffer 1
		.amdhsa_user_sgpr_dispatch_ptr 0
		.amdhsa_user_sgpr_queue_ptr 0
		.amdhsa_user_sgpr_kernarg_segment_ptr 0
		.amdhsa_user_sgpr_dispatch_id 0
		.amdhsa_user_sgpr_flat_scratch_init 0
		.amdhsa_user_sgpr_kernarg_preload_length 0
		.amdhsa_user_sgpr_kernarg_preload_offset 0
		.amdhsa_user_sgpr_private_segment_size 0
		.amdhsa_uses_dynamic_stack 0
		.amdhsa_system_sgpr_private_segment_wavefront_offset 0
		.amdhsa_system_sgpr_workgroup_id_x 1
		.amdhsa_system_sgpr_workgroup_id_y 0
		.amdhsa_system_sgpr_workgroup_id_z 0
		.amdhsa_system_sgpr_workgroup_info 0
		.amdhsa_system_vgpr_workitem_id 0
		.amdhsa_next_free_vgpr 1
		.amdhsa_next_free_sgpr 0
		.amdhsa_accum_offset 4
		.amdhsa_reserve_vcc 0
		.amdhsa_reserve_flat_scratch 0
		.amdhsa_float_round_mode_32 0
		.amdhsa_float_round_mode_16_64 0
		.amdhsa_float_denorm_mode_32 3
		.amdhsa_float_denorm_mode_16_64 3
		.amdhsa_dx10_clamp 1
		.amdhsa_ieee_mode 1
		.amdhsa_fp16_overflow 0
		.amdhsa_tg_split 0
		.amdhsa_exception_fp_ieee_invalid_op 0
		.amdhsa_exception_fp_denorm_src 0
		.amdhsa_exception_fp_ieee_div_zero 0
		.amdhsa_exception_fp_ieee_overflow 0
		.amdhsa_exception_fp_ieee_underflow 0
		.amdhsa_exception_fp_ieee_inexact 0
		.amdhsa_exception_int_div_zero 0
	.end_amdhsa_kernel
	.section	.text._ZN7rocprim17ROCPRIM_400000_NS6detail44device_merge_sort_compile_time_verifier_archINS1_11comp_targetILNS1_3genE5ELNS1_11target_archE942ELNS1_3gpuE9ELNS1_3repE0EEES8_NS1_28merge_sort_block_sort_configILj256ELj4ELNS0_20block_sort_algorithmE0EEENS0_14default_configENS1_37merge_sort_block_sort_config_selectorIjN6thrust23THRUST_200600_302600_NS5tupleIffNSF_9null_typeESH_SH_SH_SH_SH_SH_SH_EEEENS1_38merge_sort_block_merge_config_selectorIjSI_EEEEvv,"axG",@progbits,_ZN7rocprim17ROCPRIM_400000_NS6detail44device_merge_sort_compile_time_verifier_archINS1_11comp_targetILNS1_3genE5ELNS1_11target_archE942ELNS1_3gpuE9ELNS1_3repE0EEES8_NS1_28merge_sort_block_sort_configILj256ELj4ELNS0_20block_sort_algorithmE0EEENS0_14default_configENS1_37merge_sort_block_sort_config_selectorIjN6thrust23THRUST_200600_302600_NS5tupleIffNSF_9null_typeESH_SH_SH_SH_SH_SH_SH_EEEENS1_38merge_sort_block_merge_config_selectorIjSI_EEEEvv,comdat
.Lfunc_end17:
	.size	_ZN7rocprim17ROCPRIM_400000_NS6detail44device_merge_sort_compile_time_verifier_archINS1_11comp_targetILNS1_3genE5ELNS1_11target_archE942ELNS1_3gpuE9ELNS1_3repE0EEES8_NS1_28merge_sort_block_sort_configILj256ELj4ELNS0_20block_sort_algorithmE0EEENS0_14default_configENS1_37merge_sort_block_sort_config_selectorIjN6thrust23THRUST_200600_302600_NS5tupleIffNSF_9null_typeESH_SH_SH_SH_SH_SH_SH_EEEENS1_38merge_sort_block_merge_config_selectorIjSI_EEEEvv, .Lfunc_end17-_ZN7rocprim17ROCPRIM_400000_NS6detail44device_merge_sort_compile_time_verifier_archINS1_11comp_targetILNS1_3genE5ELNS1_11target_archE942ELNS1_3gpuE9ELNS1_3repE0EEES8_NS1_28merge_sort_block_sort_configILj256ELj4ELNS0_20block_sort_algorithmE0EEENS0_14default_configENS1_37merge_sort_block_sort_config_selectorIjN6thrust23THRUST_200600_302600_NS5tupleIffNSF_9null_typeESH_SH_SH_SH_SH_SH_SH_EEEENS1_38merge_sort_block_merge_config_selectorIjSI_EEEEvv
                                        ; -- End function
	.section	.AMDGPU.csdata,"",@progbits
; Kernel info:
; codeLenInByte = 4
; NumSgprs: 4
; NumVgprs: 0
; NumAgprs: 0
; TotalNumVgprs: 0
; ScratchSize: 0
; MemoryBound: 0
; FloatMode: 240
; IeeeMode: 1
; LDSByteSize: 0 bytes/workgroup (compile time only)
; SGPRBlocks: 0
; VGPRBlocks: 0
; NumSGPRsForWavesPerEU: 4
; NumVGPRsForWavesPerEU: 1
; AccumOffset: 4
; Occupancy: 8
; WaveLimiterHint : 0
; COMPUTE_PGM_RSRC2:SCRATCH_EN: 0
; COMPUTE_PGM_RSRC2:USER_SGPR: 4
; COMPUTE_PGM_RSRC2:TRAP_HANDLER: 0
; COMPUTE_PGM_RSRC2:TGID_X_EN: 1
; COMPUTE_PGM_RSRC2:TGID_Y_EN: 0
; COMPUTE_PGM_RSRC2:TGID_Z_EN: 0
; COMPUTE_PGM_RSRC2:TIDIG_COMP_CNT: 0
; COMPUTE_PGM_RSRC3_GFX90A:ACCUM_OFFSET: 0
; COMPUTE_PGM_RSRC3_GFX90A:TG_SPLIT: 0
	.section	.text._ZN7rocprim17ROCPRIM_400000_NS6detail44device_merge_sort_compile_time_verifier_archINS1_11comp_targetILNS1_3genE4ELNS1_11target_archE910ELNS1_3gpuE8ELNS1_3repE0EEES8_NS1_28merge_sort_block_sort_configILj256ELj4ELNS0_20block_sort_algorithmE0EEENS0_14default_configENS1_37merge_sort_block_sort_config_selectorIjN6thrust23THRUST_200600_302600_NS5tupleIffNSF_9null_typeESH_SH_SH_SH_SH_SH_SH_EEEENS1_38merge_sort_block_merge_config_selectorIjSI_EEEEvv,"axG",@progbits,_ZN7rocprim17ROCPRIM_400000_NS6detail44device_merge_sort_compile_time_verifier_archINS1_11comp_targetILNS1_3genE4ELNS1_11target_archE910ELNS1_3gpuE8ELNS1_3repE0EEES8_NS1_28merge_sort_block_sort_configILj256ELj4ELNS0_20block_sort_algorithmE0EEENS0_14default_configENS1_37merge_sort_block_sort_config_selectorIjN6thrust23THRUST_200600_302600_NS5tupleIffNSF_9null_typeESH_SH_SH_SH_SH_SH_SH_EEEENS1_38merge_sort_block_merge_config_selectorIjSI_EEEEvv,comdat
	.protected	_ZN7rocprim17ROCPRIM_400000_NS6detail44device_merge_sort_compile_time_verifier_archINS1_11comp_targetILNS1_3genE4ELNS1_11target_archE910ELNS1_3gpuE8ELNS1_3repE0EEES8_NS1_28merge_sort_block_sort_configILj256ELj4ELNS0_20block_sort_algorithmE0EEENS0_14default_configENS1_37merge_sort_block_sort_config_selectorIjN6thrust23THRUST_200600_302600_NS5tupleIffNSF_9null_typeESH_SH_SH_SH_SH_SH_SH_EEEENS1_38merge_sort_block_merge_config_selectorIjSI_EEEEvv ; -- Begin function _ZN7rocprim17ROCPRIM_400000_NS6detail44device_merge_sort_compile_time_verifier_archINS1_11comp_targetILNS1_3genE4ELNS1_11target_archE910ELNS1_3gpuE8ELNS1_3repE0EEES8_NS1_28merge_sort_block_sort_configILj256ELj4ELNS0_20block_sort_algorithmE0EEENS0_14default_configENS1_37merge_sort_block_sort_config_selectorIjN6thrust23THRUST_200600_302600_NS5tupleIffNSF_9null_typeESH_SH_SH_SH_SH_SH_SH_EEEENS1_38merge_sort_block_merge_config_selectorIjSI_EEEEvv
	.globl	_ZN7rocprim17ROCPRIM_400000_NS6detail44device_merge_sort_compile_time_verifier_archINS1_11comp_targetILNS1_3genE4ELNS1_11target_archE910ELNS1_3gpuE8ELNS1_3repE0EEES8_NS1_28merge_sort_block_sort_configILj256ELj4ELNS0_20block_sort_algorithmE0EEENS0_14default_configENS1_37merge_sort_block_sort_config_selectorIjN6thrust23THRUST_200600_302600_NS5tupleIffNSF_9null_typeESH_SH_SH_SH_SH_SH_SH_EEEENS1_38merge_sort_block_merge_config_selectorIjSI_EEEEvv
	.p2align	8
	.type	_ZN7rocprim17ROCPRIM_400000_NS6detail44device_merge_sort_compile_time_verifier_archINS1_11comp_targetILNS1_3genE4ELNS1_11target_archE910ELNS1_3gpuE8ELNS1_3repE0EEES8_NS1_28merge_sort_block_sort_configILj256ELj4ELNS0_20block_sort_algorithmE0EEENS0_14default_configENS1_37merge_sort_block_sort_config_selectorIjN6thrust23THRUST_200600_302600_NS5tupleIffNSF_9null_typeESH_SH_SH_SH_SH_SH_SH_EEEENS1_38merge_sort_block_merge_config_selectorIjSI_EEEEvv,@function
_ZN7rocprim17ROCPRIM_400000_NS6detail44device_merge_sort_compile_time_verifier_archINS1_11comp_targetILNS1_3genE4ELNS1_11target_archE910ELNS1_3gpuE8ELNS1_3repE0EEES8_NS1_28merge_sort_block_sort_configILj256ELj4ELNS0_20block_sort_algorithmE0EEENS0_14default_configENS1_37merge_sort_block_sort_config_selectorIjN6thrust23THRUST_200600_302600_NS5tupleIffNSF_9null_typeESH_SH_SH_SH_SH_SH_SH_EEEENS1_38merge_sort_block_merge_config_selectorIjSI_EEEEvv: ; @_ZN7rocprim17ROCPRIM_400000_NS6detail44device_merge_sort_compile_time_verifier_archINS1_11comp_targetILNS1_3genE4ELNS1_11target_archE910ELNS1_3gpuE8ELNS1_3repE0EEES8_NS1_28merge_sort_block_sort_configILj256ELj4ELNS0_20block_sort_algorithmE0EEENS0_14default_configENS1_37merge_sort_block_sort_config_selectorIjN6thrust23THRUST_200600_302600_NS5tupleIffNSF_9null_typeESH_SH_SH_SH_SH_SH_SH_EEEENS1_38merge_sort_block_merge_config_selectorIjSI_EEEEvv
; %bb.0:
	s_endpgm
	.section	.rodata,"a",@progbits
	.p2align	6, 0x0
	.amdhsa_kernel _ZN7rocprim17ROCPRIM_400000_NS6detail44device_merge_sort_compile_time_verifier_archINS1_11comp_targetILNS1_3genE4ELNS1_11target_archE910ELNS1_3gpuE8ELNS1_3repE0EEES8_NS1_28merge_sort_block_sort_configILj256ELj4ELNS0_20block_sort_algorithmE0EEENS0_14default_configENS1_37merge_sort_block_sort_config_selectorIjN6thrust23THRUST_200600_302600_NS5tupleIffNSF_9null_typeESH_SH_SH_SH_SH_SH_SH_EEEENS1_38merge_sort_block_merge_config_selectorIjSI_EEEEvv
		.amdhsa_group_segment_fixed_size 0
		.amdhsa_private_segment_fixed_size 0
		.amdhsa_kernarg_size 0
		.amdhsa_user_sgpr_count 4
		.amdhsa_user_sgpr_private_segment_buffer 1
		.amdhsa_user_sgpr_dispatch_ptr 0
		.amdhsa_user_sgpr_queue_ptr 0
		.amdhsa_user_sgpr_kernarg_segment_ptr 0
		.amdhsa_user_sgpr_dispatch_id 0
		.amdhsa_user_sgpr_flat_scratch_init 0
		.amdhsa_user_sgpr_kernarg_preload_length 0
		.amdhsa_user_sgpr_kernarg_preload_offset 0
		.amdhsa_user_sgpr_private_segment_size 0
		.amdhsa_uses_dynamic_stack 0
		.amdhsa_system_sgpr_private_segment_wavefront_offset 0
		.amdhsa_system_sgpr_workgroup_id_x 1
		.amdhsa_system_sgpr_workgroup_id_y 0
		.amdhsa_system_sgpr_workgroup_id_z 0
		.amdhsa_system_sgpr_workgroup_info 0
		.amdhsa_system_vgpr_workitem_id 0
		.amdhsa_next_free_vgpr 1
		.amdhsa_next_free_sgpr 0
		.amdhsa_accum_offset 4
		.amdhsa_reserve_vcc 0
		.amdhsa_reserve_flat_scratch 0
		.amdhsa_float_round_mode_32 0
		.amdhsa_float_round_mode_16_64 0
		.amdhsa_float_denorm_mode_32 3
		.amdhsa_float_denorm_mode_16_64 3
		.amdhsa_dx10_clamp 1
		.amdhsa_ieee_mode 1
		.amdhsa_fp16_overflow 0
		.amdhsa_tg_split 0
		.amdhsa_exception_fp_ieee_invalid_op 0
		.amdhsa_exception_fp_denorm_src 0
		.amdhsa_exception_fp_ieee_div_zero 0
		.amdhsa_exception_fp_ieee_overflow 0
		.amdhsa_exception_fp_ieee_underflow 0
		.amdhsa_exception_fp_ieee_inexact 0
		.amdhsa_exception_int_div_zero 0
	.end_amdhsa_kernel
	.section	.text._ZN7rocprim17ROCPRIM_400000_NS6detail44device_merge_sort_compile_time_verifier_archINS1_11comp_targetILNS1_3genE4ELNS1_11target_archE910ELNS1_3gpuE8ELNS1_3repE0EEES8_NS1_28merge_sort_block_sort_configILj256ELj4ELNS0_20block_sort_algorithmE0EEENS0_14default_configENS1_37merge_sort_block_sort_config_selectorIjN6thrust23THRUST_200600_302600_NS5tupleIffNSF_9null_typeESH_SH_SH_SH_SH_SH_SH_EEEENS1_38merge_sort_block_merge_config_selectorIjSI_EEEEvv,"axG",@progbits,_ZN7rocprim17ROCPRIM_400000_NS6detail44device_merge_sort_compile_time_verifier_archINS1_11comp_targetILNS1_3genE4ELNS1_11target_archE910ELNS1_3gpuE8ELNS1_3repE0EEES8_NS1_28merge_sort_block_sort_configILj256ELj4ELNS0_20block_sort_algorithmE0EEENS0_14default_configENS1_37merge_sort_block_sort_config_selectorIjN6thrust23THRUST_200600_302600_NS5tupleIffNSF_9null_typeESH_SH_SH_SH_SH_SH_SH_EEEENS1_38merge_sort_block_merge_config_selectorIjSI_EEEEvv,comdat
.Lfunc_end18:
	.size	_ZN7rocprim17ROCPRIM_400000_NS6detail44device_merge_sort_compile_time_verifier_archINS1_11comp_targetILNS1_3genE4ELNS1_11target_archE910ELNS1_3gpuE8ELNS1_3repE0EEES8_NS1_28merge_sort_block_sort_configILj256ELj4ELNS0_20block_sort_algorithmE0EEENS0_14default_configENS1_37merge_sort_block_sort_config_selectorIjN6thrust23THRUST_200600_302600_NS5tupleIffNSF_9null_typeESH_SH_SH_SH_SH_SH_SH_EEEENS1_38merge_sort_block_merge_config_selectorIjSI_EEEEvv, .Lfunc_end18-_ZN7rocprim17ROCPRIM_400000_NS6detail44device_merge_sort_compile_time_verifier_archINS1_11comp_targetILNS1_3genE4ELNS1_11target_archE910ELNS1_3gpuE8ELNS1_3repE0EEES8_NS1_28merge_sort_block_sort_configILj256ELj4ELNS0_20block_sort_algorithmE0EEENS0_14default_configENS1_37merge_sort_block_sort_config_selectorIjN6thrust23THRUST_200600_302600_NS5tupleIffNSF_9null_typeESH_SH_SH_SH_SH_SH_SH_EEEENS1_38merge_sort_block_merge_config_selectorIjSI_EEEEvv
                                        ; -- End function
	.section	.AMDGPU.csdata,"",@progbits
; Kernel info:
; codeLenInByte = 4
; NumSgprs: 4
; NumVgprs: 0
; NumAgprs: 0
; TotalNumVgprs: 0
; ScratchSize: 0
; MemoryBound: 0
; FloatMode: 240
; IeeeMode: 1
; LDSByteSize: 0 bytes/workgroup (compile time only)
; SGPRBlocks: 0
; VGPRBlocks: 0
; NumSGPRsForWavesPerEU: 4
; NumVGPRsForWavesPerEU: 1
; AccumOffset: 4
; Occupancy: 8
; WaveLimiterHint : 0
; COMPUTE_PGM_RSRC2:SCRATCH_EN: 0
; COMPUTE_PGM_RSRC2:USER_SGPR: 4
; COMPUTE_PGM_RSRC2:TRAP_HANDLER: 0
; COMPUTE_PGM_RSRC2:TGID_X_EN: 1
; COMPUTE_PGM_RSRC2:TGID_Y_EN: 0
; COMPUTE_PGM_RSRC2:TGID_Z_EN: 0
; COMPUTE_PGM_RSRC2:TIDIG_COMP_CNT: 0
; COMPUTE_PGM_RSRC3_GFX90A:ACCUM_OFFSET: 0
; COMPUTE_PGM_RSRC3_GFX90A:TG_SPLIT: 0
	.section	.text._ZN7rocprim17ROCPRIM_400000_NS6detail44device_merge_sort_compile_time_verifier_archINS1_11comp_targetILNS1_3genE3ELNS1_11target_archE908ELNS1_3gpuE7ELNS1_3repE0EEES8_NS1_28merge_sort_block_sort_configILj256ELj4ELNS0_20block_sort_algorithmE0EEENS0_14default_configENS1_37merge_sort_block_sort_config_selectorIjN6thrust23THRUST_200600_302600_NS5tupleIffNSF_9null_typeESH_SH_SH_SH_SH_SH_SH_EEEENS1_38merge_sort_block_merge_config_selectorIjSI_EEEEvv,"axG",@progbits,_ZN7rocprim17ROCPRIM_400000_NS6detail44device_merge_sort_compile_time_verifier_archINS1_11comp_targetILNS1_3genE3ELNS1_11target_archE908ELNS1_3gpuE7ELNS1_3repE0EEES8_NS1_28merge_sort_block_sort_configILj256ELj4ELNS0_20block_sort_algorithmE0EEENS0_14default_configENS1_37merge_sort_block_sort_config_selectorIjN6thrust23THRUST_200600_302600_NS5tupleIffNSF_9null_typeESH_SH_SH_SH_SH_SH_SH_EEEENS1_38merge_sort_block_merge_config_selectorIjSI_EEEEvv,comdat
	.protected	_ZN7rocprim17ROCPRIM_400000_NS6detail44device_merge_sort_compile_time_verifier_archINS1_11comp_targetILNS1_3genE3ELNS1_11target_archE908ELNS1_3gpuE7ELNS1_3repE0EEES8_NS1_28merge_sort_block_sort_configILj256ELj4ELNS0_20block_sort_algorithmE0EEENS0_14default_configENS1_37merge_sort_block_sort_config_selectorIjN6thrust23THRUST_200600_302600_NS5tupleIffNSF_9null_typeESH_SH_SH_SH_SH_SH_SH_EEEENS1_38merge_sort_block_merge_config_selectorIjSI_EEEEvv ; -- Begin function _ZN7rocprim17ROCPRIM_400000_NS6detail44device_merge_sort_compile_time_verifier_archINS1_11comp_targetILNS1_3genE3ELNS1_11target_archE908ELNS1_3gpuE7ELNS1_3repE0EEES8_NS1_28merge_sort_block_sort_configILj256ELj4ELNS0_20block_sort_algorithmE0EEENS0_14default_configENS1_37merge_sort_block_sort_config_selectorIjN6thrust23THRUST_200600_302600_NS5tupleIffNSF_9null_typeESH_SH_SH_SH_SH_SH_SH_EEEENS1_38merge_sort_block_merge_config_selectorIjSI_EEEEvv
	.globl	_ZN7rocprim17ROCPRIM_400000_NS6detail44device_merge_sort_compile_time_verifier_archINS1_11comp_targetILNS1_3genE3ELNS1_11target_archE908ELNS1_3gpuE7ELNS1_3repE0EEES8_NS1_28merge_sort_block_sort_configILj256ELj4ELNS0_20block_sort_algorithmE0EEENS0_14default_configENS1_37merge_sort_block_sort_config_selectorIjN6thrust23THRUST_200600_302600_NS5tupleIffNSF_9null_typeESH_SH_SH_SH_SH_SH_SH_EEEENS1_38merge_sort_block_merge_config_selectorIjSI_EEEEvv
	.p2align	8
	.type	_ZN7rocprim17ROCPRIM_400000_NS6detail44device_merge_sort_compile_time_verifier_archINS1_11comp_targetILNS1_3genE3ELNS1_11target_archE908ELNS1_3gpuE7ELNS1_3repE0EEES8_NS1_28merge_sort_block_sort_configILj256ELj4ELNS0_20block_sort_algorithmE0EEENS0_14default_configENS1_37merge_sort_block_sort_config_selectorIjN6thrust23THRUST_200600_302600_NS5tupleIffNSF_9null_typeESH_SH_SH_SH_SH_SH_SH_EEEENS1_38merge_sort_block_merge_config_selectorIjSI_EEEEvv,@function
_ZN7rocprim17ROCPRIM_400000_NS6detail44device_merge_sort_compile_time_verifier_archINS1_11comp_targetILNS1_3genE3ELNS1_11target_archE908ELNS1_3gpuE7ELNS1_3repE0EEES8_NS1_28merge_sort_block_sort_configILj256ELj4ELNS0_20block_sort_algorithmE0EEENS0_14default_configENS1_37merge_sort_block_sort_config_selectorIjN6thrust23THRUST_200600_302600_NS5tupleIffNSF_9null_typeESH_SH_SH_SH_SH_SH_SH_EEEENS1_38merge_sort_block_merge_config_selectorIjSI_EEEEvv: ; @_ZN7rocprim17ROCPRIM_400000_NS6detail44device_merge_sort_compile_time_verifier_archINS1_11comp_targetILNS1_3genE3ELNS1_11target_archE908ELNS1_3gpuE7ELNS1_3repE0EEES8_NS1_28merge_sort_block_sort_configILj256ELj4ELNS0_20block_sort_algorithmE0EEENS0_14default_configENS1_37merge_sort_block_sort_config_selectorIjN6thrust23THRUST_200600_302600_NS5tupleIffNSF_9null_typeESH_SH_SH_SH_SH_SH_SH_EEEENS1_38merge_sort_block_merge_config_selectorIjSI_EEEEvv
; %bb.0:
	s_endpgm
	.section	.rodata,"a",@progbits
	.p2align	6, 0x0
	.amdhsa_kernel _ZN7rocprim17ROCPRIM_400000_NS6detail44device_merge_sort_compile_time_verifier_archINS1_11comp_targetILNS1_3genE3ELNS1_11target_archE908ELNS1_3gpuE7ELNS1_3repE0EEES8_NS1_28merge_sort_block_sort_configILj256ELj4ELNS0_20block_sort_algorithmE0EEENS0_14default_configENS1_37merge_sort_block_sort_config_selectorIjN6thrust23THRUST_200600_302600_NS5tupleIffNSF_9null_typeESH_SH_SH_SH_SH_SH_SH_EEEENS1_38merge_sort_block_merge_config_selectorIjSI_EEEEvv
		.amdhsa_group_segment_fixed_size 0
		.amdhsa_private_segment_fixed_size 0
		.amdhsa_kernarg_size 0
		.amdhsa_user_sgpr_count 4
		.amdhsa_user_sgpr_private_segment_buffer 1
		.amdhsa_user_sgpr_dispatch_ptr 0
		.amdhsa_user_sgpr_queue_ptr 0
		.amdhsa_user_sgpr_kernarg_segment_ptr 0
		.amdhsa_user_sgpr_dispatch_id 0
		.amdhsa_user_sgpr_flat_scratch_init 0
		.amdhsa_user_sgpr_kernarg_preload_length 0
		.amdhsa_user_sgpr_kernarg_preload_offset 0
		.amdhsa_user_sgpr_private_segment_size 0
		.amdhsa_uses_dynamic_stack 0
		.amdhsa_system_sgpr_private_segment_wavefront_offset 0
		.amdhsa_system_sgpr_workgroup_id_x 1
		.amdhsa_system_sgpr_workgroup_id_y 0
		.amdhsa_system_sgpr_workgroup_id_z 0
		.amdhsa_system_sgpr_workgroup_info 0
		.amdhsa_system_vgpr_workitem_id 0
		.amdhsa_next_free_vgpr 1
		.amdhsa_next_free_sgpr 0
		.amdhsa_accum_offset 4
		.amdhsa_reserve_vcc 0
		.amdhsa_reserve_flat_scratch 0
		.amdhsa_float_round_mode_32 0
		.amdhsa_float_round_mode_16_64 0
		.amdhsa_float_denorm_mode_32 3
		.amdhsa_float_denorm_mode_16_64 3
		.amdhsa_dx10_clamp 1
		.amdhsa_ieee_mode 1
		.amdhsa_fp16_overflow 0
		.amdhsa_tg_split 0
		.amdhsa_exception_fp_ieee_invalid_op 0
		.amdhsa_exception_fp_denorm_src 0
		.amdhsa_exception_fp_ieee_div_zero 0
		.amdhsa_exception_fp_ieee_overflow 0
		.amdhsa_exception_fp_ieee_underflow 0
		.amdhsa_exception_fp_ieee_inexact 0
		.amdhsa_exception_int_div_zero 0
	.end_amdhsa_kernel
	.section	.text._ZN7rocprim17ROCPRIM_400000_NS6detail44device_merge_sort_compile_time_verifier_archINS1_11comp_targetILNS1_3genE3ELNS1_11target_archE908ELNS1_3gpuE7ELNS1_3repE0EEES8_NS1_28merge_sort_block_sort_configILj256ELj4ELNS0_20block_sort_algorithmE0EEENS0_14default_configENS1_37merge_sort_block_sort_config_selectorIjN6thrust23THRUST_200600_302600_NS5tupleIffNSF_9null_typeESH_SH_SH_SH_SH_SH_SH_EEEENS1_38merge_sort_block_merge_config_selectorIjSI_EEEEvv,"axG",@progbits,_ZN7rocprim17ROCPRIM_400000_NS6detail44device_merge_sort_compile_time_verifier_archINS1_11comp_targetILNS1_3genE3ELNS1_11target_archE908ELNS1_3gpuE7ELNS1_3repE0EEES8_NS1_28merge_sort_block_sort_configILj256ELj4ELNS0_20block_sort_algorithmE0EEENS0_14default_configENS1_37merge_sort_block_sort_config_selectorIjN6thrust23THRUST_200600_302600_NS5tupleIffNSF_9null_typeESH_SH_SH_SH_SH_SH_SH_EEEENS1_38merge_sort_block_merge_config_selectorIjSI_EEEEvv,comdat
.Lfunc_end19:
	.size	_ZN7rocprim17ROCPRIM_400000_NS6detail44device_merge_sort_compile_time_verifier_archINS1_11comp_targetILNS1_3genE3ELNS1_11target_archE908ELNS1_3gpuE7ELNS1_3repE0EEES8_NS1_28merge_sort_block_sort_configILj256ELj4ELNS0_20block_sort_algorithmE0EEENS0_14default_configENS1_37merge_sort_block_sort_config_selectorIjN6thrust23THRUST_200600_302600_NS5tupleIffNSF_9null_typeESH_SH_SH_SH_SH_SH_SH_EEEENS1_38merge_sort_block_merge_config_selectorIjSI_EEEEvv, .Lfunc_end19-_ZN7rocprim17ROCPRIM_400000_NS6detail44device_merge_sort_compile_time_verifier_archINS1_11comp_targetILNS1_3genE3ELNS1_11target_archE908ELNS1_3gpuE7ELNS1_3repE0EEES8_NS1_28merge_sort_block_sort_configILj256ELj4ELNS0_20block_sort_algorithmE0EEENS0_14default_configENS1_37merge_sort_block_sort_config_selectorIjN6thrust23THRUST_200600_302600_NS5tupleIffNSF_9null_typeESH_SH_SH_SH_SH_SH_SH_EEEENS1_38merge_sort_block_merge_config_selectorIjSI_EEEEvv
                                        ; -- End function
	.section	.AMDGPU.csdata,"",@progbits
; Kernel info:
; codeLenInByte = 4
; NumSgprs: 4
; NumVgprs: 0
; NumAgprs: 0
; TotalNumVgprs: 0
; ScratchSize: 0
; MemoryBound: 0
; FloatMode: 240
; IeeeMode: 1
; LDSByteSize: 0 bytes/workgroup (compile time only)
; SGPRBlocks: 0
; VGPRBlocks: 0
; NumSGPRsForWavesPerEU: 4
; NumVGPRsForWavesPerEU: 1
; AccumOffset: 4
; Occupancy: 8
; WaveLimiterHint : 0
; COMPUTE_PGM_RSRC2:SCRATCH_EN: 0
; COMPUTE_PGM_RSRC2:USER_SGPR: 4
; COMPUTE_PGM_RSRC2:TRAP_HANDLER: 0
; COMPUTE_PGM_RSRC2:TGID_X_EN: 1
; COMPUTE_PGM_RSRC2:TGID_Y_EN: 0
; COMPUTE_PGM_RSRC2:TGID_Z_EN: 0
; COMPUTE_PGM_RSRC2:TIDIG_COMP_CNT: 0
; COMPUTE_PGM_RSRC3_GFX90A:ACCUM_OFFSET: 0
; COMPUTE_PGM_RSRC3_GFX90A:TG_SPLIT: 0
	.section	.text._ZN7rocprim17ROCPRIM_400000_NS6detail44device_merge_sort_compile_time_verifier_archINS1_11comp_targetILNS1_3genE2ELNS1_11target_archE906ELNS1_3gpuE6ELNS1_3repE0EEES8_NS1_28merge_sort_block_sort_configILj256ELj4ELNS0_20block_sort_algorithmE0EEENS0_14default_configENS1_37merge_sort_block_sort_config_selectorIjN6thrust23THRUST_200600_302600_NS5tupleIffNSF_9null_typeESH_SH_SH_SH_SH_SH_SH_EEEENS1_38merge_sort_block_merge_config_selectorIjSI_EEEEvv,"axG",@progbits,_ZN7rocprim17ROCPRIM_400000_NS6detail44device_merge_sort_compile_time_verifier_archINS1_11comp_targetILNS1_3genE2ELNS1_11target_archE906ELNS1_3gpuE6ELNS1_3repE0EEES8_NS1_28merge_sort_block_sort_configILj256ELj4ELNS0_20block_sort_algorithmE0EEENS0_14default_configENS1_37merge_sort_block_sort_config_selectorIjN6thrust23THRUST_200600_302600_NS5tupleIffNSF_9null_typeESH_SH_SH_SH_SH_SH_SH_EEEENS1_38merge_sort_block_merge_config_selectorIjSI_EEEEvv,comdat
	.protected	_ZN7rocprim17ROCPRIM_400000_NS6detail44device_merge_sort_compile_time_verifier_archINS1_11comp_targetILNS1_3genE2ELNS1_11target_archE906ELNS1_3gpuE6ELNS1_3repE0EEES8_NS1_28merge_sort_block_sort_configILj256ELj4ELNS0_20block_sort_algorithmE0EEENS0_14default_configENS1_37merge_sort_block_sort_config_selectorIjN6thrust23THRUST_200600_302600_NS5tupleIffNSF_9null_typeESH_SH_SH_SH_SH_SH_SH_EEEENS1_38merge_sort_block_merge_config_selectorIjSI_EEEEvv ; -- Begin function _ZN7rocprim17ROCPRIM_400000_NS6detail44device_merge_sort_compile_time_verifier_archINS1_11comp_targetILNS1_3genE2ELNS1_11target_archE906ELNS1_3gpuE6ELNS1_3repE0EEES8_NS1_28merge_sort_block_sort_configILj256ELj4ELNS0_20block_sort_algorithmE0EEENS0_14default_configENS1_37merge_sort_block_sort_config_selectorIjN6thrust23THRUST_200600_302600_NS5tupleIffNSF_9null_typeESH_SH_SH_SH_SH_SH_SH_EEEENS1_38merge_sort_block_merge_config_selectorIjSI_EEEEvv
	.globl	_ZN7rocprim17ROCPRIM_400000_NS6detail44device_merge_sort_compile_time_verifier_archINS1_11comp_targetILNS1_3genE2ELNS1_11target_archE906ELNS1_3gpuE6ELNS1_3repE0EEES8_NS1_28merge_sort_block_sort_configILj256ELj4ELNS0_20block_sort_algorithmE0EEENS0_14default_configENS1_37merge_sort_block_sort_config_selectorIjN6thrust23THRUST_200600_302600_NS5tupleIffNSF_9null_typeESH_SH_SH_SH_SH_SH_SH_EEEENS1_38merge_sort_block_merge_config_selectorIjSI_EEEEvv
	.p2align	8
	.type	_ZN7rocprim17ROCPRIM_400000_NS6detail44device_merge_sort_compile_time_verifier_archINS1_11comp_targetILNS1_3genE2ELNS1_11target_archE906ELNS1_3gpuE6ELNS1_3repE0EEES8_NS1_28merge_sort_block_sort_configILj256ELj4ELNS0_20block_sort_algorithmE0EEENS0_14default_configENS1_37merge_sort_block_sort_config_selectorIjN6thrust23THRUST_200600_302600_NS5tupleIffNSF_9null_typeESH_SH_SH_SH_SH_SH_SH_EEEENS1_38merge_sort_block_merge_config_selectorIjSI_EEEEvv,@function
_ZN7rocprim17ROCPRIM_400000_NS6detail44device_merge_sort_compile_time_verifier_archINS1_11comp_targetILNS1_3genE2ELNS1_11target_archE906ELNS1_3gpuE6ELNS1_3repE0EEES8_NS1_28merge_sort_block_sort_configILj256ELj4ELNS0_20block_sort_algorithmE0EEENS0_14default_configENS1_37merge_sort_block_sort_config_selectorIjN6thrust23THRUST_200600_302600_NS5tupleIffNSF_9null_typeESH_SH_SH_SH_SH_SH_SH_EEEENS1_38merge_sort_block_merge_config_selectorIjSI_EEEEvv: ; @_ZN7rocprim17ROCPRIM_400000_NS6detail44device_merge_sort_compile_time_verifier_archINS1_11comp_targetILNS1_3genE2ELNS1_11target_archE906ELNS1_3gpuE6ELNS1_3repE0EEES8_NS1_28merge_sort_block_sort_configILj256ELj4ELNS0_20block_sort_algorithmE0EEENS0_14default_configENS1_37merge_sort_block_sort_config_selectorIjN6thrust23THRUST_200600_302600_NS5tupleIffNSF_9null_typeESH_SH_SH_SH_SH_SH_SH_EEEENS1_38merge_sort_block_merge_config_selectorIjSI_EEEEvv
; %bb.0:
	s_endpgm
	.section	.rodata,"a",@progbits
	.p2align	6, 0x0
	.amdhsa_kernel _ZN7rocprim17ROCPRIM_400000_NS6detail44device_merge_sort_compile_time_verifier_archINS1_11comp_targetILNS1_3genE2ELNS1_11target_archE906ELNS1_3gpuE6ELNS1_3repE0EEES8_NS1_28merge_sort_block_sort_configILj256ELj4ELNS0_20block_sort_algorithmE0EEENS0_14default_configENS1_37merge_sort_block_sort_config_selectorIjN6thrust23THRUST_200600_302600_NS5tupleIffNSF_9null_typeESH_SH_SH_SH_SH_SH_SH_EEEENS1_38merge_sort_block_merge_config_selectorIjSI_EEEEvv
		.amdhsa_group_segment_fixed_size 0
		.amdhsa_private_segment_fixed_size 0
		.amdhsa_kernarg_size 0
		.amdhsa_user_sgpr_count 4
		.amdhsa_user_sgpr_private_segment_buffer 1
		.amdhsa_user_sgpr_dispatch_ptr 0
		.amdhsa_user_sgpr_queue_ptr 0
		.amdhsa_user_sgpr_kernarg_segment_ptr 0
		.amdhsa_user_sgpr_dispatch_id 0
		.amdhsa_user_sgpr_flat_scratch_init 0
		.amdhsa_user_sgpr_kernarg_preload_length 0
		.amdhsa_user_sgpr_kernarg_preload_offset 0
		.amdhsa_user_sgpr_private_segment_size 0
		.amdhsa_uses_dynamic_stack 0
		.amdhsa_system_sgpr_private_segment_wavefront_offset 0
		.amdhsa_system_sgpr_workgroup_id_x 1
		.amdhsa_system_sgpr_workgroup_id_y 0
		.amdhsa_system_sgpr_workgroup_id_z 0
		.amdhsa_system_sgpr_workgroup_info 0
		.amdhsa_system_vgpr_workitem_id 0
		.amdhsa_next_free_vgpr 1
		.amdhsa_next_free_sgpr 0
		.amdhsa_accum_offset 4
		.amdhsa_reserve_vcc 0
		.amdhsa_reserve_flat_scratch 0
		.amdhsa_float_round_mode_32 0
		.amdhsa_float_round_mode_16_64 0
		.amdhsa_float_denorm_mode_32 3
		.amdhsa_float_denorm_mode_16_64 3
		.amdhsa_dx10_clamp 1
		.amdhsa_ieee_mode 1
		.amdhsa_fp16_overflow 0
		.amdhsa_tg_split 0
		.amdhsa_exception_fp_ieee_invalid_op 0
		.amdhsa_exception_fp_denorm_src 0
		.amdhsa_exception_fp_ieee_div_zero 0
		.amdhsa_exception_fp_ieee_overflow 0
		.amdhsa_exception_fp_ieee_underflow 0
		.amdhsa_exception_fp_ieee_inexact 0
		.amdhsa_exception_int_div_zero 0
	.end_amdhsa_kernel
	.section	.text._ZN7rocprim17ROCPRIM_400000_NS6detail44device_merge_sort_compile_time_verifier_archINS1_11comp_targetILNS1_3genE2ELNS1_11target_archE906ELNS1_3gpuE6ELNS1_3repE0EEES8_NS1_28merge_sort_block_sort_configILj256ELj4ELNS0_20block_sort_algorithmE0EEENS0_14default_configENS1_37merge_sort_block_sort_config_selectorIjN6thrust23THRUST_200600_302600_NS5tupleIffNSF_9null_typeESH_SH_SH_SH_SH_SH_SH_EEEENS1_38merge_sort_block_merge_config_selectorIjSI_EEEEvv,"axG",@progbits,_ZN7rocprim17ROCPRIM_400000_NS6detail44device_merge_sort_compile_time_verifier_archINS1_11comp_targetILNS1_3genE2ELNS1_11target_archE906ELNS1_3gpuE6ELNS1_3repE0EEES8_NS1_28merge_sort_block_sort_configILj256ELj4ELNS0_20block_sort_algorithmE0EEENS0_14default_configENS1_37merge_sort_block_sort_config_selectorIjN6thrust23THRUST_200600_302600_NS5tupleIffNSF_9null_typeESH_SH_SH_SH_SH_SH_SH_EEEENS1_38merge_sort_block_merge_config_selectorIjSI_EEEEvv,comdat
.Lfunc_end20:
	.size	_ZN7rocprim17ROCPRIM_400000_NS6detail44device_merge_sort_compile_time_verifier_archINS1_11comp_targetILNS1_3genE2ELNS1_11target_archE906ELNS1_3gpuE6ELNS1_3repE0EEES8_NS1_28merge_sort_block_sort_configILj256ELj4ELNS0_20block_sort_algorithmE0EEENS0_14default_configENS1_37merge_sort_block_sort_config_selectorIjN6thrust23THRUST_200600_302600_NS5tupleIffNSF_9null_typeESH_SH_SH_SH_SH_SH_SH_EEEENS1_38merge_sort_block_merge_config_selectorIjSI_EEEEvv, .Lfunc_end20-_ZN7rocprim17ROCPRIM_400000_NS6detail44device_merge_sort_compile_time_verifier_archINS1_11comp_targetILNS1_3genE2ELNS1_11target_archE906ELNS1_3gpuE6ELNS1_3repE0EEES8_NS1_28merge_sort_block_sort_configILj256ELj4ELNS0_20block_sort_algorithmE0EEENS0_14default_configENS1_37merge_sort_block_sort_config_selectorIjN6thrust23THRUST_200600_302600_NS5tupleIffNSF_9null_typeESH_SH_SH_SH_SH_SH_SH_EEEENS1_38merge_sort_block_merge_config_selectorIjSI_EEEEvv
                                        ; -- End function
	.section	.AMDGPU.csdata,"",@progbits
; Kernel info:
; codeLenInByte = 4
; NumSgprs: 4
; NumVgprs: 0
; NumAgprs: 0
; TotalNumVgprs: 0
; ScratchSize: 0
; MemoryBound: 0
; FloatMode: 240
; IeeeMode: 1
; LDSByteSize: 0 bytes/workgroup (compile time only)
; SGPRBlocks: 0
; VGPRBlocks: 0
; NumSGPRsForWavesPerEU: 4
; NumVGPRsForWavesPerEU: 1
; AccumOffset: 4
; Occupancy: 8
; WaveLimiterHint : 0
; COMPUTE_PGM_RSRC2:SCRATCH_EN: 0
; COMPUTE_PGM_RSRC2:USER_SGPR: 4
; COMPUTE_PGM_RSRC2:TRAP_HANDLER: 0
; COMPUTE_PGM_RSRC2:TGID_X_EN: 1
; COMPUTE_PGM_RSRC2:TGID_Y_EN: 0
; COMPUTE_PGM_RSRC2:TGID_Z_EN: 0
; COMPUTE_PGM_RSRC2:TIDIG_COMP_CNT: 0
; COMPUTE_PGM_RSRC3_GFX90A:ACCUM_OFFSET: 0
; COMPUTE_PGM_RSRC3_GFX90A:TG_SPLIT: 0
	.section	.text._ZN7rocprim17ROCPRIM_400000_NS6detail44device_merge_sort_compile_time_verifier_archINS1_11comp_targetILNS1_3genE10ELNS1_11target_archE1201ELNS1_3gpuE5ELNS1_3repE0EEES8_NS1_28merge_sort_block_sort_configILj256ELj4ELNS0_20block_sort_algorithmE0EEENS0_14default_configENS1_37merge_sort_block_sort_config_selectorIjN6thrust23THRUST_200600_302600_NS5tupleIffNSF_9null_typeESH_SH_SH_SH_SH_SH_SH_EEEENS1_38merge_sort_block_merge_config_selectorIjSI_EEEEvv,"axG",@progbits,_ZN7rocprim17ROCPRIM_400000_NS6detail44device_merge_sort_compile_time_verifier_archINS1_11comp_targetILNS1_3genE10ELNS1_11target_archE1201ELNS1_3gpuE5ELNS1_3repE0EEES8_NS1_28merge_sort_block_sort_configILj256ELj4ELNS0_20block_sort_algorithmE0EEENS0_14default_configENS1_37merge_sort_block_sort_config_selectorIjN6thrust23THRUST_200600_302600_NS5tupleIffNSF_9null_typeESH_SH_SH_SH_SH_SH_SH_EEEENS1_38merge_sort_block_merge_config_selectorIjSI_EEEEvv,comdat
	.protected	_ZN7rocprim17ROCPRIM_400000_NS6detail44device_merge_sort_compile_time_verifier_archINS1_11comp_targetILNS1_3genE10ELNS1_11target_archE1201ELNS1_3gpuE5ELNS1_3repE0EEES8_NS1_28merge_sort_block_sort_configILj256ELj4ELNS0_20block_sort_algorithmE0EEENS0_14default_configENS1_37merge_sort_block_sort_config_selectorIjN6thrust23THRUST_200600_302600_NS5tupleIffNSF_9null_typeESH_SH_SH_SH_SH_SH_SH_EEEENS1_38merge_sort_block_merge_config_selectorIjSI_EEEEvv ; -- Begin function _ZN7rocprim17ROCPRIM_400000_NS6detail44device_merge_sort_compile_time_verifier_archINS1_11comp_targetILNS1_3genE10ELNS1_11target_archE1201ELNS1_3gpuE5ELNS1_3repE0EEES8_NS1_28merge_sort_block_sort_configILj256ELj4ELNS0_20block_sort_algorithmE0EEENS0_14default_configENS1_37merge_sort_block_sort_config_selectorIjN6thrust23THRUST_200600_302600_NS5tupleIffNSF_9null_typeESH_SH_SH_SH_SH_SH_SH_EEEENS1_38merge_sort_block_merge_config_selectorIjSI_EEEEvv
	.globl	_ZN7rocprim17ROCPRIM_400000_NS6detail44device_merge_sort_compile_time_verifier_archINS1_11comp_targetILNS1_3genE10ELNS1_11target_archE1201ELNS1_3gpuE5ELNS1_3repE0EEES8_NS1_28merge_sort_block_sort_configILj256ELj4ELNS0_20block_sort_algorithmE0EEENS0_14default_configENS1_37merge_sort_block_sort_config_selectorIjN6thrust23THRUST_200600_302600_NS5tupleIffNSF_9null_typeESH_SH_SH_SH_SH_SH_SH_EEEENS1_38merge_sort_block_merge_config_selectorIjSI_EEEEvv
	.p2align	8
	.type	_ZN7rocprim17ROCPRIM_400000_NS6detail44device_merge_sort_compile_time_verifier_archINS1_11comp_targetILNS1_3genE10ELNS1_11target_archE1201ELNS1_3gpuE5ELNS1_3repE0EEES8_NS1_28merge_sort_block_sort_configILj256ELj4ELNS0_20block_sort_algorithmE0EEENS0_14default_configENS1_37merge_sort_block_sort_config_selectorIjN6thrust23THRUST_200600_302600_NS5tupleIffNSF_9null_typeESH_SH_SH_SH_SH_SH_SH_EEEENS1_38merge_sort_block_merge_config_selectorIjSI_EEEEvv,@function
_ZN7rocprim17ROCPRIM_400000_NS6detail44device_merge_sort_compile_time_verifier_archINS1_11comp_targetILNS1_3genE10ELNS1_11target_archE1201ELNS1_3gpuE5ELNS1_3repE0EEES8_NS1_28merge_sort_block_sort_configILj256ELj4ELNS0_20block_sort_algorithmE0EEENS0_14default_configENS1_37merge_sort_block_sort_config_selectorIjN6thrust23THRUST_200600_302600_NS5tupleIffNSF_9null_typeESH_SH_SH_SH_SH_SH_SH_EEEENS1_38merge_sort_block_merge_config_selectorIjSI_EEEEvv: ; @_ZN7rocprim17ROCPRIM_400000_NS6detail44device_merge_sort_compile_time_verifier_archINS1_11comp_targetILNS1_3genE10ELNS1_11target_archE1201ELNS1_3gpuE5ELNS1_3repE0EEES8_NS1_28merge_sort_block_sort_configILj256ELj4ELNS0_20block_sort_algorithmE0EEENS0_14default_configENS1_37merge_sort_block_sort_config_selectorIjN6thrust23THRUST_200600_302600_NS5tupleIffNSF_9null_typeESH_SH_SH_SH_SH_SH_SH_EEEENS1_38merge_sort_block_merge_config_selectorIjSI_EEEEvv
; %bb.0:
	s_endpgm
	.section	.rodata,"a",@progbits
	.p2align	6, 0x0
	.amdhsa_kernel _ZN7rocprim17ROCPRIM_400000_NS6detail44device_merge_sort_compile_time_verifier_archINS1_11comp_targetILNS1_3genE10ELNS1_11target_archE1201ELNS1_3gpuE5ELNS1_3repE0EEES8_NS1_28merge_sort_block_sort_configILj256ELj4ELNS0_20block_sort_algorithmE0EEENS0_14default_configENS1_37merge_sort_block_sort_config_selectorIjN6thrust23THRUST_200600_302600_NS5tupleIffNSF_9null_typeESH_SH_SH_SH_SH_SH_SH_EEEENS1_38merge_sort_block_merge_config_selectorIjSI_EEEEvv
		.amdhsa_group_segment_fixed_size 0
		.amdhsa_private_segment_fixed_size 0
		.amdhsa_kernarg_size 0
		.amdhsa_user_sgpr_count 4
		.amdhsa_user_sgpr_private_segment_buffer 1
		.amdhsa_user_sgpr_dispatch_ptr 0
		.amdhsa_user_sgpr_queue_ptr 0
		.amdhsa_user_sgpr_kernarg_segment_ptr 0
		.amdhsa_user_sgpr_dispatch_id 0
		.amdhsa_user_sgpr_flat_scratch_init 0
		.amdhsa_user_sgpr_kernarg_preload_length 0
		.amdhsa_user_sgpr_kernarg_preload_offset 0
		.amdhsa_user_sgpr_private_segment_size 0
		.amdhsa_uses_dynamic_stack 0
		.amdhsa_system_sgpr_private_segment_wavefront_offset 0
		.amdhsa_system_sgpr_workgroup_id_x 1
		.amdhsa_system_sgpr_workgroup_id_y 0
		.amdhsa_system_sgpr_workgroup_id_z 0
		.amdhsa_system_sgpr_workgroup_info 0
		.amdhsa_system_vgpr_workitem_id 0
		.amdhsa_next_free_vgpr 1
		.amdhsa_next_free_sgpr 0
		.amdhsa_accum_offset 4
		.amdhsa_reserve_vcc 0
		.amdhsa_reserve_flat_scratch 0
		.amdhsa_float_round_mode_32 0
		.amdhsa_float_round_mode_16_64 0
		.amdhsa_float_denorm_mode_32 3
		.amdhsa_float_denorm_mode_16_64 3
		.amdhsa_dx10_clamp 1
		.amdhsa_ieee_mode 1
		.amdhsa_fp16_overflow 0
		.amdhsa_tg_split 0
		.amdhsa_exception_fp_ieee_invalid_op 0
		.amdhsa_exception_fp_denorm_src 0
		.amdhsa_exception_fp_ieee_div_zero 0
		.amdhsa_exception_fp_ieee_overflow 0
		.amdhsa_exception_fp_ieee_underflow 0
		.amdhsa_exception_fp_ieee_inexact 0
		.amdhsa_exception_int_div_zero 0
	.end_amdhsa_kernel
	.section	.text._ZN7rocprim17ROCPRIM_400000_NS6detail44device_merge_sort_compile_time_verifier_archINS1_11comp_targetILNS1_3genE10ELNS1_11target_archE1201ELNS1_3gpuE5ELNS1_3repE0EEES8_NS1_28merge_sort_block_sort_configILj256ELj4ELNS0_20block_sort_algorithmE0EEENS0_14default_configENS1_37merge_sort_block_sort_config_selectorIjN6thrust23THRUST_200600_302600_NS5tupleIffNSF_9null_typeESH_SH_SH_SH_SH_SH_SH_EEEENS1_38merge_sort_block_merge_config_selectorIjSI_EEEEvv,"axG",@progbits,_ZN7rocprim17ROCPRIM_400000_NS6detail44device_merge_sort_compile_time_verifier_archINS1_11comp_targetILNS1_3genE10ELNS1_11target_archE1201ELNS1_3gpuE5ELNS1_3repE0EEES8_NS1_28merge_sort_block_sort_configILj256ELj4ELNS0_20block_sort_algorithmE0EEENS0_14default_configENS1_37merge_sort_block_sort_config_selectorIjN6thrust23THRUST_200600_302600_NS5tupleIffNSF_9null_typeESH_SH_SH_SH_SH_SH_SH_EEEENS1_38merge_sort_block_merge_config_selectorIjSI_EEEEvv,comdat
.Lfunc_end21:
	.size	_ZN7rocprim17ROCPRIM_400000_NS6detail44device_merge_sort_compile_time_verifier_archINS1_11comp_targetILNS1_3genE10ELNS1_11target_archE1201ELNS1_3gpuE5ELNS1_3repE0EEES8_NS1_28merge_sort_block_sort_configILj256ELj4ELNS0_20block_sort_algorithmE0EEENS0_14default_configENS1_37merge_sort_block_sort_config_selectorIjN6thrust23THRUST_200600_302600_NS5tupleIffNSF_9null_typeESH_SH_SH_SH_SH_SH_SH_EEEENS1_38merge_sort_block_merge_config_selectorIjSI_EEEEvv, .Lfunc_end21-_ZN7rocprim17ROCPRIM_400000_NS6detail44device_merge_sort_compile_time_verifier_archINS1_11comp_targetILNS1_3genE10ELNS1_11target_archE1201ELNS1_3gpuE5ELNS1_3repE0EEES8_NS1_28merge_sort_block_sort_configILj256ELj4ELNS0_20block_sort_algorithmE0EEENS0_14default_configENS1_37merge_sort_block_sort_config_selectorIjN6thrust23THRUST_200600_302600_NS5tupleIffNSF_9null_typeESH_SH_SH_SH_SH_SH_SH_EEEENS1_38merge_sort_block_merge_config_selectorIjSI_EEEEvv
                                        ; -- End function
	.section	.AMDGPU.csdata,"",@progbits
; Kernel info:
; codeLenInByte = 4
; NumSgprs: 4
; NumVgprs: 0
; NumAgprs: 0
; TotalNumVgprs: 0
; ScratchSize: 0
; MemoryBound: 0
; FloatMode: 240
; IeeeMode: 1
; LDSByteSize: 0 bytes/workgroup (compile time only)
; SGPRBlocks: 0
; VGPRBlocks: 0
; NumSGPRsForWavesPerEU: 4
; NumVGPRsForWavesPerEU: 1
; AccumOffset: 4
; Occupancy: 8
; WaveLimiterHint : 0
; COMPUTE_PGM_RSRC2:SCRATCH_EN: 0
; COMPUTE_PGM_RSRC2:USER_SGPR: 4
; COMPUTE_PGM_RSRC2:TRAP_HANDLER: 0
; COMPUTE_PGM_RSRC2:TGID_X_EN: 1
; COMPUTE_PGM_RSRC2:TGID_Y_EN: 0
; COMPUTE_PGM_RSRC2:TGID_Z_EN: 0
; COMPUTE_PGM_RSRC2:TIDIG_COMP_CNT: 0
; COMPUTE_PGM_RSRC3_GFX90A:ACCUM_OFFSET: 0
; COMPUTE_PGM_RSRC3_GFX90A:TG_SPLIT: 0
	.section	.text._ZN7rocprim17ROCPRIM_400000_NS6detail44device_merge_sort_compile_time_verifier_archINS1_11comp_targetILNS1_3genE10ELNS1_11target_archE1200ELNS1_3gpuE4ELNS1_3repE0EEENS3_ILS4_10ELS5_1201ELS6_5ELS7_0EEENS1_28merge_sort_block_sort_configILj256ELj4ELNS0_20block_sort_algorithmE0EEENS0_14default_configENS1_37merge_sort_block_sort_config_selectorIjN6thrust23THRUST_200600_302600_NS5tupleIffNSG_9null_typeESI_SI_SI_SI_SI_SI_SI_EEEENS1_38merge_sort_block_merge_config_selectorIjSJ_EEEEvv,"axG",@progbits,_ZN7rocprim17ROCPRIM_400000_NS6detail44device_merge_sort_compile_time_verifier_archINS1_11comp_targetILNS1_3genE10ELNS1_11target_archE1200ELNS1_3gpuE4ELNS1_3repE0EEENS3_ILS4_10ELS5_1201ELS6_5ELS7_0EEENS1_28merge_sort_block_sort_configILj256ELj4ELNS0_20block_sort_algorithmE0EEENS0_14default_configENS1_37merge_sort_block_sort_config_selectorIjN6thrust23THRUST_200600_302600_NS5tupleIffNSG_9null_typeESI_SI_SI_SI_SI_SI_SI_EEEENS1_38merge_sort_block_merge_config_selectorIjSJ_EEEEvv,comdat
	.protected	_ZN7rocprim17ROCPRIM_400000_NS6detail44device_merge_sort_compile_time_verifier_archINS1_11comp_targetILNS1_3genE10ELNS1_11target_archE1200ELNS1_3gpuE4ELNS1_3repE0EEENS3_ILS4_10ELS5_1201ELS6_5ELS7_0EEENS1_28merge_sort_block_sort_configILj256ELj4ELNS0_20block_sort_algorithmE0EEENS0_14default_configENS1_37merge_sort_block_sort_config_selectorIjN6thrust23THRUST_200600_302600_NS5tupleIffNSG_9null_typeESI_SI_SI_SI_SI_SI_SI_EEEENS1_38merge_sort_block_merge_config_selectorIjSJ_EEEEvv ; -- Begin function _ZN7rocprim17ROCPRIM_400000_NS6detail44device_merge_sort_compile_time_verifier_archINS1_11comp_targetILNS1_3genE10ELNS1_11target_archE1200ELNS1_3gpuE4ELNS1_3repE0EEENS3_ILS4_10ELS5_1201ELS6_5ELS7_0EEENS1_28merge_sort_block_sort_configILj256ELj4ELNS0_20block_sort_algorithmE0EEENS0_14default_configENS1_37merge_sort_block_sort_config_selectorIjN6thrust23THRUST_200600_302600_NS5tupleIffNSG_9null_typeESI_SI_SI_SI_SI_SI_SI_EEEENS1_38merge_sort_block_merge_config_selectorIjSJ_EEEEvv
	.globl	_ZN7rocprim17ROCPRIM_400000_NS6detail44device_merge_sort_compile_time_verifier_archINS1_11comp_targetILNS1_3genE10ELNS1_11target_archE1200ELNS1_3gpuE4ELNS1_3repE0EEENS3_ILS4_10ELS5_1201ELS6_5ELS7_0EEENS1_28merge_sort_block_sort_configILj256ELj4ELNS0_20block_sort_algorithmE0EEENS0_14default_configENS1_37merge_sort_block_sort_config_selectorIjN6thrust23THRUST_200600_302600_NS5tupleIffNSG_9null_typeESI_SI_SI_SI_SI_SI_SI_EEEENS1_38merge_sort_block_merge_config_selectorIjSJ_EEEEvv
	.p2align	8
	.type	_ZN7rocprim17ROCPRIM_400000_NS6detail44device_merge_sort_compile_time_verifier_archINS1_11comp_targetILNS1_3genE10ELNS1_11target_archE1200ELNS1_3gpuE4ELNS1_3repE0EEENS3_ILS4_10ELS5_1201ELS6_5ELS7_0EEENS1_28merge_sort_block_sort_configILj256ELj4ELNS0_20block_sort_algorithmE0EEENS0_14default_configENS1_37merge_sort_block_sort_config_selectorIjN6thrust23THRUST_200600_302600_NS5tupleIffNSG_9null_typeESI_SI_SI_SI_SI_SI_SI_EEEENS1_38merge_sort_block_merge_config_selectorIjSJ_EEEEvv,@function
_ZN7rocprim17ROCPRIM_400000_NS6detail44device_merge_sort_compile_time_verifier_archINS1_11comp_targetILNS1_3genE10ELNS1_11target_archE1200ELNS1_3gpuE4ELNS1_3repE0EEENS3_ILS4_10ELS5_1201ELS6_5ELS7_0EEENS1_28merge_sort_block_sort_configILj256ELj4ELNS0_20block_sort_algorithmE0EEENS0_14default_configENS1_37merge_sort_block_sort_config_selectorIjN6thrust23THRUST_200600_302600_NS5tupleIffNSG_9null_typeESI_SI_SI_SI_SI_SI_SI_EEEENS1_38merge_sort_block_merge_config_selectorIjSJ_EEEEvv: ; @_ZN7rocprim17ROCPRIM_400000_NS6detail44device_merge_sort_compile_time_verifier_archINS1_11comp_targetILNS1_3genE10ELNS1_11target_archE1200ELNS1_3gpuE4ELNS1_3repE0EEENS3_ILS4_10ELS5_1201ELS6_5ELS7_0EEENS1_28merge_sort_block_sort_configILj256ELj4ELNS0_20block_sort_algorithmE0EEENS0_14default_configENS1_37merge_sort_block_sort_config_selectorIjN6thrust23THRUST_200600_302600_NS5tupleIffNSG_9null_typeESI_SI_SI_SI_SI_SI_SI_EEEENS1_38merge_sort_block_merge_config_selectorIjSJ_EEEEvv
; %bb.0:
	s_endpgm
	.section	.rodata,"a",@progbits
	.p2align	6, 0x0
	.amdhsa_kernel _ZN7rocprim17ROCPRIM_400000_NS6detail44device_merge_sort_compile_time_verifier_archINS1_11comp_targetILNS1_3genE10ELNS1_11target_archE1200ELNS1_3gpuE4ELNS1_3repE0EEENS3_ILS4_10ELS5_1201ELS6_5ELS7_0EEENS1_28merge_sort_block_sort_configILj256ELj4ELNS0_20block_sort_algorithmE0EEENS0_14default_configENS1_37merge_sort_block_sort_config_selectorIjN6thrust23THRUST_200600_302600_NS5tupleIffNSG_9null_typeESI_SI_SI_SI_SI_SI_SI_EEEENS1_38merge_sort_block_merge_config_selectorIjSJ_EEEEvv
		.amdhsa_group_segment_fixed_size 0
		.amdhsa_private_segment_fixed_size 0
		.amdhsa_kernarg_size 0
		.amdhsa_user_sgpr_count 4
		.amdhsa_user_sgpr_private_segment_buffer 1
		.amdhsa_user_sgpr_dispatch_ptr 0
		.amdhsa_user_sgpr_queue_ptr 0
		.amdhsa_user_sgpr_kernarg_segment_ptr 0
		.amdhsa_user_sgpr_dispatch_id 0
		.amdhsa_user_sgpr_flat_scratch_init 0
		.amdhsa_user_sgpr_kernarg_preload_length 0
		.amdhsa_user_sgpr_kernarg_preload_offset 0
		.amdhsa_user_sgpr_private_segment_size 0
		.amdhsa_uses_dynamic_stack 0
		.amdhsa_system_sgpr_private_segment_wavefront_offset 0
		.amdhsa_system_sgpr_workgroup_id_x 1
		.amdhsa_system_sgpr_workgroup_id_y 0
		.amdhsa_system_sgpr_workgroup_id_z 0
		.amdhsa_system_sgpr_workgroup_info 0
		.amdhsa_system_vgpr_workitem_id 0
		.amdhsa_next_free_vgpr 1
		.amdhsa_next_free_sgpr 0
		.amdhsa_accum_offset 4
		.amdhsa_reserve_vcc 0
		.amdhsa_reserve_flat_scratch 0
		.amdhsa_float_round_mode_32 0
		.amdhsa_float_round_mode_16_64 0
		.amdhsa_float_denorm_mode_32 3
		.amdhsa_float_denorm_mode_16_64 3
		.amdhsa_dx10_clamp 1
		.amdhsa_ieee_mode 1
		.amdhsa_fp16_overflow 0
		.amdhsa_tg_split 0
		.amdhsa_exception_fp_ieee_invalid_op 0
		.amdhsa_exception_fp_denorm_src 0
		.amdhsa_exception_fp_ieee_div_zero 0
		.amdhsa_exception_fp_ieee_overflow 0
		.amdhsa_exception_fp_ieee_underflow 0
		.amdhsa_exception_fp_ieee_inexact 0
		.amdhsa_exception_int_div_zero 0
	.end_amdhsa_kernel
	.section	.text._ZN7rocprim17ROCPRIM_400000_NS6detail44device_merge_sort_compile_time_verifier_archINS1_11comp_targetILNS1_3genE10ELNS1_11target_archE1200ELNS1_3gpuE4ELNS1_3repE0EEENS3_ILS4_10ELS5_1201ELS6_5ELS7_0EEENS1_28merge_sort_block_sort_configILj256ELj4ELNS0_20block_sort_algorithmE0EEENS0_14default_configENS1_37merge_sort_block_sort_config_selectorIjN6thrust23THRUST_200600_302600_NS5tupleIffNSG_9null_typeESI_SI_SI_SI_SI_SI_SI_EEEENS1_38merge_sort_block_merge_config_selectorIjSJ_EEEEvv,"axG",@progbits,_ZN7rocprim17ROCPRIM_400000_NS6detail44device_merge_sort_compile_time_verifier_archINS1_11comp_targetILNS1_3genE10ELNS1_11target_archE1200ELNS1_3gpuE4ELNS1_3repE0EEENS3_ILS4_10ELS5_1201ELS6_5ELS7_0EEENS1_28merge_sort_block_sort_configILj256ELj4ELNS0_20block_sort_algorithmE0EEENS0_14default_configENS1_37merge_sort_block_sort_config_selectorIjN6thrust23THRUST_200600_302600_NS5tupleIffNSG_9null_typeESI_SI_SI_SI_SI_SI_SI_EEEENS1_38merge_sort_block_merge_config_selectorIjSJ_EEEEvv,comdat
.Lfunc_end22:
	.size	_ZN7rocprim17ROCPRIM_400000_NS6detail44device_merge_sort_compile_time_verifier_archINS1_11comp_targetILNS1_3genE10ELNS1_11target_archE1200ELNS1_3gpuE4ELNS1_3repE0EEENS3_ILS4_10ELS5_1201ELS6_5ELS7_0EEENS1_28merge_sort_block_sort_configILj256ELj4ELNS0_20block_sort_algorithmE0EEENS0_14default_configENS1_37merge_sort_block_sort_config_selectorIjN6thrust23THRUST_200600_302600_NS5tupleIffNSG_9null_typeESI_SI_SI_SI_SI_SI_SI_EEEENS1_38merge_sort_block_merge_config_selectorIjSJ_EEEEvv, .Lfunc_end22-_ZN7rocprim17ROCPRIM_400000_NS6detail44device_merge_sort_compile_time_verifier_archINS1_11comp_targetILNS1_3genE10ELNS1_11target_archE1200ELNS1_3gpuE4ELNS1_3repE0EEENS3_ILS4_10ELS5_1201ELS6_5ELS7_0EEENS1_28merge_sort_block_sort_configILj256ELj4ELNS0_20block_sort_algorithmE0EEENS0_14default_configENS1_37merge_sort_block_sort_config_selectorIjN6thrust23THRUST_200600_302600_NS5tupleIffNSG_9null_typeESI_SI_SI_SI_SI_SI_SI_EEEENS1_38merge_sort_block_merge_config_selectorIjSJ_EEEEvv
                                        ; -- End function
	.section	.AMDGPU.csdata,"",@progbits
; Kernel info:
; codeLenInByte = 4
; NumSgprs: 4
; NumVgprs: 0
; NumAgprs: 0
; TotalNumVgprs: 0
; ScratchSize: 0
; MemoryBound: 0
; FloatMode: 240
; IeeeMode: 1
; LDSByteSize: 0 bytes/workgroup (compile time only)
; SGPRBlocks: 0
; VGPRBlocks: 0
; NumSGPRsForWavesPerEU: 4
; NumVGPRsForWavesPerEU: 1
; AccumOffset: 4
; Occupancy: 8
; WaveLimiterHint : 0
; COMPUTE_PGM_RSRC2:SCRATCH_EN: 0
; COMPUTE_PGM_RSRC2:USER_SGPR: 4
; COMPUTE_PGM_RSRC2:TRAP_HANDLER: 0
; COMPUTE_PGM_RSRC2:TGID_X_EN: 1
; COMPUTE_PGM_RSRC2:TGID_Y_EN: 0
; COMPUTE_PGM_RSRC2:TGID_Z_EN: 0
; COMPUTE_PGM_RSRC2:TIDIG_COMP_CNT: 0
; COMPUTE_PGM_RSRC3_GFX90A:ACCUM_OFFSET: 0
; COMPUTE_PGM_RSRC3_GFX90A:TG_SPLIT: 0
	.section	.text._ZN7rocprim17ROCPRIM_400000_NS6detail44device_merge_sort_compile_time_verifier_archINS1_11comp_targetILNS1_3genE9ELNS1_11target_archE1100ELNS1_3gpuE3ELNS1_3repE0EEES8_NS1_28merge_sort_block_sort_configILj256ELj4ELNS0_20block_sort_algorithmE0EEENS0_14default_configENS1_37merge_sort_block_sort_config_selectorIjN6thrust23THRUST_200600_302600_NS5tupleIffNSF_9null_typeESH_SH_SH_SH_SH_SH_SH_EEEENS1_38merge_sort_block_merge_config_selectorIjSI_EEEEvv,"axG",@progbits,_ZN7rocprim17ROCPRIM_400000_NS6detail44device_merge_sort_compile_time_verifier_archINS1_11comp_targetILNS1_3genE9ELNS1_11target_archE1100ELNS1_3gpuE3ELNS1_3repE0EEES8_NS1_28merge_sort_block_sort_configILj256ELj4ELNS0_20block_sort_algorithmE0EEENS0_14default_configENS1_37merge_sort_block_sort_config_selectorIjN6thrust23THRUST_200600_302600_NS5tupleIffNSF_9null_typeESH_SH_SH_SH_SH_SH_SH_EEEENS1_38merge_sort_block_merge_config_selectorIjSI_EEEEvv,comdat
	.protected	_ZN7rocprim17ROCPRIM_400000_NS6detail44device_merge_sort_compile_time_verifier_archINS1_11comp_targetILNS1_3genE9ELNS1_11target_archE1100ELNS1_3gpuE3ELNS1_3repE0EEES8_NS1_28merge_sort_block_sort_configILj256ELj4ELNS0_20block_sort_algorithmE0EEENS0_14default_configENS1_37merge_sort_block_sort_config_selectorIjN6thrust23THRUST_200600_302600_NS5tupleIffNSF_9null_typeESH_SH_SH_SH_SH_SH_SH_EEEENS1_38merge_sort_block_merge_config_selectorIjSI_EEEEvv ; -- Begin function _ZN7rocprim17ROCPRIM_400000_NS6detail44device_merge_sort_compile_time_verifier_archINS1_11comp_targetILNS1_3genE9ELNS1_11target_archE1100ELNS1_3gpuE3ELNS1_3repE0EEES8_NS1_28merge_sort_block_sort_configILj256ELj4ELNS0_20block_sort_algorithmE0EEENS0_14default_configENS1_37merge_sort_block_sort_config_selectorIjN6thrust23THRUST_200600_302600_NS5tupleIffNSF_9null_typeESH_SH_SH_SH_SH_SH_SH_EEEENS1_38merge_sort_block_merge_config_selectorIjSI_EEEEvv
	.globl	_ZN7rocprim17ROCPRIM_400000_NS6detail44device_merge_sort_compile_time_verifier_archINS1_11comp_targetILNS1_3genE9ELNS1_11target_archE1100ELNS1_3gpuE3ELNS1_3repE0EEES8_NS1_28merge_sort_block_sort_configILj256ELj4ELNS0_20block_sort_algorithmE0EEENS0_14default_configENS1_37merge_sort_block_sort_config_selectorIjN6thrust23THRUST_200600_302600_NS5tupleIffNSF_9null_typeESH_SH_SH_SH_SH_SH_SH_EEEENS1_38merge_sort_block_merge_config_selectorIjSI_EEEEvv
	.p2align	8
	.type	_ZN7rocprim17ROCPRIM_400000_NS6detail44device_merge_sort_compile_time_verifier_archINS1_11comp_targetILNS1_3genE9ELNS1_11target_archE1100ELNS1_3gpuE3ELNS1_3repE0EEES8_NS1_28merge_sort_block_sort_configILj256ELj4ELNS0_20block_sort_algorithmE0EEENS0_14default_configENS1_37merge_sort_block_sort_config_selectorIjN6thrust23THRUST_200600_302600_NS5tupleIffNSF_9null_typeESH_SH_SH_SH_SH_SH_SH_EEEENS1_38merge_sort_block_merge_config_selectorIjSI_EEEEvv,@function
_ZN7rocprim17ROCPRIM_400000_NS6detail44device_merge_sort_compile_time_verifier_archINS1_11comp_targetILNS1_3genE9ELNS1_11target_archE1100ELNS1_3gpuE3ELNS1_3repE0EEES8_NS1_28merge_sort_block_sort_configILj256ELj4ELNS0_20block_sort_algorithmE0EEENS0_14default_configENS1_37merge_sort_block_sort_config_selectorIjN6thrust23THRUST_200600_302600_NS5tupleIffNSF_9null_typeESH_SH_SH_SH_SH_SH_SH_EEEENS1_38merge_sort_block_merge_config_selectorIjSI_EEEEvv: ; @_ZN7rocprim17ROCPRIM_400000_NS6detail44device_merge_sort_compile_time_verifier_archINS1_11comp_targetILNS1_3genE9ELNS1_11target_archE1100ELNS1_3gpuE3ELNS1_3repE0EEES8_NS1_28merge_sort_block_sort_configILj256ELj4ELNS0_20block_sort_algorithmE0EEENS0_14default_configENS1_37merge_sort_block_sort_config_selectorIjN6thrust23THRUST_200600_302600_NS5tupleIffNSF_9null_typeESH_SH_SH_SH_SH_SH_SH_EEEENS1_38merge_sort_block_merge_config_selectorIjSI_EEEEvv
; %bb.0:
	s_endpgm
	.section	.rodata,"a",@progbits
	.p2align	6, 0x0
	.amdhsa_kernel _ZN7rocprim17ROCPRIM_400000_NS6detail44device_merge_sort_compile_time_verifier_archINS1_11comp_targetILNS1_3genE9ELNS1_11target_archE1100ELNS1_3gpuE3ELNS1_3repE0EEES8_NS1_28merge_sort_block_sort_configILj256ELj4ELNS0_20block_sort_algorithmE0EEENS0_14default_configENS1_37merge_sort_block_sort_config_selectorIjN6thrust23THRUST_200600_302600_NS5tupleIffNSF_9null_typeESH_SH_SH_SH_SH_SH_SH_EEEENS1_38merge_sort_block_merge_config_selectorIjSI_EEEEvv
		.amdhsa_group_segment_fixed_size 0
		.amdhsa_private_segment_fixed_size 0
		.amdhsa_kernarg_size 0
		.amdhsa_user_sgpr_count 4
		.amdhsa_user_sgpr_private_segment_buffer 1
		.amdhsa_user_sgpr_dispatch_ptr 0
		.amdhsa_user_sgpr_queue_ptr 0
		.amdhsa_user_sgpr_kernarg_segment_ptr 0
		.amdhsa_user_sgpr_dispatch_id 0
		.amdhsa_user_sgpr_flat_scratch_init 0
		.amdhsa_user_sgpr_kernarg_preload_length 0
		.amdhsa_user_sgpr_kernarg_preload_offset 0
		.amdhsa_user_sgpr_private_segment_size 0
		.amdhsa_uses_dynamic_stack 0
		.amdhsa_system_sgpr_private_segment_wavefront_offset 0
		.amdhsa_system_sgpr_workgroup_id_x 1
		.amdhsa_system_sgpr_workgroup_id_y 0
		.amdhsa_system_sgpr_workgroup_id_z 0
		.amdhsa_system_sgpr_workgroup_info 0
		.amdhsa_system_vgpr_workitem_id 0
		.amdhsa_next_free_vgpr 1
		.amdhsa_next_free_sgpr 0
		.amdhsa_accum_offset 4
		.amdhsa_reserve_vcc 0
		.amdhsa_reserve_flat_scratch 0
		.amdhsa_float_round_mode_32 0
		.amdhsa_float_round_mode_16_64 0
		.amdhsa_float_denorm_mode_32 3
		.amdhsa_float_denorm_mode_16_64 3
		.amdhsa_dx10_clamp 1
		.amdhsa_ieee_mode 1
		.amdhsa_fp16_overflow 0
		.amdhsa_tg_split 0
		.amdhsa_exception_fp_ieee_invalid_op 0
		.amdhsa_exception_fp_denorm_src 0
		.amdhsa_exception_fp_ieee_div_zero 0
		.amdhsa_exception_fp_ieee_overflow 0
		.amdhsa_exception_fp_ieee_underflow 0
		.amdhsa_exception_fp_ieee_inexact 0
		.amdhsa_exception_int_div_zero 0
	.end_amdhsa_kernel
	.section	.text._ZN7rocprim17ROCPRIM_400000_NS6detail44device_merge_sort_compile_time_verifier_archINS1_11comp_targetILNS1_3genE9ELNS1_11target_archE1100ELNS1_3gpuE3ELNS1_3repE0EEES8_NS1_28merge_sort_block_sort_configILj256ELj4ELNS0_20block_sort_algorithmE0EEENS0_14default_configENS1_37merge_sort_block_sort_config_selectorIjN6thrust23THRUST_200600_302600_NS5tupleIffNSF_9null_typeESH_SH_SH_SH_SH_SH_SH_EEEENS1_38merge_sort_block_merge_config_selectorIjSI_EEEEvv,"axG",@progbits,_ZN7rocprim17ROCPRIM_400000_NS6detail44device_merge_sort_compile_time_verifier_archINS1_11comp_targetILNS1_3genE9ELNS1_11target_archE1100ELNS1_3gpuE3ELNS1_3repE0EEES8_NS1_28merge_sort_block_sort_configILj256ELj4ELNS0_20block_sort_algorithmE0EEENS0_14default_configENS1_37merge_sort_block_sort_config_selectorIjN6thrust23THRUST_200600_302600_NS5tupleIffNSF_9null_typeESH_SH_SH_SH_SH_SH_SH_EEEENS1_38merge_sort_block_merge_config_selectorIjSI_EEEEvv,comdat
.Lfunc_end23:
	.size	_ZN7rocprim17ROCPRIM_400000_NS6detail44device_merge_sort_compile_time_verifier_archINS1_11comp_targetILNS1_3genE9ELNS1_11target_archE1100ELNS1_3gpuE3ELNS1_3repE0EEES8_NS1_28merge_sort_block_sort_configILj256ELj4ELNS0_20block_sort_algorithmE0EEENS0_14default_configENS1_37merge_sort_block_sort_config_selectorIjN6thrust23THRUST_200600_302600_NS5tupleIffNSF_9null_typeESH_SH_SH_SH_SH_SH_SH_EEEENS1_38merge_sort_block_merge_config_selectorIjSI_EEEEvv, .Lfunc_end23-_ZN7rocprim17ROCPRIM_400000_NS6detail44device_merge_sort_compile_time_verifier_archINS1_11comp_targetILNS1_3genE9ELNS1_11target_archE1100ELNS1_3gpuE3ELNS1_3repE0EEES8_NS1_28merge_sort_block_sort_configILj256ELj4ELNS0_20block_sort_algorithmE0EEENS0_14default_configENS1_37merge_sort_block_sort_config_selectorIjN6thrust23THRUST_200600_302600_NS5tupleIffNSF_9null_typeESH_SH_SH_SH_SH_SH_SH_EEEENS1_38merge_sort_block_merge_config_selectorIjSI_EEEEvv
                                        ; -- End function
	.section	.AMDGPU.csdata,"",@progbits
; Kernel info:
; codeLenInByte = 4
; NumSgprs: 4
; NumVgprs: 0
; NumAgprs: 0
; TotalNumVgprs: 0
; ScratchSize: 0
; MemoryBound: 0
; FloatMode: 240
; IeeeMode: 1
; LDSByteSize: 0 bytes/workgroup (compile time only)
; SGPRBlocks: 0
; VGPRBlocks: 0
; NumSGPRsForWavesPerEU: 4
; NumVGPRsForWavesPerEU: 1
; AccumOffset: 4
; Occupancy: 8
; WaveLimiterHint : 0
; COMPUTE_PGM_RSRC2:SCRATCH_EN: 0
; COMPUTE_PGM_RSRC2:USER_SGPR: 4
; COMPUTE_PGM_RSRC2:TRAP_HANDLER: 0
; COMPUTE_PGM_RSRC2:TGID_X_EN: 1
; COMPUTE_PGM_RSRC2:TGID_Y_EN: 0
; COMPUTE_PGM_RSRC2:TGID_Z_EN: 0
; COMPUTE_PGM_RSRC2:TIDIG_COMP_CNT: 0
; COMPUTE_PGM_RSRC3_GFX90A:ACCUM_OFFSET: 0
; COMPUTE_PGM_RSRC3_GFX90A:TG_SPLIT: 0
	.section	.text._ZN7rocprim17ROCPRIM_400000_NS6detail44device_merge_sort_compile_time_verifier_archINS1_11comp_targetILNS1_3genE8ELNS1_11target_archE1030ELNS1_3gpuE2ELNS1_3repE0EEES8_NS1_28merge_sort_block_sort_configILj256ELj4ELNS0_20block_sort_algorithmE0EEENS0_14default_configENS1_37merge_sort_block_sort_config_selectorIjN6thrust23THRUST_200600_302600_NS5tupleIffNSF_9null_typeESH_SH_SH_SH_SH_SH_SH_EEEENS1_38merge_sort_block_merge_config_selectorIjSI_EEEEvv,"axG",@progbits,_ZN7rocprim17ROCPRIM_400000_NS6detail44device_merge_sort_compile_time_verifier_archINS1_11comp_targetILNS1_3genE8ELNS1_11target_archE1030ELNS1_3gpuE2ELNS1_3repE0EEES8_NS1_28merge_sort_block_sort_configILj256ELj4ELNS0_20block_sort_algorithmE0EEENS0_14default_configENS1_37merge_sort_block_sort_config_selectorIjN6thrust23THRUST_200600_302600_NS5tupleIffNSF_9null_typeESH_SH_SH_SH_SH_SH_SH_EEEENS1_38merge_sort_block_merge_config_selectorIjSI_EEEEvv,comdat
	.protected	_ZN7rocprim17ROCPRIM_400000_NS6detail44device_merge_sort_compile_time_verifier_archINS1_11comp_targetILNS1_3genE8ELNS1_11target_archE1030ELNS1_3gpuE2ELNS1_3repE0EEES8_NS1_28merge_sort_block_sort_configILj256ELj4ELNS0_20block_sort_algorithmE0EEENS0_14default_configENS1_37merge_sort_block_sort_config_selectorIjN6thrust23THRUST_200600_302600_NS5tupleIffNSF_9null_typeESH_SH_SH_SH_SH_SH_SH_EEEENS1_38merge_sort_block_merge_config_selectorIjSI_EEEEvv ; -- Begin function _ZN7rocprim17ROCPRIM_400000_NS6detail44device_merge_sort_compile_time_verifier_archINS1_11comp_targetILNS1_3genE8ELNS1_11target_archE1030ELNS1_3gpuE2ELNS1_3repE0EEES8_NS1_28merge_sort_block_sort_configILj256ELj4ELNS0_20block_sort_algorithmE0EEENS0_14default_configENS1_37merge_sort_block_sort_config_selectorIjN6thrust23THRUST_200600_302600_NS5tupleIffNSF_9null_typeESH_SH_SH_SH_SH_SH_SH_EEEENS1_38merge_sort_block_merge_config_selectorIjSI_EEEEvv
	.globl	_ZN7rocprim17ROCPRIM_400000_NS6detail44device_merge_sort_compile_time_verifier_archINS1_11comp_targetILNS1_3genE8ELNS1_11target_archE1030ELNS1_3gpuE2ELNS1_3repE0EEES8_NS1_28merge_sort_block_sort_configILj256ELj4ELNS0_20block_sort_algorithmE0EEENS0_14default_configENS1_37merge_sort_block_sort_config_selectorIjN6thrust23THRUST_200600_302600_NS5tupleIffNSF_9null_typeESH_SH_SH_SH_SH_SH_SH_EEEENS1_38merge_sort_block_merge_config_selectorIjSI_EEEEvv
	.p2align	8
	.type	_ZN7rocprim17ROCPRIM_400000_NS6detail44device_merge_sort_compile_time_verifier_archINS1_11comp_targetILNS1_3genE8ELNS1_11target_archE1030ELNS1_3gpuE2ELNS1_3repE0EEES8_NS1_28merge_sort_block_sort_configILj256ELj4ELNS0_20block_sort_algorithmE0EEENS0_14default_configENS1_37merge_sort_block_sort_config_selectorIjN6thrust23THRUST_200600_302600_NS5tupleIffNSF_9null_typeESH_SH_SH_SH_SH_SH_SH_EEEENS1_38merge_sort_block_merge_config_selectorIjSI_EEEEvv,@function
_ZN7rocprim17ROCPRIM_400000_NS6detail44device_merge_sort_compile_time_verifier_archINS1_11comp_targetILNS1_3genE8ELNS1_11target_archE1030ELNS1_3gpuE2ELNS1_3repE0EEES8_NS1_28merge_sort_block_sort_configILj256ELj4ELNS0_20block_sort_algorithmE0EEENS0_14default_configENS1_37merge_sort_block_sort_config_selectorIjN6thrust23THRUST_200600_302600_NS5tupleIffNSF_9null_typeESH_SH_SH_SH_SH_SH_SH_EEEENS1_38merge_sort_block_merge_config_selectorIjSI_EEEEvv: ; @_ZN7rocprim17ROCPRIM_400000_NS6detail44device_merge_sort_compile_time_verifier_archINS1_11comp_targetILNS1_3genE8ELNS1_11target_archE1030ELNS1_3gpuE2ELNS1_3repE0EEES8_NS1_28merge_sort_block_sort_configILj256ELj4ELNS0_20block_sort_algorithmE0EEENS0_14default_configENS1_37merge_sort_block_sort_config_selectorIjN6thrust23THRUST_200600_302600_NS5tupleIffNSF_9null_typeESH_SH_SH_SH_SH_SH_SH_EEEENS1_38merge_sort_block_merge_config_selectorIjSI_EEEEvv
; %bb.0:
	s_endpgm
	.section	.rodata,"a",@progbits
	.p2align	6, 0x0
	.amdhsa_kernel _ZN7rocprim17ROCPRIM_400000_NS6detail44device_merge_sort_compile_time_verifier_archINS1_11comp_targetILNS1_3genE8ELNS1_11target_archE1030ELNS1_3gpuE2ELNS1_3repE0EEES8_NS1_28merge_sort_block_sort_configILj256ELj4ELNS0_20block_sort_algorithmE0EEENS0_14default_configENS1_37merge_sort_block_sort_config_selectorIjN6thrust23THRUST_200600_302600_NS5tupleIffNSF_9null_typeESH_SH_SH_SH_SH_SH_SH_EEEENS1_38merge_sort_block_merge_config_selectorIjSI_EEEEvv
		.amdhsa_group_segment_fixed_size 0
		.amdhsa_private_segment_fixed_size 0
		.amdhsa_kernarg_size 0
		.amdhsa_user_sgpr_count 4
		.amdhsa_user_sgpr_private_segment_buffer 1
		.amdhsa_user_sgpr_dispatch_ptr 0
		.amdhsa_user_sgpr_queue_ptr 0
		.amdhsa_user_sgpr_kernarg_segment_ptr 0
		.amdhsa_user_sgpr_dispatch_id 0
		.amdhsa_user_sgpr_flat_scratch_init 0
		.amdhsa_user_sgpr_kernarg_preload_length 0
		.amdhsa_user_sgpr_kernarg_preload_offset 0
		.amdhsa_user_sgpr_private_segment_size 0
		.amdhsa_uses_dynamic_stack 0
		.amdhsa_system_sgpr_private_segment_wavefront_offset 0
		.amdhsa_system_sgpr_workgroup_id_x 1
		.amdhsa_system_sgpr_workgroup_id_y 0
		.amdhsa_system_sgpr_workgroup_id_z 0
		.amdhsa_system_sgpr_workgroup_info 0
		.amdhsa_system_vgpr_workitem_id 0
		.amdhsa_next_free_vgpr 1
		.amdhsa_next_free_sgpr 0
		.amdhsa_accum_offset 4
		.amdhsa_reserve_vcc 0
		.amdhsa_reserve_flat_scratch 0
		.amdhsa_float_round_mode_32 0
		.amdhsa_float_round_mode_16_64 0
		.amdhsa_float_denorm_mode_32 3
		.amdhsa_float_denorm_mode_16_64 3
		.amdhsa_dx10_clamp 1
		.amdhsa_ieee_mode 1
		.amdhsa_fp16_overflow 0
		.amdhsa_tg_split 0
		.amdhsa_exception_fp_ieee_invalid_op 0
		.amdhsa_exception_fp_denorm_src 0
		.amdhsa_exception_fp_ieee_div_zero 0
		.amdhsa_exception_fp_ieee_overflow 0
		.amdhsa_exception_fp_ieee_underflow 0
		.amdhsa_exception_fp_ieee_inexact 0
		.amdhsa_exception_int_div_zero 0
	.end_amdhsa_kernel
	.section	.text._ZN7rocprim17ROCPRIM_400000_NS6detail44device_merge_sort_compile_time_verifier_archINS1_11comp_targetILNS1_3genE8ELNS1_11target_archE1030ELNS1_3gpuE2ELNS1_3repE0EEES8_NS1_28merge_sort_block_sort_configILj256ELj4ELNS0_20block_sort_algorithmE0EEENS0_14default_configENS1_37merge_sort_block_sort_config_selectorIjN6thrust23THRUST_200600_302600_NS5tupleIffNSF_9null_typeESH_SH_SH_SH_SH_SH_SH_EEEENS1_38merge_sort_block_merge_config_selectorIjSI_EEEEvv,"axG",@progbits,_ZN7rocprim17ROCPRIM_400000_NS6detail44device_merge_sort_compile_time_verifier_archINS1_11comp_targetILNS1_3genE8ELNS1_11target_archE1030ELNS1_3gpuE2ELNS1_3repE0EEES8_NS1_28merge_sort_block_sort_configILj256ELj4ELNS0_20block_sort_algorithmE0EEENS0_14default_configENS1_37merge_sort_block_sort_config_selectorIjN6thrust23THRUST_200600_302600_NS5tupleIffNSF_9null_typeESH_SH_SH_SH_SH_SH_SH_EEEENS1_38merge_sort_block_merge_config_selectorIjSI_EEEEvv,comdat
.Lfunc_end24:
	.size	_ZN7rocprim17ROCPRIM_400000_NS6detail44device_merge_sort_compile_time_verifier_archINS1_11comp_targetILNS1_3genE8ELNS1_11target_archE1030ELNS1_3gpuE2ELNS1_3repE0EEES8_NS1_28merge_sort_block_sort_configILj256ELj4ELNS0_20block_sort_algorithmE0EEENS0_14default_configENS1_37merge_sort_block_sort_config_selectorIjN6thrust23THRUST_200600_302600_NS5tupleIffNSF_9null_typeESH_SH_SH_SH_SH_SH_SH_EEEENS1_38merge_sort_block_merge_config_selectorIjSI_EEEEvv, .Lfunc_end24-_ZN7rocprim17ROCPRIM_400000_NS6detail44device_merge_sort_compile_time_verifier_archINS1_11comp_targetILNS1_3genE8ELNS1_11target_archE1030ELNS1_3gpuE2ELNS1_3repE0EEES8_NS1_28merge_sort_block_sort_configILj256ELj4ELNS0_20block_sort_algorithmE0EEENS0_14default_configENS1_37merge_sort_block_sort_config_selectorIjN6thrust23THRUST_200600_302600_NS5tupleIffNSF_9null_typeESH_SH_SH_SH_SH_SH_SH_EEEENS1_38merge_sort_block_merge_config_selectorIjSI_EEEEvv
                                        ; -- End function
	.section	.AMDGPU.csdata,"",@progbits
; Kernel info:
; codeLenInByte = 4
; NumSgprs: 4
; NumVgprs: 0
; NumAgprs: 0
; TotalNumVgprs: 0
; ScratchSize: 0
; MemoryBound: 0
; FloatMode: 240
; IeeeMode: 1
; LDSByteSize: 0 bytes/workgroup (compile time only)
; SGPRBlocks: 0
; VGPRBlocks: 0
; NumSGPRsForWavesPerEU: 4
; NumVGPRsForWavesPerEU: 1
; AccumOffset: 4
; Occupancy: 8
; WaveLimiterHint : 0
; COMPUTE_PGM_RSRC2:SCRATCH_EN: 0
; COMPUTE_PGM_RSRC2:USER_SGPR: 4
; COMPUTE_PGM_RSRC2:TRAP_HANDLER: 0
; COMPUTE_PGM_RSRC2:TGID_X_EN: 1
; COMPUTE_PGM_RSRC2:TGID_Y_EN: 0
; COMPUTE_PGM_RSRC2:TGID_Z_EN: 0
; COMPUTE_PGM_RSRC2:TIDIG_COMP_CNT: 0
; COMPUTE_PGM_RSRC3_GFX90A:ACCUM_OFFSET: 0
; COMPUTE_PGM_RSRC3_GFX90A:TG_SPLIT: 0
	.section	.text._ZN7rocprim17ROCPRIM_400000_NS6detail17trampoline_kernelINS0_14default_configENS1_38merge_sort_block_merge_config_selectorIjN6thrust23THRUST_200600_302600_NS5tupleIffNS6_9null_typeES8_S8_S8_S8_S8_S8_S8_EEEEZZNS1_27merge_sort_block_merge_implIS3_NS6_6detail15normal_iteratorINS6_10device_ptrIjEEEENSD_INSE_IS9_EEEEjNS1_19radix_merge_compareILb0ELb0EjNS0_19identity_decomposerEEEEE10hipError_tT0_T1_T2_jT3_P12ihipStream_tbPNSt15iterator_traitsISN_E10value_typeEPNST_ISO_E10value_typeEPSP_NS1_7vsmem_tEENKUlT_SN_SO_SP_E_clIPjSG_PS9_SI_EESM_S12_SN_SO_SP_EUlS12_E_NS1_11comp_targetILNS1_3genE0ELNS1_11target_archE4294967295ELNS1_3gpuE0ELNS1_3repE0EEENS1_48merge_mergepath_partition_config_static_selectorELNS0_4arch9wavefront6targetE1EEEvSO_,"axG",@progbits,_ZN7rocprim17ROCPRIM_400000_NS6detail17trampoline_kernelINS0_14default_configENS1_38merge_sort_block_merge_config_selectorIjN6thrust23THRUST_200600_302600_NS5tupleIffNS6_9null_typeES8_S8_S8_S8_S8_S8_S8_EEEEZZNS1_27merge_sort_block_merge_implIS3_NS6_6detail15normal_iteratorINS6_10device_ptrIjEEEENSD_INSE_IS9_EEEEjNS1_19radix_merge_compareILb0ELb0EjNS0_19identity_decomposerEEEEE10hipError_tT0_T1_T2_jT3_P12ihipStream_tbPNSt15iterator_traitsISN_E10value_typeEPNST_ISO_E10value_typeEPSP_NS1_7vsmem_tEENKUlT_SN_SO_SP_E_clIPjSG_PS9_SI_EESM_S12_SN_SO_SP_EUlS12_E_NS1_11comp_targetILNS1_3genE0ELNS1_11target_archE4294967295ELNS1_3gpuE0ELNS1_3repE0EEENS1_48merge_mergepath_partition_config_static_selectorELNS0_4arch9wavefront6targetE1EEEvSO_,comdat
	.protected	_ZN7rocprim17ROCPRIM_400000_NS6detail17trampoline_kernelINS0_14default_configENS1_38merge_sort_block_merge_config_selectorIjN6thrust23THRUST_200600_302600_NS5tupleIffNS6_9null_typeES8_S8_S8_S8_S8_S8_S8_EEEEZZNS1_27merge_sort_block_merge_implIS3_NS6_6detail15normal_iteratorINS6_10device_ptrIjEEEENSD_INSE_IS9_EEEEjNS1_19radix_merge_compareILb0ELb0EjNS0_19identity_decomposerEEEEE10hipError_tT0_T1_T2_jT3_P12ihipStream_tbPNSt15iterator_traitsISN_E10value_typeEPNST_ISO_E10value_typeEPSP_NS1_7vsmem_tEENKUlT_SN_SO_SP_E_clIPjSG_PS9_SI_EESM_S12_SN_SO_SP_EUlS12_E_NS1_11comp_targetILNS1_3genE0ELNS1_11target_archE4294967295ELNS1_3gpuE0ELNS1_3repE0EEENS1_48merge_mergepath_partition_config_static_selectorELNS0_4arch9wavefront6targetE1EEEvSO_ ; -- Begin function _ZN7rocprim17ROCPRIM_400000_NS6detail17trampoline_kernelINS0_14default_configENS1_38merge_sort_block_merge_config_selectorIjN6thrust23THRUST_200600_302600_NS5tupleIffNS6_9null_typeES8_S8_S8_S8_S8_S8_S8_EEEEZZNS1_27merge_sort_block_merge_implIS3_NS6_6detail15normal_iteratorINS6_10device_ptrIjEEEENSD_INSE_IS9_EEEEjNS1_19radix_merge_compareILb0ELb0EjNS0_19identity_decomposerEEEEE10hipError_tT0_T1_T2_jT3_P12ihipStream_tbPNSt15iterator_traitsISN_E10value_typeEPNST_ISO_E10value_typeEPSP_NS1_7vsmem_tEENKUlT_SN_SO_SP_E_clIPjSG_PS9_SI_EESM_S12_SN_SO_SP_EUlS12_E_NS1_11comp_targetILNS1_3genE0ELNS1_11target_archE4294967295ELNS1_3gpuE0ELNS1_3repE0EEENS1_48merge_mergepath_partition_config_static_selectorELNS0_4arch9wavefront6targetE1EEEvSO_
	.globl	_ZN7rocprim17ROCPRIM_400000_NS6detail17trampoline_kernelINS0_14default_configENS1_38merge_sort_block_merge_config_selectorIjN6thrust23THRUST_200600_302600_NS5tupleIffNS6_9null_typeES8_S8_S8_S8_S8_S8_S8_EEEEZZNS1_27merge_sort_block_merge_implIS3_NS6_6detail15normal_iteratorINS6_10device_ptrIjEEEENSD_INSE_IS9_EEEEjNS1_19radix_merge_compareILb0ELb0EjNS0_19identity_decomposerEEEEE10hipError_tT0_T1_T2_jT3_P12ihipStream_tbPNSt15iterator_traitsISN_E10value_typeEPNST_ISO_E10value_typeEPSP_NS1_7vsmem_tEENKUlT_SN_SO_SP_E_clIPjSG_PS9_SI_EESM_S12_SN_SO_SP_EUlS12_E_NS1_11comp_targetILNS1_3genE0ELNS1_11target_archE4294967295ELNS1_3gpuE0ELNS1_3repE0EEENS1_48merge_mergepath_partition_config_static_selectorELNS0_4arch9wavefront6targetE1EEEvSO_
	.p2align	8
	.type	_ZN7rocprim17ROCPRIM_400000_NS6detail17trampoline_kernelINS0_14default_configENS1_38merge_sort_block_merge_config_selectorIjN6thrust23THRUST_200600_302600_NS5tupleIffNS6_9null_typeES8_S8_S8_S8_S8_S8_S8_EEEEZZNS1_27merge_sort_block_merge_implIS3_NS6_6detail15normal_iteratorINS6_10device_ptrIjEEEENSD_INSE_IS9_EEEEjNS1_19radix_merge_compareILb0ELb0EjNS0_19identity_decomposerEEEEE10hipError_tT0_T1_T2_jT3_P12ihipStream_tbPNSt15iterator_traitsISN_E10value_typeEPNST_ISO_E10value_typeEPSP_NS1_7vsmem_tEENKUlT_SN_SO_SP_E_clIPjSG_PS9_SI_EESM_S12_SN_SO_SP_EUlS12_E_NS1_11comp_targetILNS1_3genE0ELNS1_11target_archE4294967295ELNS1_3gpuE0ELNS1_3repE0EEENS1_48merge_mergepath_partition_config_static_selectorELNS0_4arch9wavefront6targetE1EEEvSO_,@function
_ZN7rocprim17ROCPRIM_400000_NS6detail17trampoline_kernelINS0_14default_configENS1_38merge_sort_block_merge_config_selectorIjN6thrust23THRUST_200600_302600_NS5tupleIffNS6_9null_typeES8_S8_S8_S8_S8_S8_S8_EEEEZZNS1_27merge_sort_block_merge_implIS3_NS6_6detail15normal_iteratorINS6_10device_ptrIjEEEENSD_INSE_IS9_EEEEjNS1_19radix_merge_compareILb0ELb0EjNS0_19identity_decomposerEEEEE10hipError_tT0_T1_T2_jT3_P12ihipStream_tbPNSt15iterator_traitsISN_E10value_typeEPNST_ISO_E10value_typeEPSP_NS1_7vsmem_tEENKUlT_SN_SO_SP_E_clIPjSG_PS9_SI_EESM_S12_SN_SO_SP_EUlS12_E_NS1_11comp_targetILNS1_3genE0ELNS1_11target_archE4294967295ELNS1_3gpuE0ELNS1_3repE0EEENS1_48merge_mergepath_partition_config_static_selectorELNS0_4arch9wavefront6targetE1EEEvSO_: ; @_ZN7rocprim17ROCPRIM_400000_NS6detail17trampoline_kernelINS0_14default_configENS1_38merge_sort_block_merge_config_selectorIjN6thrust23THRUST_200600_302600_NS5tupleIffNS6_9null_typeES8_S8_S8_S8_S8_S8_S8_EEEEZZNS1_27merge_sort_block_merge_implIS3_NS6_6detail15normal_iteratorINS6_10device_ptrIjEEEENSD_INSE_IS9_EEEEjNS1_19radix_merge_compareILb0ELb0EjNS0_19identity_decomposerEEEEE10hipError_tT0_T1_T2_jT3_P12ihipStream_tbPNSt15iterator_traitsISN_E10value_typeEPNST_ISO_E10value_typeEPSP_NS1_7vsmem_tEENKUlT_SN_SO_SP_E_clIPjSG_PS9_SI_EESM_S12_SN_SO_SP_EUlS12_E_NS1_11comp_targetILNS1_3genE0ELNS1_11target_archE4294967295ELNS1_3gpuE0ELNS1_3repE0EEENS1_48merge_mergepath_partition_config_static_selectorELNS0_4arch9wavefront6targetE1EEEvSO_
; %bb.0:
	.section	.rodata,"a",@progbits
	.p2align	6, 0x0
	.amdhsa_kernel _ZN7rocprim17ROCPRIM_400000_NS6detail17trampoline_kernelINS0_14default_configENS1_38merge_sort_block_merge_config_selectorIjN6thrust23THRUST_200600_302600_NS5tupleIffNS6_9null_typeES8_S8_S8_S8_S8_S8_S8_EEEEZZNS1_27merge_sort_block_merge_implIS3_NS6_6detail15normal_iteratorINS6_10device_ptrIjEEEENSD_INSE_IS9_EEEEjNS1_19radix_merge_compareILb0ELb0EjNS0_19identity_decomposerEEEEE10hipError_tT0_T1_T2_jT3_P12ihipStream_tbPNSt15iterator_traitsISN_E10value_typeEPNST_ISO_E10value_typeEPSP_NS1_7vsmem_tEENKUlT_SN_SO_SP_E_clIPjSG_PS9_SI_EESM_S12_SN_SO_SP_EUlS12_E_NS1_11comp_targetILNS1_3genE0ELNS1_11target_archE4294967295ELNS1_3gpuE0ELNS1_3repE0EEENS1_48merge_mergepath_partition_config_static_selectorELNS0_4arch9wavefront6targetE1EEEvSO_
		.amdhsa_group_segment_fixed_size 0
		.amdhsa_private_segment_fixed_size 0
		.amdhsa_kernarg_size 40
		.amdhsa_user_sgpr_count 6
		.amdhsa_user_sgpr_private_segment_buffer 1
		.amdhsa_user_sgpr_dispatch_ptr 0
		.amdhsa_user_sgpr_queue_ptr 0
		.amdhsa_user_sgpr_kernarg_segment_ptr 1
		.amdhsa_user_sgpr_dispatch_id 0
		.amdhsa_user_sgpr_flat_scratch_init 0
		.amdhsa_user_sgpr_kernarg_preload_length 0
		.amdhsa_user_sgpr_kernarg_preload_offset 0
		.amdhsa_user_sgpr_private_segment_size 0
		.amdhsa_uses_dynamic_stack 0
		.amdhsa_system_sgpr_private_segment_wavefront_offset 0
		.amdhsa_system_sgpr_workgroup_id_x 1
		.amdhsa_system_sgpr_workgroup_id_y 0
		.amdhsa_system_sgpr_workgroup_id_z 0
		.amdhsa_system_sgpr_workgroup_info 0
		.amdhsa_system_vgpr_workitem_id 0
		.amdhsa_next_free_vgpr 1
		.amdhsa_next_free_sgpr 0
		.amdhsa_accum_offset 4
		.amdhsa_reserve_vcc 0
		.amdhsa_reserve_flat_scratch 0
		.amdhsa_float_round_mode_32 0
		.amdhsa_float_round_mode_16_64 0
		.amdhsa_float_denorm_mode_32 3
		.amdhsa_float_denorm_mode_16_64 3
		.amdhsa_dx10_clamp 1
		.amdhsa_ieee_mode 1
		.amdhsa_fp16_overflow 0
		.amdhsa_tg_split 0
		.amdhsa_exception_fp_ieee_invalid_op 0
		.amdhsa_exception_fp_denorm_src 0
		.amdhsa_exception_fp_ieee_div_zero 0
		.amdhsa_exception_fp_ieee_overflow 0
		.amdhsa_exception_fp_ieee_underflow 0
		.amdhsa_exception_fp_ieee_inexact 0
		.amdhsa_exception_int_div_zero 0
	.end_amdhsa_kernel
	.section	.text._ZN7rocprim17ROCPRIM_400000_NS6detail17trampoline_kernelINS0_14default_configENS1_38merge_sort_block_merge_config_selectorIjN6thrust23THRUST_200600_302600_NS5tupleIffNS6_9null_typeES8_S8_S8_S8_S8_S8_S8_EEEEZZNS1_27merge_sort_block_merge_implIS3_NS6_6detail15normal_iteratorINS6_10device_ptrIjEEEENSD_INSE_IS9_EEEEjNS1_19radix_merge_compareILb0ELb0EjNS0_19identity_decomposerEEEEE10hipError_tT0_T1_T2_jT3_P12ihipStream_tbPNSt15iterator_traitsISN_E10value_typeEPNST_ISO_E10value_typeEPSP_NS1_7vsmem_tEENKUlT_SN_SO_SP_E_clIPjSG_PS9_SI_EESM_S12_SN_SO_SP_EUlS12_E_NS1_11comp_targetILNS1_3genE0ELNS1_11target_archE4294967295ELNS1_3gpuE0ELNS1_3repE0EEENS1_48merge_mergepath_partition_config_static_selectorELNS0_4arch9wavefront6targetE1EEEvSO_,"axG",@progbits,_ZN7rocprim17ROCPRIM_400000_NS6detail17trampoline_kernelINS0_14default_configENS1_38merge_sort_block_merge_config_selectorIjN6thrust23THRUST_200600_302600_NS5tupleIffNS6_9null_typeES8_S8_S8_S8_S8_S8_S8_EEEEZZNS1_27merge_sort_block_merge_implIS3_NS6_6detail15normal_iteratorINS6_10device_ptrIjEEEENSD_INSE_IS9_EEEEjNS1_19radix_merge_compareILb0ELb0EjNS0_19identity_decomposerEEEEE10hipError_tT0_T1_T2_jT3_P12ihipStream_tbPNSt15iterator_traitsISN_E10value_typeEPNST_ISO_E10value_typeEPSP_NS1_7vsmem_tEENKUlT_SN_SO_SP_E_clIPjSG_PS9_SI_EESM_S12_SN_SO_SP_EUlS12_E_NS1_11comp_targetILNS1_3genE0ELNS1_11target_archE4294967295ELNS1_3gpuE0ELNS1_3repE0EEENS1_48merge_mergepath_partition_config_static_selectorELNS0_4arch9wavefront6targetE1EEEvSO_,comdat
.Lfunc_end25:
	.size	_ZN7rocprim17ROCPRIM_400000_NS6detail17trampoline_kernelINS0_14default_configENS1_38merge_sort_block_merge_config_selectorIjN6thrust23THRUST_200600_302600_NS5tupleIffNS6_9null_typeES8_S8_S8_S8_S8_S8_S8_EEEEZZNS1_27merge_sort_block_merge_implIS3_NS6_6detail15normal_iteratorINS6_10device_ptrIjEEEENSD_INSE_IS9_EEEEjNS1_19radix_merge_compareILb0ELb0EjNS0_19identity_decomposerEEEEE10hipError_tT0_T1_T2_jT3_P12ihipStream_tbPNSt15iterator_traitsISN_E10value_typeEPNST_ISO_E10value_typeEPSP_NS1_7vsmem_tEENKUlT_SN_SO_SP_E_clIPjSG_PS9_SI_EESM_S12_SN_SO_SP_EUlS12_E_NS1_11comp_targetILNS1_3genE0ELNS1_11target_archE4294967295ELNS1_3gpuE0ELNS1_3repE0EEENS1_48merge_mergepath_partition_config_static_selectorELNS0_4arch9wavefront6targetE1EEEvSO_, .Lfunc_end25-_ZN7rocprim17ROCPRIM_400000_NS6detail17trampoline_kernelINS0_14default_configENS1_38merge_sort_block_merge_config_selectorIjN6thrust23THRUST_200600_302600_NS5tupleIffNS6_9null_typeES8_S8_S8_S8_S8_S8_S8_EEEEZZNS1_27merge_sort_block_merge_implIS3_NS6_6detail15normal_iteratorINS6_10device_ptrIjEEEENSD_INSE_IS9_EEEEjNS1_19radix_merge_compareILb0ELb0EjNS0_19identity_decomposerEEEEE10hipError_tT0_T1_T2_jT3_P12ihipStream_tbPNSt15iterator_traitsISN_E10value_typeEPNST_ISO_E10value_typeEPSP_NS1_7vsmem_tEENKUlT_SN_SO_SP_E_clIPjSG_PS9_SI_EESM_S12_SN_SO_SP_EUlS12_E_NS1_11comp_targetILNS1_3genE0ELNS1_11target_archE4294967295ELNS1_3gpuE0ELNS1_3repE0EEENS1_48merge_mergepath_partition_config_static_selectorELNS0_4arch9wavefront6targetE1EEEvSO_
                                        ; -- End function
	.section	.AMDGPU.csdata,"",@progbits
; Kernel info:
; codeLenInByte = 0
; NumSgprs: 4
; NumVgprs: 0
; NumAgprs: 0
; TotalNumVgprs: 0
; ScratchSize: 0
; MemoryBound: 0
; FloatMode: 240
; IeeeMode: 1
; LDSByteSize: 0 bytes/workgroup (compile time only)
; SGPRBlocks: 0
; VGPRBlocks: 0
; NumSGPRsForWavesPerEU: 4
; NumVGPRsForWavesPerEU: 1
; AccumOffset: 4
; Occupancy: 8
; WaveLimiterHint : 0
; COMPUTE_PGM_RSRC2:SCRATCH_EN: 0
; COMPUTE_PGM_RSRC2:USER_SGPR: 6
; COMPUTE_PGM_RSRC2:TRAP_HANDLER: 0
; COMPUTE_PGM_RSRC2:TGID_X_EN: 1
; COMPUTE_PGM_RSRC2:TGID_Y_EN: 0
; COMPUTE_PGM_RSRC2:TGID_Z_EN: 0
; COMPUTE_PGM_RSRC2:TIDIG_COMP_CNT: 0
; COMPUTE_PGM_RSRC3_GFX90A:ACCUM_OFFSET: 0
; COMPUTE_PGM_RSRC3_GFX90A:TG_SPLIT: 0
	.section	.text._ZN7rocprim17ROCPRIM_400000_NS6detail17trampoline_kernelINS0_14default_configENS1_38merge_sort_block_merge_config_selectorIjN6thrust23THRUST_200600_302600_NS5tupleIffNS6_9null_typeES8_S8_S8_S8_S8_S8_S8_EEEEZZNS1_27merge_sort_block_merge_implIS3_NS6_6detail15normal_iteratorINS6_10device_ptrIjEEEENSD_INSE_IS9_EEEEjNS1_19radix_merge_compareILb0ELb0EjNS0_19identity_decomposerEEEEE10hipError_tT0_T1_T2_jT3_P12ihipStream_tbPNSt15iterator_traitsISN_E10value_typeEPNST_ISO_E10value_typeEPSP_NS1_7vsmem_tEENKUlT_SN_SO_SP_E_clIPjSG_PS9_SI_EESM_S12_SN_SO_SP_EUlS12_E_NS1_11comp_targetILNS1_3genE10ELNS1_11target_archE1201ELNS1_3gpuE5ELNS1_3repE0EEENS1_48merge_mergepath_partition_config_static_selectorELNS0_4arch9wavefront6targetE1EEEvSO_,"axG",@progbits,_ZN7rocprim17ROCPRIM_400000_NS6detail17trampoline_kernelINS0_14default_configENS1_38merge_sort_block_merge_config_selectorIjN6thrust23THRUST_200600_302600_NS5tupleIffNS6_9null_typeES8_S8_S8_S8_S8_S8_S8_EEEEZZNS1_27merge_sort_block_merge_implIS3_NS6_6detail15normal_iteratorINS6_10device_ptrIjEEEENSD_INSE_IS9_EEEEjNS1_19radix_merge_compareILb0ELb0EjNS0_19identity_decomposerEEEEE10hipError_tT0_T1_T2_jT3_P12ihipStream_tbPNSt15iterator_traitsISN_E10value_typeEPNST_ISO_E10value_typeEPSP_NS1_7vsmem_tEENKUlT_SN_SO_SP_E_clIPjSG_PS9_SI_EESM_S12_SN_SO_SP_EUlS12_E_NS1_11comp_targetILNS1_3genE10ELNS1_11target_archE1201ELNS1_3gpuE5ELNS1_3repE0EEENS1_48merge_mergepath_partition_config_static_selectorELNS0_4arch9wavefront6targetE1EEEvSO_,comdat
	.protected	_ZN7rocprim17ROCPRIM_400000_NS6detail17trampoline_kernelINS0_14default_configENS1_38merge_sort_block_merge_config_selectorIjN6thrust23THRUST_200600_302600_NS5tupleIffNS6_9null_typeES8_S8_S8_S8_S8_S8_S8_EEEEZZNS1_27merge_sort_block_merge_implIS3_NS6_6detail15normal_iteratorINS6_10device_ptrIjEEEENSD_INSE_IS9_EEEEjNS1_19radix_merge_compareILb0ELb0EjNS0_19identity_decomposerEEEEE10hipError_tT0_T1_T2_jT3_P12ihipStream_tbPNSt15iterator_traitsISN_E10value_typeEPNST_ISO_E10value_typeEPSP_NS1_7vsmem_tEENKUlT_SN_SO_SP_E_clIPjSG_PS9_SI_EESM_S12_SN_SO_SP_EUlS12_E_NS1_11comp_targetILNS1_3genE10ELNS1_11target_archE1201ELNS1_3gpuE5ELNS1_3repE0EEENS1_48merge_mergepath_partition_config_static_selectorELNS0_4arch9wavefront6targetE1EEEvSO_ ; -- Begin function _ZN7rocprim17ROCPRIM_400000_NS6detail17trampoline_kernelINS0_14default_configENS1_38merge_sort_block_merge_config_selectorIjN6thrust23THRUST_200600_302600_NS5tupleIffNS6_9null_typeES8_S8_S8_S8_S8_S8_S8_EEEEZZNS1_27merge_sort_block_merge_implIS3_NS6_6detail15normal_iteratorINS6_10device_ptrIjEEEENSD_INSE_IS9_EEEEjNS1_19radix_merge_compareILb0ELb0EjNS0_19identity_decomposerEEEEE10hipError_tT0_T1_T2_jT3_P12ihipStream_tbPNSt15iterator_traitsISN_E10value_typeEPNST_ISO_E10value_typeEPSP_NS1_7vsmem_tEENKUlT_SN_SO_SP_E_clIPjSG_PS9_SI_EESM_S12_SN_SO_SP_EUlS12_E_NS1_11comp_targetILNS1_3genE10ELNS1_11target_archE1201ELNS1_3gpuE5ELNS1_3repE0EEENS1_48merge_mergepath_partition_config_static_selectorELNS0_4arch9wavefront6targetE1EEEvSO_
	.globl	_ZN7rocprim17ROCPRIM_400000_NS6detail17trampoline_kernelINS0_14default_configENS1_38merge_sort_block_merge_config_selectorIjN6thrust23THRUST_200600_302600_NS5tupleIffNS6_9null_typeES8_S8_S8_S8_S8_S8_S8_EEEEZZNS1_27merge_sort_block_merge_implIS3_NS6_6detail15normal_iteratorINS6_10device_ptrIjEEEENSD_INSE_IS9_EEEEjNS1_19radix_merge_compareILb0ELb0EjNS0_19identity_decomposerEEEEE10hipError_tT0_T1_T2_jT3_P12ihipStream_tbPNSt15iterator_traitsISN_E10value_typeEPNST_ISO_E10value_typeEPSP_NS1_7vsmem_tEENKUlT_SN_SO_SP_E_clIPjSG_PS9_SI_EESM_S12_SN_SO_SP_EUlS12_E_NS1_11comp_targetILNS1_3genE10ELNS1_11target_archE1201ELNS1_3gpuE5ELNS1_3repE0EEENS1_48merge_mergepath_partition_config_static_selectorELNS0_4arch9wavefront6targetE1EEEvSO_
	.p2align	8
	.type	_ZN7rocprim17ROCPRIM_400000_NS6detail17trampoline_kernelINS0_14default_configENS1_38merge_sort_block_merge_config_selectorIjN6thrust23THRUST_200600_302600_NS5tupleIffNS6_9null_typeES8_S8_S8_S8_S8_S8_S8_EEEEZZNS1_27merge_sort_block_merge_implIS3_NS6_6detail15normal_iteratorINS6_10device_ptrIjEEEENSD_INSE_IS9_EEEEjNS1_19radix_merge_compareILb0ELb0EjNS0_19identity_decomposerEEEEE10hipError_tT0_T1_T2_jT3_P12ihipStream_tbPNSt15iterator_traitsISN_E10value_typeEPNST_ISO_E10value_typeEPSP_NS1_7vsmem_tEENKUlT_SN_SO_SP_E_clIPjSG_PS9_SI_EESM_S12_SN_SO_SP_EUlS12_E_NS1_11comp_targetILNS1_3genE10ELNS1_11target_archE1201ELNS1_3gpuE5ELNS1_3repE0EEENS1_48merge_mergepath_partition_config_static_selectorELNS0_4arch9wavefront6targetE1EEEvSO_,@function
_ZN7rocprim17ROCPRIM_400000_NS6detail17trampoline_kernelINS0_14default_configENS1_38merge_sort_block_merge_config_selectorIjN6thrust23THRUST_200600_302600_NS5tupleIffNS6_9null_typeES8_S8_S8_S8_S8_S8_S8_EEEEZZNS1_27merge_sort_block_merge_implIS3_NS6_6detail15normal_iteratorINS6_10device_ptrIjEEEENSD_INSE_IS9_EEEEjNS1_19radix_merge_compareILb0ELb0EjNS0_19identity_decomposerEEEEE10hipError_tT0_T1_T2_jT3_P12ihipStream_tbPNSt15iterator_traitsISN_E10value_typeEPNST_ISO_E10value_typeEPSP_NS1_7vsmem_tEENKUlT_SN_SO_SP_E_clIPjSG_PS9_SI_EESM_S12_SN_SO_SP_EUlS12_E_NS1_11comp_targetILNS1_3genE10ELNS1_11target_archE1201ELNS1_3gpuE5ELNS1_3repE0EEENS1_48merge_mergepath_partition_config_static_selectorELNS0_4arch9wavefront6targetE1EEEvSO_: ; @_ZN7rocprim17ROCPRIM_400000_NS6detail17trampoline_kernelINS0_14default_configENS1_38merge_sort_block_merge_config_selectorIjN6thrust23THRUST_200600_302600_NS5tupleIffNS6_9null_typeES8_S8_S8_S8_S8_S8_S8_EEEEZZNS1_27merge_sort_block_merge_implIS3_NS6_6detail15normal_iteratorINS6_10device_ptrIjEEEENSD_INSE_IS9_EEEEjNS1_19radix_merge_compareILb0ELb0EjNS0_19identity_decomposerEEEEE10hipError_tT0_T1_T2_jT3_P12ihipStream_tbPNSt15iterator_traitsISN_E10value_typeEPNST_ISO_E10value_typeEPSP_NS1_7vsmem_tEENKUlT_SN_SO_SP_E_clIPjSG_PS9_SI_EESM_S12_SN_SO_SP_EUlS12_E_NS1_11comp_targetILNS1_3genE10ELNS1_11target_archE1201ELNS1_3gpuE5ELNS1_3repE0EEENS1_48merge_mergepath_partition_config_static_selectorELNS0_4arch9wavefront6targetE1EEEvSO_
; %bb.0:
	.section	.rodata,"a",@progbits
	.p2align	6, 0x0
	.amdhsa_kernel _ZN7rocprim17ROCPRIM_400000_NS6detail17trampoline_kernelINS0_14default_configENS1_38merge_sort_block_merge_config_selectorIjN6thrust23THRUST_200600_302600_NS5tupleIffNS6_9null_typeES8_S8_S8_S8_S8_S8_S8_EEEEZZNS1_27merge_sort_block_merge_implIS3_NS6_6detail15normal_iteratorINS6_10device_ptrIjEEEENSD_INSE_IS9_EEEEjNS1_19radix_merge_compareILb0ELb0EjNS0_19identity_decomposerEEEEE10hipError_tT0_T1_T2_jT3_P12ihipStream_tbPNSt15iterator_traitsISN_E10value_typeEPNST_ISO_E10value_typeEPSP_NS1_7vsmem_tEENKUlT_SN_SO_SP_E_clIPjSG_PS9_SI_EESM_S12_SN_SO_SP_EUlS12_E_NS1_11comp_targetILNS1_3genE10ELNS1_11target_archE1201ELNS1_3gpuE5ELNS1_3repE0EEENS1_48merge_mergepath_partition_config_static_selectorELNS0_4arch9wavefront6targetE1EEEvSO_
		.amdhsa_group_segment_fixed_size 0
		.amdhsa_private_segment_fixed_size 0
		.amdhsa_kernarg_size 40
		.amdhsa_user_sgpr_count 6
		.amdhsa_user_sgpr_private_segment_buffer 1
		.amdhsa_user_sgpr_dispatch_ptr 0
		.amdhsa_user_sgpr_queue_ptr 0
		.amdhsa_user_sgpr_kernarg_segment_ptr 1
		.amdhsa_user_sgpr_dispatch_id 0
		.amdhsa_user_sgpr_flat_scratch_init 0
		.amdhsa_user_sgpr_kernarg_preload_length 0
		.amdhsa_user_sgpr_kernarg_preload_offset 0
		.amdhsa_user_sgpr_private_segment_size 0
		.amdhsa_uses_dynamic_stack 0
		.amdhsa_system_sgpr_private_segment_wavefront_offset 0
		.amdhsa_system_sgpr_workgroup_id_x 1
		.amdhsa_system_sgpr_workgroup_id_y 0
		.amdhsa_system_sgpr_workgroup_id_z 0
		.amdhsa_system_sgpr_workgroup_info 0
		.amdhsa_system_vgpr_workitem_id 0
		.amdhsa_next_free_vgpr 1
		.amdhsa_next_free_sgpr 0
		.amdhsa_accum_offset 4
		.amdhsa_reserve_vcc 0
		.amdhsa_reserve_flat_scratch 0
		.amdhsa_float_round_mode_32 0
		.amdhsa_float_round_mode_16_64 0
		.amdhsa_float_denorm_mode_32 3
		.amdhsa_float_denorm_mode_16_64 3
		.amdhsa_dx10_clamp 1
		.amdhsa_ieee_mode 1
		.amdhsa_fp16_overflow 0
		.amdhsa_tg_split 0
		.amdhsa_exception_fp_ieee_invalid_op 0
		.amdhsa_exception_fp_denorm_src 0
		.amdhsa_exception_fp_ieee_div_zero 0
		.amdhsa_exception_fp_ieee_overflow 0
		.amdhsa_exception_fp_ieee_underflow 0
		.amdhsa_exception_fp_ieee_inexact 0
		.amdhsa_exception_int_div_zero 0
	.end_amdhsa_kernel
	.section	.text._ZN7rocprim17ROCPRIM_400000_NS6detail17trampoline_kernelINS0_14default_configENS1_38merge_sort_block_merge_config_selectorIjN6thrust23THRUST_200600_302600_NS5tupleIffNS6_9null_typeES8_S8_S8_S8_S8_S8_S8_EEEEZZNS1_27merge_sort_block_merge_implIS3_NS6_6detail15normal_iteratorINS6_10device_ptrIjEEEENSD_INSE_IS9_EEEEjNS1_19radix_merge_compareILb0ELb0EjNS0_19identity_decomposerEEEEE10hipError_tT0_T1_T2_jT3_P12ihipStream_tbPNSt15iterator_traitsISN_E10value_typeEPNST_ISO_E10value_typeEPSP_NS1_7vsmem_tEENKUlT_SN_SO_SP_E_clIPjSG_PS9_SI_EESM_S12_SN_SO_SP_EUlS12_E_NS1_11comp_targetILNS1_3genE10ELNS1_11target_archE1201ELNS1_3gpuE5ELNS1_3repE0EEENS1_48merge_mergepath_partition_config_static_selectorELNS0_4arch9wavefront6targetE1EEEvSO_,"axG",@progbits,_ZN7rocprim17ROCPRIM_400000_NS6detail17trampoline_kernelINS0_14default_configENS1_38merge_sort_block_merge_config_selectorIjN6thrust23THRUST_200600_302600_NS5tupleIffNS6_9null_typeES8_S8_S8_S8_S8_S8_S8_EEEEZZNS1_27merge_sort_block_merge_implIS3_NS6_6detail15normal_iteratorINS6_10device_ptrIjEEEENSD_INSE_IS9_EEEEjNS1_19radix_merge_compareILb0ELb0EjNS0_19identity_decomposerEEEEE10hipError_tT0_T1_T2_jT3_P12ihipStream_tbPNSt15iterator_traitsISN_E10value_typeEPNST_ISO_E10value_typeEPSP_NS1_7vsmem_tEENKUlT_SN_SO_SP_E_clIPjSG_PS9_SI_EESM_S12_SN_SO_SP_EUlS12_E_NS1_11comp_targetILNS1_3genE10ELNS1_11target_archE1201ELNS1_3gpuE5ELNS1_3repE0EEENS1_48merge_mergepath_partition_config_static_selectorELNS0_4arch9wavefront6targetE1EEEvSO_,comdat
.Lfunc_end26:
	.size	_ZN7rocprim17ROCPRIM_400000_NS6detail17trampoline_kernelINS0_14default_configENS1_38merge_sort_block_merge_config_selectorIjN6thrust23THRUST_200600_302600_NS5tupleIffNS6_9null_typeES8_S8_S8_S8_S8_S8_S8_EEEEZZNS1_27merge_sort_block_merge_implIS3_NS6_6detail15normal_iteratorINS6_10device_ptrIjEEEENSD_INSE_IS9_EEEEjNS1_19radix_merge_compareILb0ELb0EjNS0_19identity_decomposerEEEEE10hipError_tT0_T1_T2_jT3_P12ihipStream_tbPNSt15iterator_traitsISN_E10value_typeEPNST_ISO_E10value_typeEPSP_NS1_7vsmem_tEENKUlT_SN_SO_SP_E_clIPjSG_PS9_SI_EESM_S12_SN_SO_SP_EUlS12_E_NS1_11comp_targetILNS1_3genE10ELNS1_11target_archE1201ELNS1_3gpuE5ELNS1_3repE0EEENS1_48merge_mergepath_partition_config_static_selectorELNS0_4arch9wavefront6targetE1EEEvSO_, .Lfunc_end26-_ZN7rocprim17ROCPRIM_400000_NS6detail17trampoline_kernelINS0_14default_configENS1_38merge_sort_block_merge_config_selectorIjN6thrust23THRUST_200600_302600_NS5tupleIffNS6_9null_typeES8_S8_S8_S8_S8_S8_S8_EEEEZZNS1_27merge_sort_block_merge_implIS3_NS6_6detail15normal_iteratorINS6_10device_ptrIjEEEENSD_INSE_IS9_EEEEjNS1_19radix_merge_compareILb0ELb0EjNS0_19identity_decomposerEEEEE10hipError_tT0_T1_T2_jT3_P12ihipStream_tbPNSt15iterator_traitsISN_E10value_typeEPNST_ISO_E10value_typeEPSP_NS1_7vsmem_tEENKUlT_SN_SO_SP_E_clIPjSG_PS9_SI_EESM_S12_SN_SO_SP_EUlS12_E_NS1_11comp_targetILNS1_3genE10ELNS1_11target_archE1201ELNS1_3gpuE5ELNS1_3repE0EEENS1_48merge_mergepath_partition_config_static_selectorELNS0_4arch9wavefront6targetE1EEEvSO_
                                        ; -- End function
	.section	.AMDGPU.csdata,"",@progbits
; Kernel info:
; codeLenInByte = 0
; NumSgprs: 4
; NumVgprs: 0
; NumAgprs: 0
; TotalNumVgprs: 0
; ScratchSize: 0
; MemoryBound: 0
; FloatMode: 240
; IeeeMode: 1
; LDSByteSize: 0 bytes/workgroup (compile time only)
; SGPRBlocks: 0
; VGPRBlocks: 0
; NumSGPRsForWavesPerEU: 4
; NumVGPRsForWavesPerEU: 1
; AccumOffset: 4
; Occupancy: 8
; WaveLimiterHint : 0
; COMPUTE_PGM_RSRC2:SCRATCH_EN: 0
; COMPUTE_PGM_RSRC2:USER_SGPR: 6
; COMPUTE_PGM_RSRC2:TRAP_HANDLER: 0
; COMPUTE_PGM_RSRC2:TGID_X_EN: 1
; COMPUTE_PGM_RSRC2:TGID_Y_EN: 0
; COMPUTE_PGM_RSRC2:TGID_Z_EN: 0
; COMPUTE_PGM_RSRC2:TIDIG_COMP_CNT: 0
; COMPUTE_PGM_RSRC3_GFX90A:ACCUM_OFFSET: 0
; COMPUTE_PGM_RSRC3_GFX90A:TG_SPLIT: 0
	.section	.text._ZN7rocprim17ROCPRIM_400000_NS6detail17trampoline_kernelINS0_14default_configENS1_38merge_sort_block_merge_config_selectorIjN6thrust23THRUST_200600_302600_NS5tupleIffNS6_9null_typeES8_S8_S8_S8_S8_S8_S8_EEEEZZNS1_27merge_sort_block_merge_implIS3_NS6_6detail15normal_iteratorINS6_10device_ptrIjEEEENSD_INSE_IS9_EEEEjNS1_19radix_merge_compareILb0ELb0EjNS0_19identity_decomposerEEEEE10hipError_tT0_T1_T2_jT3_P12ihipStream_tbPNSt15iterator_traitsISN_E10value_typeEPNST_ISO_E10value_typeEPSP_NS1_7vsmem_tEENKUlT_SN_SO_SP_E_clIPjSG_PS9_SI_EESM_S12_SN_SO_SP_EUlS12_E_NS1_11comp_targetILNS1_3genE5ELNS1_11target_archE942ELNS1_3gpuE9ELNS1_3repE0EEENS1_48merge_mergepath_partition_config_static_selectorELNS0_4arch9wavefront6targetE1EEEvSO_,"axG",@progbits,_ZN7rocprim17ROCPRIM_400000_NS6detail17trampoline_kernelINS0_14default_configENS1_38merge_sort_block_merge_config_selectorIjN6thrust23THRUST_200600_302600_NS5tupleIffNS6_9null_typeES8_S8_S8_S8_S8_S8_S8_EEEEZZNS1_27merge_sort_block_merge_implIS3_NS6_6detail15normal_iteratorINS6_10device_ptrIjEEEENSD_INSE_IS9_EEEEjNS1_19radix_merge_compareILb0ELb0EjNS0_19identity_decomposerEEEEE10hipError_tT0_T1_T2_jT3_P12ihipStream_tbPNSt15iterator_traitsISN_E10value_typeEPNST_ISO_E10value_typeEPSP_NS1_7vsmem_tEENKUlT_SN_SO_SP_E_clIPjSG_PS9_SI_EESM_S12_SN_SO_SP_EUlS12_E_NS1_11comp_targetILNS1_3genE5ELNS1_11target_archE942ELNS1_3gpuE9ELNS1_3repE0EEENS1_48merge_mergepath_partition_config_static_selectorELNS0_4arch9wavefront6targetE1EEEvSO_,comdat
	.protected	_ZN7rocprim17ROCPRIM_400000_NS6detail17trampoline_kernelINS0_14default_configENS1_38merge_sort_block_merge_config_selectorIjN6thrust23THRUST_200600_302600_NS5tupleIffNS6_9null_typeES8_S8_S8_S8_S8_S8_S8_EEEEZZNS1_27merge_sort_block_merge_implIS3_NS6_6detail15normal_iteratorINS6_10device_ptrIjEEEENSD_INSE_IS9_EEEEjNS1_19radix_merge_compareILb0ELb0EjNS0_19identity_decomposerEEEEE10hipError_tT0_T1_T2_jT3_P12ihipStream_tbPNSt15iterator_traitsISN_E10value_typeEPNST_ISO_E10value_typeEPSP_NS1_7vsmem_tEENKUlT_SN_SO_SP_E_clIPjSG_PS9_SI_EESM_S12_SN_SO_SP_EUlS12_E_NS1_11comp_targetILNS1_3genE5ELNS1_11target_archE942ELNS1_3gpuE9ELNS1_3repE0EEENS1_48merge_mergepath_partition_config_static_selectorELNS0_4arch9wavefront6targetE1EEEvSO_ ; -- Begin function _ZN7rocprim17ROCPRIM_400000_NS6detail17trampoline_kernelINS0_14default_configENS1_38merge_sort_block_merge_config_selectorIjN6thrust23THRUST_200600_302600_NS5tupleIffNS6_9null_typeES8_S8_S8_S8_S8_S8_S8_EEEEZZNS1_27merge_sort_block_merge_implIS3_NS6_6detail15normal_iteratorINS6_10device_ptrIjEEEENSD_INSE_IS9_EEEEjNS1_19radix_merge_compareILb0ELb0EjNS0_19identity_decomposerEEEEE10hipError_tT0_T1_T2_jT3_P12ihipStream_tbPNSt15iterator_traitsISN_E10value_typeEPNST_ISO_E10value_typeEPSP_NS1_7vsmem_tEENKUlT_SN_SO_SP_E_clIPjSG_PS9_SI_EESM_S12_SN_SO_SP_EUlS12_E_NS1_11comp_targetILNS1_3genE5ELNS1_11target_archE942ELNS1_3gpuE9ELNS1_3repE0EEENS1_48merge_mergepath_partition_config_static_selectorELNS0_4arch9wavefront6targetE1EEEvSO_
	.globl	_ZN7rocprim17ROCPRIM_400000_NS6detail17trampoline_kernelINS0_14default_configENS1_38merge_sort_block_merge_config_selectorIjN6thrust23THRUST_200600_302600_NS5tupleIffNS6_9null_typeES8_S8_S8_S8_S8_S8_S8_EEEEZZNS1_27merge_sort_block_merge_implIS3_NS6_6detail15normal_iteratorINS6_10device_ptrIjEEEENSD_INSE_IS9_EEEEjNS1_19radix_merge_compareILb0ELb0EjNS0_19identity_decomposerEEEEE10hipError_tT0_T1_T2_jT3_P12ihipStream_tbPNSt15iterator_traitsISN_E10value_typeEPNST_ISO_E10value_typeEPSP_NS1_7vsmem_tEENKUlT_SN_SO_SP_E_clIPjSG_PS9_SI_EESM_S12_SN_SO_SP_EUlS12_E_NS1_11comp_targetILNS1_3genE5ELNS1_11target_archE942ELNS1_3gpuE9ELNS1_3repE0EEENS1_48merge_mergepath_partition_config_static_selectorELNS0_4arch9wavefront6targetE1EEEvSO_
	.p2align	8
	.type	_ZN7rocprim17ROCPRIM_400000_NS6detail17trampoline_kernelINS0_14default_configENS1_38merge_sort_block_merge_config_selectorIjN6thrust23THRUST_200600_302600_NS5tupleIffNS6_9null_typeES8_S8_S8_S8_S8_S8_S8_EEEEZZNS1_27merge_sort_block_merge_implIS3_NS6_6detail15normal_iteratorINS6_10device_ptrIjEEEENSD_INSE_IS9_EEEEjNS1_19radix_merge_compareILb0ELb0EjNS0_19identity_decomposerEEEEE10hipError_tT0_T1_T2_jT3_P12ihipStream_tbPNSt15iterator_traitsISN_E10value_typeEPNST_ISO_E10value_typeEPSP_NS1_7vsmem_tEENKUlT_SN_SO_SP_E_clIPjSG_PS9_SI_EESM_S12_SN_SO_SP_EUlS12_E_NS1_11comp_targetILNS1_3genE5ELNS1_11target_archE942ELNS1_3gpuE9ELNS1_3repE0EEENS1_48merge_mergepath_partition_config_static_selectorELNS0_4arch9wavefront6targetE1EEEvSO_,@function
_ZN7rocprim17ROCPRIM_400000_NS6detail17trampoline_kernelINS0_14default_configENS1_38merge_sort_block_merge_config_selectorIjN6thrust23THRUST_200600_302600_NS5tupleIffNS6_9null_typeES8_S8_S8_S8_S8_S8_S8_EEEEZZNS1_27merge_sort_block_merge_implIS3_NS6_6detail15normal_iteratorINS6_10device_ptrIjEEEENSD_INSE_IS9_EEEEjNS1_19radix_merge_compareILb0ELb0EjNS0_19identity_decomposerEEEEE10hipError_tT0_T1_T2_jT3_P12ihipStream_tbPNSt15iterator_traitsISN_E10value_typeEPNST_ISO_E10value_typeEPSP_NS1_7vsmem_tEENKUlT_SN_SO_SP_E_clIPjSG_PS9_SI_EESM_S12_SN_SO_SP_EUlS12_E_NS1_11comp_targetILNS1_3genE5ELNS1_11target_archE942ELNS1_3gpuE9ELNS1_3repE0EEENS1_48merge_mergepath_partition_config_static_selectorELNS0_4arch9wavefront6targetE1EEEvSO_: ; @_ZN7rocprim17ROCPRIM_400000_NS6detail17trampoline_kernelINS0_14default_configENS1_38merge_sort_block_merge_config_selectorIjN6thrust23THRUST_200600_302600_NS5tupleIffNS6_9null_typeES8_S8_S8_S8_S8_S8_S8_EEEEZZNS1_27merge_sort_block_merge_implIS3_NS6_6detail15normal_iteratorINS6_10device_ptrIjEEEENSD_INSE_IS9_EEEEjNS1_19radix_merge_compareILb0ELb0EjNS0_19identity_decomposerEEEEE10hipError_tT0_T1_T2_jT3_P12ihipStream_tbPNSt15iterator_traitsISN_E10value_typeEPNST_ISO_E10value_typeEPSP_NS1_7vsmem_tEENKUlT_SN_SO_SP_E_clIPjSG_PS9_SI_EESM_S12_SN_SO_SP_EUlS12_E_NS1_11comp_targetILNS1_3genE5ELNS1_11target_archE942ELNS1_3gpuE9ELNS1_3repE0EEENS1_48merge_mergepath_partition_config_static_selectorELNS0_4arch9wavefront6targetE1EEEvSO_
; %bb.0:
	.section	.rodata,"a",@progbits
	.p2align	6, 0x0
	.amdhsa_kernel _ZN7rocprim17ROCPRIM_400000_NS6detail17trampoline_kernelINS0_14default_configENS1_38merge_sort_block_merge_config_selectorIjN6thrust23THRUST_200600_302600_NS5tupleIffNS6_9null_typeES8_S8_S8_S8_S8_S8_S8_EEEEZZNS1_27merge_sort_block_merge_implIS3_NS6_6detail15normal_iteratorINS6_10device_ptrIjEEEENSD_INSE_IS9_EEEEjNS1_19radix_merge_compareILb0ELb0EjNS0_19identity_decomposerEEEEE10hipError_tT0_T1_T2_jT3_P12ihipStream_tbPNSt15iterator_traitsISN_E10value_typeEPNST_ISO_E10value_typeEPSP_NS1_7vsmem_tEENKUlT_SN_SO_SP_E_clIPjSG_PS9_SI_EESM_S12_SN_SO_SP_EUlS12_E_NS1_11comp_targetILNS1_3genE5ELNS1_11target_archE942ELNS1_3gpuE9ELNS1_3repE0EEENS1_48merge_mergepath_partition_config_static_selectorELNS0_4arch9wavefront6targetE1EEEvSO_
		.amdhsa_group_segment_fixed_size 0
		.amdhsa_private_segment_fixed_size 0
		.amdhsa_kernarg_size 40
		.amdhsa_user_sgpr_count 6
		.amdhsa_user_sgpr_private_segment_buffer 1
		.amdhsa_user_sgpr_dispatch_ptr 0
		.amdhsa_user_sgpr_queue_ptr 0
		.amdhsa_user_sgpr_kernarg_segment_ptr 1
		.amdhsa_user_sgpr_dispatch_id 0
		.amdhsa_user_sgpr_flat_scratch_init 0
		.amdhsa_user_sgpr_kernarg_preload_length 0
		.amdhsa_user_sgpr_kernarg_preload_offset 0
		.amdhsa_user_sgpr_private_segment_size 0
		.amdhsa_uses_dynamic_stack 0
		.amdhsa_system_sgpr_private_segment_wavefront_offset 0
		.amdhsa_system_sgpr_workgroup_id_x 1
		.amdhsa_system_sgpr_workgroup_id_y 0
		.amdhsa_system_sgpr_workgroup_id_z 0
		.amdhsa_system_sgpr_workgroup_info 0
		.amdhsa_system_vgpr_workitem_id 0
		.amdhsa_next_free_vgpr 1
		.amdhsa_next_free_sgpr 0
		.amdhsa_accum_offset 4
		.amdhsa_reserve_vcc 0
		.amdhsa_reserve_flat_scratch 0
		.amdhsa_float_round_mode_32 0
		.amdhsa_float_round_mode_16_64 0
		.amdhsa_float_denorm_mode_32 3
		.amdhsa_float_denorm_mode_16_64 3
		.amdhsa_dx10_clamp 1
		.amdhsa_ieee_mode 1
		.amdhsa_fp16_overflow 0
		.amdhsa_tg_split 0
		.amdhsa_exception_fp_ieee_invalid_op 0
		.amdhsa_exception_fp_denorm_src 0
		.amdhsa_exception_fp_ieee_div_zero 0
		.amdhsa_exception_fp_ieee_overflow 0
		.amdhsa_exception_fp_ieee_underflow 0
		.amdhsa_exception_fp_ieee_inexact 0
		.amdhsa_exception_int_div_zero 0
	.end_amdhsa_kernel
	.section	.text._ZN7rocprim17ROCPRIM_400000_NS6detail17trampoline_kernelINS0_14default_configENS1_38merge_sort_block_merge_config_selectorIjN6thrust23THRUST_200600_302600_NS5tupleIffNS6_9null_typeES8_S8_S8_S8_S8_S8_S8_EEEEZZNS1_27merge_sort_block_merge_implIS3_NS6_6detail15normal_iteratorINS6_10device_ptrIjEEEENSD_INSE_IS9_EEEEjNS1_19radix_merge_compareILb0ELb0EjNS0_19identity_decomposerEEEEE10hipError_tT0_T1_T2_jT3_P12ihipStream_tbPNSt15iterator_traitsISN_E10value_typeEPNST_ISO_E10value_typeEPSP_NS1_7vsmem_tEENKUlT_SN_SO_SP_E_clIPjSG_PS9_SI_EESM_S12_SN_SO_SP_EUlS12_E_NS1_11comp_targetILNS1_3genE5ELNS1_11target_archE942ELNS1_3gpuE9ELNS1_3repE0EEENS1_48merge_mergepath_partition_config_static_selectorELNS0_4arch9wavefront6targetE1EEEvSO_,"axG",@progbits,_ZN7rocprim17ROCPRIM_400000_NS6detail17trampoline_kernelINS0_14default_configENS1_38merge_sort_block_merge_config_selectorIjN6thrust23THRUST_200600_302600_NS5tupleIffNS6_9null_typeES8_S8_S8_S8_S8_S8_S8_EEEEZZNS1_27merge_sort_block_merge_implIS3_NS6_6detail15normal_iteratorINS6_10device_ptrIjEEEENSD_INSE_IS9_EEEEjNS1_19radix_merge_compareILb0ELb0EjNS0_19identity_decomposerEEEEE10hipError_tT0_T1_T2_jT3_P12ihipStream_tbPNSt15iterator_traitsISN_E10value_typeEPNST_ISO_E10value_typeEPSP_NS1_7vsmem_tEENKUlT_SN_SO_SP_E_clIPjSG_PS9_SI_EESM_S12_SN_SO_SP_EUlS12_E_NS1_11comp_targetILNS1_3genE5ELNS1_11target_archE942ELNS1_3gpuE9ELNS1_3repE0EEENS1_48merge_mergepath_partition_config_static_selectorELNS0_4arch9wavefront6targetE1EEEvSO_,comdat
.Lfunc_end27:
	.size	_ZN7rocprim17ROCPRIM_400000_NS6detail17trampoline_kernelINS0_14default_configENS1_38merge_sort_block_merge_config_selectorIjN6thrust23THRUST_200600_302600_NS5tupleIffNS6_9null_typeES8_S8_S8_S8_S8_S8_S8_EEEEZZNS1_27merge_sort_block_merge_implIS3_NS6_6detail15normal_iteratorINS6_10device_ptrIjEEEENSD_INSE_IS9_EEEEjNS1_19radix_merge_compareILb0ELb0EjNS0_19identity_decomposerEEEEE10hipError_tT0_T1_T2_jT3_P12ihipStream_tbPNSt15iterator_traitsISN_E10value_typeEPNST_ISO_E10value_typeEPSP_NS1_7vsmem_tEENKUlT_SN_SO_SP_E_clIPjSG_PS9_SI_EESM_S12_SN_SO_SP_EUlS12_E_NS1_11comp_targetILNS1_3genE5ELNS1_11target_archE942ELNS1_3gpuE9ELNS1_3repE0EEENS1_48merge_mergepath_partition_config_static_selectorELNS0_4arch9wavefront6targetE1EEEvSO_, .Lfunc_end27-_ZN7rocprim17ROCPRIM_400000_NS6detail17trampoline_kernelINS0_14default_configENS1_38merge_sort_block_merge_config_selectorIjN6thrust23THRUST_200600_302600_NS5tupleIffNS6_9null_typeES8_S8_S8_S8_S8_S8_S8_EEEEZZNS1_27merge_sort_block_merge_implIS3_NS6_6detail15normal_iteratorINS6_10device_ptrIjEEEENSD_INSE_IS9_EEEEjNS1_19radix_merge_compareILb0ELb0EjNS0_19identity_decomposerEEEEE10hipError_tT0_T1_T2_jT3_P12ihipStream_tbPNSt15iterator_traitsISN_E10value_typeEPNST_ISO_E10value_typeEPSP_NS1_7vsmem_tEENKUlT_SN_SO_SP_E_clIPjSG_PS9_SI_EESM_S12_SN_SO_SP_EUlS12_E_NS1_11comp_targetILNS1_3genE5ELNS1_11target_archE942ELNS1_3gpuE9ELNS1_3repE0EEENS1_48merge_mergepath_partition_config_static_selectorELNS0_4arch9wavefront6targetE1EEEvSO_
                                        ; -- End function
	.section	.AMDGPU.csdata,"",@progbits
; Kernel info:
; codeLenInByte = 0
; NumSgprs: 4
; NumVgprs: 0
; NumAgprs: 0
; TotalNumVgprs: 0
; ScratchSize: 0
; MemoryBound: 0
; FloatMode: 240
; IeeeMode: 1
; LDSByteSize: 0 bytes/workgroup (compile time only)
; SGPRBlocks: 0
; VGPRBlocks: 0
; NumSGPRsForWavesPerEU: 4
; NumVGPRsForWavesPerEU: 1
; AccumOffset: 4
; Occupancy: 8
; WaveLimiterHint : 0
; COMPUTE_PGM_RSRC2:SCRATCH_EN: 0
; COMPUTE_PGM_RSRC2:USER_SGPR: 6
; COMPUTE_PGM_RSRC2:TRAP_HANDLER: 0
; COMPUTE_PGM_RSRC2:TGID_X_EN: 1
; COMPUTE_PGM_RSRC2:TGID_Y_EN: 0
; COMPUTE_PGM_RSRC2:TGID_Z_EN: 0
; COMPUTE_PGM_RSRC2:TIDIG_COMP_CNT: 0
; COMPUTE_PGM_RSRC3_GFX90A:ACCUM_OFFSET: 0
; COMPUTE_PGM_RSRC3_GFX90A:TG_SPLIT: 0
	.section	.text._ZN7rocprim17ROCPRIM_400000_NS6detail17trampoline_kernelINS0_14default_configENS1_38merge_sort_block_merge_config_selectorIjN6thrust23THRUST_200600_302600_NS5tupleIffNS6_9null_typeES8_S8_S8_S8_S8_S8_S8_EEEEZZNS1_27merge_sort_block_merge_implIS3_NS6_6detail15normal_iteratorINS6_10device_ptrIjEEEENSD_INSE_IS9_EEEEjNS1_19radix_merge_compareILb0ELb0EjNS0_19identity_decomposerEEEEE10hipError_tT0_T1_T2_jT3_P12ihipStream_tbPNSt15iterator_traitsISN_E10value_typeEPNST_ISO_E10value_typeEPSP_NS1_7vsmem_tEENKUlT_SN_SO_SP_E_clIPjSG_PS9_SI_EESM_S12_SN_SO_SP_EUlS12_E_NS1_11comp_targetILNS1_3genE4ELNS1_11target_archE910ELNS1_3gpuE8ELNS1_3repE0EEENS1_48merge_mergepath_partition_config_static_selectorELNS0_4arch9wavefront6targetE1EEEvSO_,"axG",@progbits,_ZN7rocprim17ROCPRIM_400000_NS6detail17trampoline_kernelINS0_14default_configENS1_38merge_sort_block_merge_config_selectorIjN6thrust23THRUST_200600_302600_NS5tupleIffNS6_9null_typeES8_S8_S8_S8_S8_S8_S8_EEEEZZNS1_27merge_sort_block_merge_implIS3_NS6_6detail15normal_iteratorINS6_10device_ptrIjEEEENSD_INSE_IS9_EEEEjNS1_19radix_merge_compareILb0ELb0EjNS0_19identity_decomposerEEEEE10hipError_tT0_T1_T2_jT3_P12ihipStream_tbPNSt15iterator_traitsISN_E10value_typeEPNST_ISO_E10value_typeEPSP_NS1_7vsmem_tEENKUlT_SN_SO_SP_E_clIPjSG_PS9_SI_EESM_S12_SN_SO_SP_EUlS12_E_NS1_11comp_targetILNS1_3genE4ELNS1_11target_archE910ELNS1_3gpuE8ELNS1_3repE0EEENS1_48merge_mergepath_partition_config_static_selectorELNS0_4arch9wavefront6targetE1EEEvSO_,comdat
	.protected	_ZN7rocprim17ROCPRIM_400000_NS6detail17trampoline_kernelINS0_14default_configENS1_38merge_sort_block_merge_config_selectorIjN6thrust23THRUST_200600_302600_NS5tupleIffNS6_9null_typeES8_S8_S8_S8_S8_S8_S8_EEEEZZNS1_27merge_sort_block_merge_implIS3_NS6_6detail15normal_iteratorINS6_10device_ptrIjEEEENSD_INSE_IS9_EEEEjNS1_19radix_merge_compareILb0ELb0EjNS0_19identity_decomposerEEEEE10hipError_tT0_T1_T2_jT3_P12ihipStream_tbPNSt15iterator_traitsISN_E10value_typeEPNST_ISO_E10value_typeEPSP_NS1_7vsmem_tEENKUlT_SN_SO_SP_E_clIPjSG_PS9_SI_EESM_S12_SN_SO_SP_EUlS12_E_NS1_11comp_targetILNS1_3genE4ELNS1_11target_archE910ELNS1_3gpuE8ELNS1_3repE0EEENS1_48merge_mergepath_partition_config_static_selectorELNS0_4arch9wavefront6targetE1EEEvSO_ ; -- Begin function _ZN7rocprim17ROCPRIM_400000_NS6detail17trampoline_kernelINS0_14default_configENS1_38merge_sort_block_merge_config_selectorIjN6thrust23THRUST_200600_302600_NS5tupleIffNS6_9null_typeES8_S8_S8_S8_S8_S8_S8_EEEEZZNS1_27merge_sort_block_merge_implIS3_NS6_6detail15normal_iteratorINS6_10device_ptrIjEEEENSD_INSE_IS9_EEEEjNS1_19radix_merge_compareILb0ELb0EjNS0_19identity_decomposerEEEEE10hipError_tT0_T1_T2_jT3_P12ihipStream_tbPNSt15iterator_traitsISN_E10value_typeEPNST_ISO_E10value_typeEPSP_NS1_7vsmem_tEENKUlT_SN_SO_SP_E_clIPjSG_PS9_SI_EESM_S12_SN_SO_SP_EUlS12_E_NS1_11comp_targetILNS1_3genE4ELNS1_11target_archE910ELNS1_3gpuE8ELNS1_3repE0EEENS1_48merge_mergepath_partition_config_static_selectorELNS0_4arch9wavefront6targetE1EEEvSO_
	.globl	_ZN7rocprim17ROCPRIM_400000_NS6detail17trampoline_kernelINS0_14default_configENS1_38merge_sort_block_merge_config_selectorIjN6thrust23THRUST_200600_302600_NS5tupleIffNS6_9null_typeES8_S8_S8_S8_S8_S8_S8_EEEEZZNS1_27merge_sort_block_merge_implIS3_NS6_6detail15normal_iteratorINS6_10device_ptrIjEEEENSD_INSE_IS9_EEEEjNS1_19radix_merge_compareILb0ELb0EjNS0_19identity_decomposerEEEEE10hipError_tT0_T1_T2_jT3_P12ihipStream_tbPNSt15iterator_traitsISN_E10value_typeEPNST_ISO_E10value_typeEPSP_NS1_7vsmem_tEENKUlT_SN_SO_SP_E_clIPjSG_PS9_SI_EESM_S12_SN_SO_SP_EUlS12_E_NS1_11comp_targetILNS1_3genE4ELNS1_11target_archE910ELNS1_3gpuE8ELNS1_3repE0EEENS1_48merge_mergepath_partition_config_static_selectorELNS0_4arch9wavefront6targetE1EEEvSO_
	.p2align	8
	.type	_ZN7rocprim17ROCPRIM_400000_NS6detail17trampoline_kernelINS0_14default_configENS1_38merge_sort_block_merge_config_selectorIjN6thrust23THRUST_200600_302600_NS5tupleIffNS6_9null_typeES8_S8_S8_S8_S8_S8_S8_EEEEZZNS1_27merge_sort_block_merge_implIS3_NS6_6detail15normal_iteratorINS6_10device_ptrIjEEEENSD_INSE_IS9_EEEEjNS1_19radix_merge_compareILb0ELb0EjNS0_19identity_decomposerEEEEE10hipError_tT0_T1_T2_jT3_P12ihipStream_tbPNSt15iterator_traitsISN_E10value_typeEPNST_ISO_E10value_typeEPSP_NS1_7vsmem_tEENKUlT_SN_SO_SP_E_clIPjSG_PS9_SI_EESM_S12_SN_SO_SP_EUlS12_E_NS1_11comp_targetILNS1_3genE4ELNS1_11target_archE910ELNS1_3gpuE8ELNS1_3repE0EEENS1_48merge_mergepath_partition_config_static_selectorELNS0_4arch9wavefront6targetE1EEEvSO_,@function
_ZN7rocprim17ROCPRIM_400000_NS6detail17trampoline_kernelINS0_14default_configENS1_38merge_sort_block_merge_config_selectorIjN6thrust23THRUST_200600_302600_NS5tupleIffNS6_9null_typeES8_S8_S8_S8_S8_S8_S8_EEEEZZNS1_27merge_sort_block_merge_implIS3_NS6_6detail15normal_iteratorINS6_10device_ptrIjEEEENSD_INSE_IS9_EEEEjNS1_19radix_merge_compareILb0ELb0EjNS0_19identity_decomposerEEEEE10hipError_tT0_T1_T2_jT3_P12ihipStream_tbPNSt15iterator_traitsISN_E10value_typeEPNST_ISO_E10value_typeEPSP_NS1_7vsmem_tEENKUlT_SN_SO_SP_E_clIPjSG_PS9_SI_EESM_S12_SN_SO_SP_EUlS12_E_NS1_11comp_targetILNS1_3genE4ELNS1_11target_archE910ELNS1_3gpuE8ELNS1_3repE0EEENS1_48merge_mergepath_partition_config_static_selectorELNS0_4arch9wavefront6targetE1EEEvSO_: ; @_ZN7rocprim17ROCPRIM_400000_NS6detail17trampoline_kernelINS0_14default_configENS1_38merge_sort_block_merge_config_selectorIjN6thrust23THRUST_200600_302600_NS5tupleIffNS6_9null_typeES8_S8_S8_S8_S8_S8_S8_EEEEZZNS1_27merge_sort_block_merge_implIS3_NS6_6detail15normal_iteratorINS6_10device_ptrIjEEEENSD_INSE_IS9_EEEEjNS1_19radix_merge_compareILb0ELb0EjNS0_19identity_decomposerEEEEE10hipError_tT0_T1_T2_jT3_P12ihipStream_tbPNSt15iterator_traitsISN_E10value_typeEPNST_ISO_E10value_typeEPSP_NS1_7vsmem_tEENKUlT_SN_SO_SP_E_clIPjSG_PS9_SI_EESM_S12_SN_SO_SP_EUlS12_E_NS1_11comp_targetILNS1_3genE4ELNS1_11target_archE910ELNS1_3gpuE8ELNS1_3repE0EEENS1_48merge_mergepath_partition_config_static_selectorELNS0_4arch9wavefront6targetE1EEEvSO_
; %bb.0:
	s_load_dword s0, s[4:5], 0x0
	v_lshl_or_b32 v0, s6, 7, v0
	s_waitcnt lgkmcnt(0)
	v_cmp_gt_u32_e32 vcc, s0, v0
	s_and_saveexec_b64 s[0:1], vcc
	s_cbranch_execz .LBB28_6
; %bb.1:
	s_load_dwordx2 s[2:3], s[4:5], 0x4
	s_load_dwordx2 s[0:1], s[4:5], 0x20
	s_waitcnt lgkmcnt(0)
	s_lshr_b32 s6, s2, 9
	s_and_b32 s6, s6, 0x7ffffe
	s_add_i32 s7, s6, -1
	s_sub_i32 s6, 0, s6
	v_and_b32_e32 v1, s6, v0
	v_lshlrev_b32_e32 v1, 10, v1
	v_min_u32_e32 v2, s3, v1
	v_add_u32_e32 v1, s2, v1
	v_min_u32_e32 v4, s3, v1
	v_add_u32_e32 v1, s2, v4
	v_and_b32_e32 v3, s7, v0
	v_min_u32_e32 v1, s3, v1
	v_sub_u32_e32 v5, v1, v2
	v_lshlrev_b32_e32 v3, 10, v3
	v_min_u32_e32 v6, v5, v3
	v_sub_u32_e32 v3, v4, v2
	v_sub_u32_e32 v1, v1, v4
	v_sub_u32_e64 v1, v6, v1 clamp
	v_min_u32_e32 v7, v6, v3
	v_cmp_lt_u32_e32 vcc, v1, v7
	s_and_saveexec_b64 s[2:3], vcc
	s_cbranch_execz .LBB28_5
; %bb.2:
	s_load_dwordx2 s[4:5], s[4:5], 0x10
	v_mov_b32_e32 v5, 0
	v_mov_b32_e32 v3, v5
	v_lshlrev_b64 v[8:9], 2, v[2:3]
	v_lshlrev_b64 v[10:11], 2, v[4:5]
	s_waitcnt lgkmcnt(0)
	v_mov_b32_e32 v12, s5
	v_add_co_u32_e32 v3, vcc, s4, v8
	v_addc_co_u32_e32 v8, vcc, v12, v9, vcc
	v_add_co_u32_e32 v9, vcc, s4, v10
	v_addc_co_u32_e32 v10, vcc, v12, v11, vcc
	s_mov_b64 s[4:5], 0
.LBB28_3:                               ; =>This Inner Loop Header: Depth=1
	v_add_u32_e32 v4, v7, v1
	v_lshrrev_b32_e32 v4, 1, v4
	v_lshlrev_b64 v[14:15], 2, v[4:5]
	v_mov_b32_e32 v13, v5
	v_xad_u32 v12, v4, -1, v6
	v_add_co_u32_e32 v14, vcc, v3, v14
	v_addc_co_u32_e32 v15, vcc, v8, v15, vcc
	v_lshlrev_b64 v[12:13], 2, v[12:13]
	v_add_co_u32_e32 v12, vcc, v9, v12
	v_addc_co_u32_e32 v13, vcc, v10, v13, vcc
	global_load_dword v11, v[14:15], off
	global_load_dword v16, v[12:13], off
	v_add_u32_e32 v12, 1, v4
	s_waitcnt vmcnt(0)
	v_cmp_gt_u32_e32 vcc, v11, v16
	v_cndmask_b32_e32 v7, v7, v4, vcc
	v_cndmask_b32_e32 v1, v12, v1, vcc
	v_cmp_ge_u32_e32 vcc, v1, v7
	s_or_b64 s[4:5], vcc, s[4:5]
	s_andn2_b64 exec, exec, s[4:5]
	s_cbranch_execnz .LBB28_3
; %bb.4:
	s_or_b64 exec, exec, s[4:5]
.LBB28_5:
	s_or_b64 exec, exec, s[2:3]
	v_add_u32_e32 v2, v1, v2
	v_mov_b32_e32 v1, 0
	v_lshlrev_b64 v[0:1], 2, v[0:1]
	v_mov_b32_e32 v3, s1
	v_add_co_u32_e32 v0, vcc, s0, v0
	v_addc_co_u32_e32 v1, vcc, v3, v1, vcc
	global_store_dword v[0:1], v2, off
.LBB28_6:
	s_endpgm
	.section	.rodata,"a",@progbits
	.p2align	6, 0x0
	.amdhsa_kernel _ZN7rocprim17ROCPRIM_400000_NS6detail17trampoline_kernelINS0_14default_configENS1_38merge_sort_block_merge_config_selectorIjN6thrust23THRUST_200600_302600_NS5tupleIffNS6_9null_typeES8_S8_S8_S8_S8_S8_S8_EEEEZZNS1_27merge_sort_block_merge_implIS3_NS6_6detail15normal_iteratorINS6_10device_ptrIjEEEENSD_INSE_IS9_EEEEjNS1_19radix_merge_compareILb0ELb0EjNS0_19identity_decomposerEEEEE10hipError_tT0_T1_T2_jT3_P12ihipStream_tbPNSt15iterator_traitsISN_E10value_typeEPNST_ISO_E10value_typeEPSP_NS1_7vsmem_tEENKUlT_SN_SO_SP_E_clIPjSG_PS9_SI_EESM_S12_SN_SO_SP_EUlS12_E_NS1_11comp_targetILNS1_3genE4ELNS1_11target_archE910ELNS1_3gpuE8ELNS1_3repE0EEENS1_48merge_mergepath_partition_config_static_selectorELNS0_4arch9wavefront6targetE1EEEvSO_
		.amdhsa_group_segment_fixed_size 0
		.amdhsa_private_segment_fixed_size 0
		.amdhsa_kernarg_size 40
		.amdhsa_user_sgpr_count 6
		.amdhsa_user_sgpr_private_segment_buffer 1
		.amdhsa_user_sgpr_dispatch_ptr 0
		.amdhsa_user_sgpr_queue_ptr 0
		.amdhsa_user_sgpr_kernarg_segment_ptr 1
		.amdhsa_user_sgpr_dispatch_id 0
		.amdhsa_user_sgpr_flat_scratch_init 0
		.amdhsa_user_sgpr_kernarg_preload_length 0
		.amdhsa_user_sgpr_kernarg_preload_offset 0
		.amdhsa_user_sgpr_private_segment_size 0
		.amdhsa_uses_dynamic_stack 0
		.amdhsa_system_sgpr_private_segment_wavefront_offset 0
		.amdhsa_system_sgpr_workgroup_id_x 1
		.amdhsa_system_sgpr_workgroup_id_y 0
		.amdhsa_system_sgpr_workgroup_id_z 0
		.amdhsa_system_sgpr_workgroup_info 0
		.amdhsa_system_vgpr_workitem_id 0
		.amdhsa_next_free_vgpr 17
		.amdhsa_next_free_sgpr 8
		.amdhsa_accum_offset 20
		.amdhsa_reserve_vcc 1
		.amdhsa_reserve_flat_scratch 0
		.amdhsa_float_round_mode_32 0
		.amdhsa_float_round_mode_16_64 0
		.amdhsa_float_denorm_mode_32 3
		.amdhsa_float_denorm_mode_16_64 3
		.amdhsa_dx10_clamp 1
		.amdhsa_ieee_mode 1
		.amdhsa_fp16_overflow 0
		.amdhsa_tg_split 0
		.amdhsa_exception_fp_ieee_invalid_op 0
		.amdhsa_exception_fp_denorm_src 0
		.amdhsa_exception_fp_ieee_div_zero 0
		.amdhsa_exception_fp_ieee_overflow 0
		.amdhsa_exception_fp_ieee_underflow 0
		.amdhsa_exception_fp_ieee_inexact 0
		.amdhsa_exception_int_div_zero 0
	.end_amdhsa_kernel
	.section	.text._ZN7rocprim17ROCPRIM_400000_NS6detail17trampoline_kernelINS0_14default_configENS1_38merge_sort_block_merge_config_selectorIjN6thrust23THRUST_200600_302600_NS5tupleIffNS6_9null_typeES8_S8_S8_S8_S8_S8_S8_EEEEZZNS1_27merge_sort_block_merge_implIS3_NS6_6detail15normal_iteratorINS6_10device_ptrIjEEEENSD_INSE_IS9_EEEEjNS1_19radix_merge_compareILb0ELb0EjNS0_19identity_decomposerEEEEE10hipError_tT0_T1_T2_jT3_P12ihipStream_tbPNSt15iterator_traitsISN_E10value_typeEPNST_ISO_E10value_typeEPSP_NS1_7vsmem_tEENKUlT_SN_SO_SP_E_clIPjSG_PS9_SI_EESM_S12_SN_SO_SP_EUlS12_E_NS1_11comp_targetILNS1_3genE4ELNS1_11target_archE910ELNS1_3gpuE8ELNS1_3repE0EEENS1_48merge_mergepath_partition_config_static_selectorELNS0_4arch9wavefront6targetE1EEEvSO_,"axG",@progbits,_ZN7rocprim17ROCPRIM_400000_NS6detail17trampoline_kernelINS0_14default_configENS1_38merge_sort_block_merge_config_selectorIjN6thrust23THRUST_200600_302600_NS5tupleIffNS6_9null_typeES8_S8_S8_S8_S8_S8_S8_EEEEZZNS1_27merge_sort_block_merge_implIS3_NS6_6detail15normal_iteratorINS6_10device_ptrIjEEEENSD_INSE_IS9_EEEEjNS1_19radix_merge_compareILb0ELb0EjNS0_19identity_decomposerEEEEE10hipError_tT0_T1_T2_jT3_P12ihipStream_tbPNSt15iterator_traitsISN_E10value_typeEPNST_ISO_E10value_typeEPSP_NS1_7vsmem_tEENKUlT_SN_SO_SP_E_clIPjSG_PS9_SI_EESM_S12_SN_SO_SP_EUlS12_E_NS1_11comp_targetILNS1_3genE4ELNS1_11target_archE910ELNS1_3gpuE8ELNS1_3repE0EEENS1_48merge_mergepath_partition_config_static_selectorELNS0_4arch9wavefront6targetE1EEEvSO_,comdat
.Lfunc_end28:
	.size	_ZN7rocprim17ROCPRIM_400000_NS6detail17trampoline_kernelINS0_14default_configENS1_38merge_sort_block_merge_config_selectorIjN6thrust23THRUST_200600_302600_NS5tupleIffNS6_9null_typeES8_S8_S8_S8_S8_S8_S8_EEEEZZNS1_27merge_sort_block_merge_implIS3_NS6_6detail15normal_iteratorINS6_10device_ptrIjEEEENSD_INSE_IS9_EEEEjNS1_19radix_merge_compareILb0ELb0EjNS0_19identity_decomposerEEEEE10hipError_tT0_T1_T2_jT3_P12ihipStream_tbPNSt15iterator_traitsISN_E10value_typeEPNST_ISO_E10value_typeEPSP_NS1_7vsmem_tEENKUlT_SN_SO_SP_E_clIPjSG_PS9_SI_EESM_S12_SN_SO_SP_EUlS12_E_NS1_11comp_targetILNS1_3genE4ELNS1_11target_archE910ELNS1_3gpuE8ELNS1_3repE0EEENS1_48merge_mergepath_partition_config_static_selectorELNS0_4arch9wavefront6targetE1EEEvSO_, .Lfunc_end28-_ZN7rocprim17ROCPRIM_400000_NS6detail17trampoline_kernelINS0_14default_configENS1_38merge_sort_block_merge_config_selectorIjN6thrust23THRUST_200600_302600_NS5tupleIffNS6_9null_typeES8_S8_S8_S8_S8_S8_S8_EEEEZZNS1_27merge_sort_block_merge_implIS3_NS6_6detail15normal_iteratorINS6_10device_ptrIjEEEENSD_INSE_IS9_EEEEjNS1_19radix_merge_compareILb0ELb0EjNS0_19identity_decomposerEEEEE10hipError_tT0_T1_T2_jT3_P12ihipStream_tbPNSt15iterator_traitsISN_E10value_typeEPNST_ISO_E10value_typeEPSP_NS1_7vsmem_tEENKUlT_SN_SO_SP_E_clIPjSG_PS9_SI_EESM_S12_SN_SO_SP_EUlS12_E_NS1_11comp_targetILNS1_3genE4ELNS1_11target_archE910ELNS1_3gpuE8ELNS1_3repE0EEENS1_48merge_mergepath_partition_config_static_selectorELNS0_4arch9wavefront6targetE1EEEvSO_
                                        ; -- End function
	.section	.AMDGPU.csdata,"",@progbits
; Kernel info:
; codeLenInByte = 360
; NumSgprs: 12
; NumVgprs: 17
; NumAgprs: 0
; TotalNumVgprs: 17
; ScratchSize: 0
; MemoryBound: 0
; FloatMode: 240
; IeeeMode: 1
; LDSByteSize: 0 bytes/workgroup (compile time only)
; SGPRBlocks: 1
; VGPRBlocks: 2
; NumSGPRsForWavesPerEU: 12
; NumVGPRsForWavesPerEU: 17
; AccumOffset: 20
; Occupancy: 8
; WaveLimiterHint : 0
; COMPUTE_PGM_RSRC2:SCRATCH_EN: 0
; COMPUTE_PGM_RSRC2:USER_SGPR: 6
; COMPUTE_PGM_RSRC2:TRAP_HANDLER: 0
; COMPUTE_PGM_RSRC2:TGID_X_EN: 1
; COMPUTE_PGM_RSRC2:TGID_Y_EN: 0
; COMPUTE_PGM_RSRC2:TGID_Z_EN: 0
; COMPUTE_PGM_RSRC2:TIDIG_COMP_CNT: 0
; COMPUTE_PGM_RSRC3_GFX90A:ACCUM_OFFSET: 4
; COMPUTE_PGM_RSRC3_GFX90A:TG_SPLIT: 0
	.section	.text._ZN7rocprim17ROCPRIM_400000_NS6detail17trampoline_kernelINS0_14default_configENS1_38merge_sort_block_merge_config_selectorIjN6thrust23THRUST_200600_302600_NS5tupleIffNS6_9null_typeES8_S8_S8_S8_S8_S8_S8_EEEEZZNS1_27merge_sort_block_merge_implIS3_NS6_6detail15normal_iteratorINS6_10device_ptrIjEEEENSD_INSE_IS9_EEEEjNS1_19radix_merge_compareILb0ELb0EjNS0_19identity_decomposerEEEEE10hipError_tT0_T1_T2_jT3_P12ihipStream_tbPNSt15iterator_traitsISN_E10value_typeEPNST_ISO_E10value_typeEPSP_NS1_7vsmem_tEENKUlT_SN_SO_SP_E_clIPjSG_PS9_SI_EESM_S12_SN_SO_SP_EUlS12_E_NS1_11comp_targetILNS1_3genE3ELNS1_11target_archE908ELNS1_3gpuE7ELNS1_3repE0EEENS1_48merge_mergepath_partition_config_static_selectorELNS0_4arch9wavefront6targetE1EEEvSO_,"axG",@progbits,_ZN7rocprim17ROCPRIM_400000_NS6detail17trampoline_kernelINS0_14default_configENS1_38merge_sort_block_merge_config_selectorIjN6thrust23THRUST_200600_302600_NS5tupleIffNS6_9null_typeES8_S8_S8_S8_S8_S8_S8_EEEEZZNS1_27merge_sort_block_merge_implIS3_NS6_6detail15normal_iteratorINS6_10device_ptrIjEEEENSD_INSE_IS9_EEEEjNS1_19radix_merge_compareILb0ELb0EjNS0_19identity_decomposerEEEEE10hipError_tT0_T1_T2_jT3_P12ihipStream_tbPNSt15iterator_traitsISN_E10value_typeEPNST_ISO_E10value_typeEPSP_NS1_7vsmem_tEENKUlT_SN_SO_SP_E_clIPjSG_PS9_SI_EESM_S12_SN_SO_SP_EUlS12_E_NS1_11comp_targetILNS1_3genE3ELNS1_11target_archE908ELNS1_3gpuE7ELNS1_3repE0EEENS1_48merge_mergepath_partition_config_static_selectorELNS0_4arch9wavefront6targetE1EEEvSO_,comdat
	.protected	_ZN7rocprim17ROCPRIM_400000_NS6detail17trampoline_kernelINS0_14default_configENS1_38merge_sort_block_merge_config_selectorIjN6thrust23THRUST_200600_302600_NS5tupleIffNS6_9null_typeES8_S8_S8_S8_S8_S8_S8_EEEEZZNS1_27merge_sort_block_merge_implIS3_NS6_6detail15normal_iteratorINS6_10device_ptrIjEEEENSD_INSE_IS9_EEEEjNS1_19radix_merge_compareILb0ELb0EjNS0_19identity_decomposerEEEEE10hipError_tT0_T1_T2_jT3_P12ihipStream_tbPNSt15iterator_traitsISN_E10value_typeEPNST_ISO_E10value_typeEPSP_NS1_7vsmem_tEENKUlT_SN_SO_SP_E_clIPjSG_PS9_SI_EESM_S12_SN_SO_SP_EUlS12_E_NS1_11comp_targetILNS1_3genE3ELNS1_11target_archE908ELNS1_3gpuE7ELNS1_3repE0EEENS1_48merge_mergepath_partition_config_static_selectorELNS0_4arch9wavefront6targetE1EEEvSO_ ; -- Begin function _ZN7rocprim17ROCPRIM_400000_NS6detail17trampoline_kernelINS0_14default_configENS1_38merge_sort_block_merge_config_selectorIjN6thrust23THRUST_200600_302600_NS5tupleIffNS6_9null_typeES8_S8_S8_S8_S8_S8_S8_EEEEZZNS1_27merge_sort_block_merge_implIS3_NS6_6detail15normal_iteratorINS6_10device_ptrIjEEEENSD_INSE_IS9_EEEEjNS1_19radix_merge_compareILb0ELb0EjNS0_19identity_decomposerEEEEE10hipError_tT0_T1_T2_jT3_P12ihipStream_tbPNSt15iterator_traitsISN_E10value_typeEPNST_ISO_E10value_typeEPSP_NS1_7vsmem_tEENKUlT_SN_SO_SP_E_clIPjSG_PS9_SI_EESM_S12_SN_SO_SP_EUlS12_E_NS1_11comp_targetILNS1_3genE3ELNS1_11target_archE908ELNS1_3gpuE7ELNS1_3repE0EEENS1_48merge_mergepath_partition_config_static_selectorELNS0_4arch9wavefront6targetE1EEEvSO_
	.globl	_ZN7rocprim17ROCPRIM_400000_NS6detail17trampoline_kernelINS0_14default_configENS1_38merge_sort_block_merge_config_selectorIjN6thrust23THRUST_200600_302600_NS5tupleIffNS6_9null_typeES8_S8_S8_S8_S8_S8_S8_EEEEZZNS1_27merge_sort_block_merge_implIS3_NS6_6detail15normal_iteratorINS6_10device_ptrIjEEEENSD_INSE_IS9_EEEEjNS1_19radix_merge_compareILb0ELb0EjNS0_19identity_decomposerEEEEE10hipError_tT0_T1_T2_jT3_P12ihipStream_tbPNSt15iterator_traitsISN_E10value_typeEPNST_ISO_E10value_typeEPSP_NS1_7vsmem_tEENKUlT_SN_SO_SP_E_clIPjSG_PS9_SI_EESM_S12_SN_SO_SP_EUlS12_E_NS1_11comp_targetILNS1_3genE3ELNS1_11target_archE908ELNS1_3gpuE7ELNS1_3repE0EEENS1_48merge_mergepath_partition_config_static_selectorELNS0_4arch9wavefront6targetE1EEEvSO_
	.p2align	8
	.type	_ZN7rocprim17ROCPRIM_400000_NS6detail17trampoline_kernelINS0_14default_configENS1_38merge_sort_block_merge_config_selectorIjN6thrust23THRUST_200600_302600_NS5tupleIffNS6_9null_typeES8_S8_S8_S8_S8_S8_S8_EEEEZZNS1_27merge_sort_block_merge_implIS3_NS6_6detail15normal_iteratorINS6_10device_ptrIjEEEENSD_INSE_IS9_EEEEjNS1_19radix_merge_compareILb0ELb0EjNS0_19identity_decomposerEEEEE10hipError_tT0_T1_T2_jT3_P12ihipStream_tbPNSt15iterator_traitsISN_E10value_typeEPNST_ISO_E10value_typeEPSP_NS1_7vsmem_tEENKUlT_SN_SO_SP_E_clIPjSG_PS9_SI_EESM_S12_SN_SO_SP_EUlS12_E_NS1_11comp_targetILNS1_3genE3ELNS1_11target_archE908ELNS1_3gpuE7ELNS1_3repE0EEENS1_48merge_mergepath_partition_config_static_selectorELNS0_4arch9wavefront6targetE1EEEvSO_,@function
_ZN7rocprim17ROCPRIM_400000_NS6detail17trampoline_kernelINS0_14default_configENS1_38merge_sort_block_merge_config_selectorIjN6thrust23THRUST_200600_302600_NS5tupleIffNS6_9null_typeES8_S8_S8_S8_S8_S8_S8_EEEEZZNS1_27merge_sort_block_merge_implIS3_NS6_6detail15normal_iteratorINS6_10device_ptrIjEEEENSD_INSE_IS9_EEEEjNS1_19radix_merge_compareILb0ELb0EjNS0_19identity_decomposerEEEEE10hipError_tT0_T1_T2_jT3_P12ihipStream_tbPNSt15iterator_traitsISN_E10value_typeEPNST_ISO_E10value_typeEPSP_NS1_7vsmem_tEENKUlT_SN_SO_SP_E_clIPjSG_PS9_SI_EESM_S12_SN_SO_SP_EUlS12_E_NS1_11comp_targetILNS1_3genE3ELNS1_11target_archE908ELNS1_3gpuE7ELNS1_3repE0EEENS1_48merge_mergepath_partition_config_static_selectorELNS0_4arch9wavefront6targetE1EEEvSO_: ; @_ZN7rocprim17ROCPRIM_400000_NS6detail17trampoline_kernelINS0_14default_configENS1_38merge_sort_block_merge_config_selectorIjN6thrust23THRUST_200600_302600_NS5tupleIffNS6_9null_typeES8_S8_S8_S8_S8_S8_S8_EEEEZZNS1_27merge_sort_block_merge_implIS3_NS6_6detail15normal_iteratorINS6_10device_ptrIjEEEENSD_INSE_IS9_EEEEjNS1_19radix_merge_compareILb0ELb0EjNS0_19identity_decomposerEEEEE10hipError_tT0_T1_T2_jT3_P12ihipStream_tbPNSt15iterator_traitsISN_E10value_typeEPNST_ISO_E10value_typeEPSP_NS1_7vsmem_tEENKUlT_SN_SO_SP_E_clIPjSG_PS9_SI_EESM_S12_SN_SO_SP_EUlS12_E_NS1_11comp_targetILNS1_3genE3ELNS1_11target_archE908ELNS1_3gpuE7ELNS1_3repE0EEENS1_48merge_mergepath_partition_config_static_selectorELNS0_4arch9wavefront6targetE1EEEvSO_
; %bb.0:
	.section	.rodata,"a",@progbits
	.p2align	6, 0x0
	.amdhsa_kernel _ZN7rocprim17ROCPRIM_400000_NS6detail17trampoline_kernelINS0_14default_configENS1_38merge_sort_block_merge_config_selectorIjN6thrust23THRUST_200600_302600_NS5tupleIffNS6_9null_typeES8_S8_S8_S8_S8_S8_S8_EEEEZZNS1_27merge_sort_block_merge_implIS3_NS6_6detail15normal_iteratorINS6_10device_ptrIjEEEENSD_INSE_IS9_EEEEjNS1_19radix_merge_compareILb0ELb0EjNS0_19identity_decomposerEEEEE10hipError_tT0_T1_T2_jT3_P12ihipStream_tbPNSt15iterator_traitsISN_E10value_typeEPNST_ISO_E10value_typeEPSP_NS1_7vsmem_tEENKUlT_SN_SO_SP_E_clIPjSG_PS9_SI_EESM_S12_SN_SO_SP_EUlS12_E_NS1_11comp_targetILNS1_3genE3ELNS1_11target_archE908ELNS1_3gpuE7ELNS1_3repE0EEENS1_48merge_mergepath_partition_config_static_selectorELNS0_4arch9wavefront6targetE1EEEvSO_
		.amdhsa_group_segment_fixed_size 0
		.amdhsa_private_segment_fixed_size 0
		.amdhsa_kernarg_size 40
		.amdhsa_user_sgpr_count 6
		.amdhsa_user_sgpr_private_segment_buffer 1
		.amdhsa_user_sgpr_dispatch_ptr 0
		.amdhsa_user_sgpr_queue_ptr 0
		.amdhsa_user_sgpr_kernarg_segment_ptr 1
		.amdhsa_user_sgpr_dispatch_id 0
		.amdhsa_user_sgpr_flat_scratch_init 0
		.amdhsa_user_sgpr_kernarg_preload_length 0
		.amdhsa_user_sgpr_kernarg_preload_offset 0
		.amdhsa_user_sgpr_private_segment_size 0
		.amdhsa_uses_dynamic_stack 0
		.amdhsa_system_sgpr_private_segment_wavefront_offset 0
		.amdhsa_system_sgpr_workgroup_id_x 1
		.amdhsa_system_sgpr_workgroup_id_y 0
		.amdhsa_system_sgpr_workgroup_id_z 0
		.amdhsa_system_sgpr_workgroup_info 0
		.amdhsa_system_vgpr_workitem_id 0
		.amdhsa_next_free_vgpr 1
		.amdhsa_next_free_sgpr 0
		.amdhsa_accum_offset 4
		.amdhsa_reserve_vcc 0
		.amdhsa_reserve_flat_scratch 0
		.amdhsa_float_round_mode_32 0
		.amdhsa_float_round_mode_16_64 0
		.amdhsa_float_denorm_mode_32 3
		.amdhsa_float_denorm_mode_16_64 3
		.amdhsa_dx10_clamp 1
		.amdhsa_ieee_mode 1
		.amdhsa_fp16_overflow 0
		.amdhsa_tg_split 0
		.amdhsa_exception_fp_ieee_invalid_op 0
		.amdhsa_exception_fp_denorm_src 0
		.amdhsa_exception_fp_ieee_div_zero 0
		.amdhsa_exception_fp_ieee_overflow 0
		.amdhsa_exception_fp_ieee_underflow 0
		.amdhsa_exception_fp_ieee_inexact 0
		.amdhsa_exception_int_div_zero 0
	.end_amdhsa_kernel
	.section	.text._ZN7rocprim17ROCPRIM_400000_NS6detail17trampoline_kernelINS0_14default_configENS1_38merge_sort_block_merge_config_selectorIjN6thrust23THRUST_200600_302600_NS5tupleIffNS6_9null_typeES8_S8_S8_S8_S8_S8_S8_EEEEZZNS1_27merge_sort_block_merge_implIS3_NS6_6detail15normal_iteratorINS6_10device_ptrIjEEEENSD_INSE_IS9_EEEEjNS1_19radix_merge_compareILb0ELb0EjNS0_19identity_decomposerEEEEE10hipError_tT0_T1_T2_jT3_P12ihipStream_tbPNSt15iterator_traitsISN_E10value_typeEPNST_ISO_E10value_typeEPSP_NS1_7vsmem_tEENKUlT_SN_SO_SP_E_clIPjSG_PS9_SI_EESM_S12_SN_SO_SP_EUlS12_E_NS1_11comp_targetILNS1_3genE3ELNS1_11target_archE908ELNS1_3gpuE7ELNS1_3repE0EEENS1_48merge_mergepath_partition_config_static_selectorELNS0_4arch9wavefront6targetE1EEEvSO_,"axG",@progbits,_ZN7rocprim17ROCPRIM_400000_NS6detail17trampoline_kernelINS0_14default_configENS1_38merge_sort_block_merge_config_selectorIjN6thrust23THRUST_200600_302600_NS5tupleIffNS6_9null_typeES8_S8_S8_S8_S8_S8_S8_EEEEZZNS1_27merge_sort_block_merge_implIS3_NS6_6detail15normal_iteratorINS6_10device_ptrIjEEEENSD_INSE_IS9_EEEEjNS1_19radix_merge_compareILb0ELb0EjNS0_19identity_decomposerEEEEE10hipError_tT0_T1_T2_jT3_P12ihipStream_tbPNSt15iterator_traitsISN_E10value_typeEPNST_ISO_E10value_typeEPSP_NS1_7vsmem_tEENKUlT_SN_SO_SP_E_clIPjSG_PS9_SI_EESM_S12_SN_SO_SP_EUlS12_E_NS1_11comp_targetILNS1_3genE3ELNS1_11target_archE908ELNS1_3gpuE7ELNS1_3repE0EEENS1_48merge_mergepath_partition_config_static_selectorELNS0_4arch9wavefront6targetE1EEEvSO_,comdat
.Lfunc_end29:
	.size	_ZN7rocprim17ROCPRIM_400000_NS6detail17trampoline_kernelINS0_14default_configENS1_38merge_sort_block_merge_config_selectorIjN6thrust23THRUST_200600_302600_NS5tupleIffNS6_9null_typeES8_S8_S8_S8_S8_S8_S8_EEEEZZNS1_27merge_sort_block_merge_implIS3_NS6_6detail15normal_iteratorINS6_10device_ptrIjEEEENSD_INSE_IS9_EEEEjNS1_19radix_merge_compareILb0ELb0EjNS0_19identity_decomposerEEEEE10hipError_tT0_T1_T2_jT3_P12ihipStream_tbPNSt15iterator_traitsISN_E10value_typeEPNST_ISO_E10value_typeEPSP_NS1_7vsmem_tEENKUlT_SN_SO_SP_E_clIPjSG_PS9_SI_EESM_S12_SN_SO_SP_EUlS12_E_NS1_11comp_targetILNS1_3genE3ELNS1_11target_archE908ELNS1_3gpuE7ELNS1_3repE0EEENS1_48merge_mergepath_partition_config_static_selectorELNS0_4arch9wavefront6targetE1EEEvSO_, .Lfunc_end29-_ZN7rocprim17ROCPRIM_400000_NS6detail17trampoline_kernelINS0_14default_configENS1_38merge_sort_block_merge_config_selectorIjN6thrust23THRUST_200600_302600_NS5tupleIffNS6_9null_typeES8_S8_S8_S8_S8_S8_S8_EEEEZZNS1_27merge_sort_block_merge_implIS3_NS6_6detail15normal_iteratorINS6_10device_ptrIjEEEENSD_INSE_IS9_EEEEjNS1_19radix_merge_compareILb0ELb0EjNS0_19identity_decomposerEEEEE10hipError_tT0_T1_T2_jT3_P12ihipStream_tbPNSt15iterator_traitsISN_E10value_typeEPNST_ISO_E10value_typeEPSP_NS1_7vsmem_tEENKUlT_SN_SO_SP_E_clIPjSG_PS9_SI_EESM_S12_SN_SO_SP_EUlS12_E_NS1_11comp_targetILNS1_3genE3ELNS1_11target_archE908ELNS1_3gpuE7ELNS1_3repE0EEENS1_48merge_mergepath_partition_config_static_selectorELNS0_4arch9wavefront6targetE1EEEvSO_
                                        ; -- End function
	.section	.AMDGPU.csdata,"",@progbits
; Kernel info:
; codeLenInByte = 0
; NumSgprs: 4
; NumVgprs: 0
; NumAgprs: 0
; TotalNumVgprs: 0
; ScratchSize: 0
; MemoryBound: 0
; FloatMode: 240
; IeeeMode: 1
; LDSByteSize: 0 bytes/workgroup (compile time only)
; SGPRBlocks: 0
; VGPRBlocks: 0
; NumSGPRsForWavesPerEU: 4
; NumVGPRsForWavesPerEU: 1
; AccumOffset: 4
; Occupancy: 8
; WaveLimiterHint : 0
; COMPUTE_PGM_RSRC2:SCRATCH_EN: 0
; COMPUTE_PGM_RSRC2:USER_SGPR: 6
; COMPUTE_PGM_RSRC2:TRAP_HANDLER: 0
; COMPUTE_PGM_RSRC2:TGID_X_EN: 1
; COMPUTE_PGM_RSRC2:TGID_Y_EN: 0
; COMPUTE_PGM_RSRC2:TGID_Z_EN: 0
; COMPUTE_PGM_RSRC2:TIDIG_COMP_CNT: 0
; COMPUTE_PGM_RSRC3_GFX90A:ACCUM_OFFSET: 0
; COMPUTE_PGM_RSRC3_GFX90A:TG_SPLIT: 0
	.section	.text._ZN7rocprim17ROCPRIM_400000_NS6detail17trampoline_kernelINS0_14default_configENS1_38merge_sort_block_merge_config_selectorIjN6thrust23THRUST_200600_302600_NS5tupleIffNS6_9null_typeES8_S8_S8_S8_S8_S8_S8_EEEEZZNS1_27merge_sort_block_merge_implIS3_NS6_6detail15normal_iteratorINS6_10device_ptrIjEEEENSD_INSE_IS9_EEEEjNS1_19radix_merge_compareILb0ELb0EjNS0_19identity_decomposerEEEEE10hipError_tT0_T1_T2_jT3_P12ihipStream_tbPNSt15iterator_traitsISN_E10value_typeEPNST_ISO_E10value_typeEPSP_NS1_7vsmem_tEENKUlT_SN_SO_SP_E_clIPjSG_PS9_SI_EESM_S12_SN_SO_SP_EUlS12_E_NS1_11comp_targetILNS1_3genE2ELNS1_11target_archE906ELNS1_3gpuE6ELNS1_3repE0EEENS1_48merge_mergepath_partition_config_static_selectorELNS0_4arch9wavefront6targetE1EEEvSO_,"axG",@progbits,_ZN7rocprim17ROCPRIM_400000_NS6detail17trampoline_kernelINS0_14default_configENS1_38merge_sort_block_merge_config_selectorIjN6thrust23THRUST_200600_302600_NS5tupleIffNS6_9null_typeES8_S8_S8_S8_S8_S8_S8_EEEEZZNS1_27merge_sort_block_merge_implIS3_NS6_6detail15normal_iteratorINS6_10device_ptrIjEEEENSD_INSE_IS9_EEEEjNS1_19radix_merge_compareILb0ELb0EjNS0_19identity_decomposerEEEEE10hipError_tT0_T1_T2_jT3_P12ihipStream_tbPNSt15iterator_traitsISN_E10value_typeEPNST_ISO_E10value_typeEPSP_NS1_7vsmem_tEENKUlT_SN_SO_SP_E_clIPjSG_PS9_SI_EESM_S12_SN_SO_SP_EUlS12_E_NS1_11comp_targetILNS1_3genE2ELNS1_11target_archE906ELNS1_3gpuE6ELNS1_3repE0EEENS1_48merge_mergepath_partition_config_static_selectorELNS0_4arch9wavefront6targetE1EEEvSO_,comdat
	.protected	_ZN7rocprim17ROCPRIM_400000_NS6detail17trampoline_kernelINS0_14default_configENS1_38merge_sort_block_merge_config_selectorIjN6thrust23THRUST_200600_302600_NS5tupleIffNS6_9null_typeES8_S8_S8_S8_S8_S8_S8_EEEEZZNS1_27merge_sort_block_merge_implIS3_NS6_6detail15normal_iteratorINS6_10device_ptrIjEEEENSD_INSE_IS9_EEEEjNS1_19radix_merge_compareILb0ELb0EjNS0_19identity_decomposerEEEEE10hipError_tT0_T1_T2_jT3_P12ihipStream_tbPNSt15iterator_traitsISN_E10value_typeEPNST_ISO_E10value_typeEPSP_NS1_7vsmem_tEENKUlT_SN_SO_SP_E_clIPjSG_PS9_SI_EESM_S12_SN_SO_SP_EUlS12_E_NS1_11comp_targetILNS1_3genE2ELNS1_11target_archE906ELNS1_3gpuE6ELNS1_3repE0EEENS1_48merge_mergepath_partition_config_static_selectorELNS0_4arch9wavefront6targetE1EEEvSO_ ; -- Begin function _ZN7rocprim17ROCPRIM_400000_NS6detail17trampoline_kernelINS0_14default_configENS1_38merge_sort_block_merge_config_selectorIjN6thrust23THRUST_200600_302600_NS5tupleIffNS6_9null_typeES8_S8_S8_S8_S8_S8_S8_EEEEZZNS1_27merge_sort_block_merge_implIS3_NS6_6detail15normal_iteratorINS6_10device_ptrIjEEEENSD_INSE_IS9_EEEEjNS1_19radix_merge_compareILb0ELb0EjNS0_19identity_decomposerEEEEE10hipError_tT0_T1_T2_jT3_P12ihipStream_tbPNSt15iterator_traitsISN_E10value_typeEPNST_ISO_E10value_typeEPSP_NS1_7vsmem_tEENKUlT_SN_SO_SP_E_clIPjSG_PS9_SI_EESM_S12_SN_SO_SP_EUlS12_E_NS1_11comp_targetILNS1_3genE2ELNS1_11target_archE906ELNS1_3gpuE6ELNS1_3repE0EEENS1_48merge_mergepath_partition_config_static_selectorELNS0_4arch9wavefront6targetE1EEEvSO_
	.globl	_ZN7rocprim17ROCPRIM_400000_NS6detail17trampoline_kernelINS0_14default_configENS1_38merge_sort_block_merge_config_selectorIjN6thrust23THRUST_200600_302600_NS5tupleIffNS6_9null_typeES8_S8_S8_S8_S8_S8_S8_EEEEZZNS1_27merge_sort_block_merge_implIS3_NS6_6detail15normal_iteratorINS6_10device_ptrIjEEEENSD_INSE_IS9_EEEEjNS1_19radix_merge_compareILb0ELb0EjNS0_19identity_decomposerEEEEE10hipError_tT0_T1_T2_jT3_P12ihipStream_tbPNSt15iterator_traitsISN_E10value_typeEPNST_ISO_E10value_typeEPSP_NS1_7vsmem_tEENKUlT_SN_SO_SP_E_clIPjSG_PS9_SI_EESM_S12_SN_SO_SP_EUlS12_E_NS1_11comp_targetILNS1_3genE2ELNS1_11target_archE906ELNS1_3gpuE6ELNS1_3repE0EEENS1_48merge_mergepath_partition_config_static_selectorELNS0_4arch9wavefront6targetE1EEEvSO_
	.p2align	8
	.type	_ZN7rocprim17ROCPRIM_400000_NS6detail17trampoline_kernelINS0_14default_configENS1_38merge_sort_block_merge_config_selectorIjN6thrust23THRUST_200600_302600_NS5tupleIffNS6_9null_typeES8_S8_S8_S8_S8_S8_S8_EEEEZZNS1_27merge_sort_block_merge_implIS3_NS6_6detail15normal_iteratorINS6_10device_ptrIjEEEENSD_INSE_IS9_EEEEjNS1_19radix_merge_compareILb0ELb0EjNS0_19identity_decomposerEEEEE10hipError_tT0_T1_T2_jT3_P12ihipStream_tbPNSt15iterator_traitsISN_E10value_typeEPNST_ISO_E10value_typeEPSP_NS1_7vsmem_tEENKUlT_SN_SO_SP_E_clIPjSG_PS9_SI_EESM_S12_SN_SO_SP_EUlS12_E_NS1_11comp_targetILNS1_3genE2ELNS1_11target_archE906ELNS1_3gpuE6ELNS1_3repE0EEENS1_48merge_mergepath_partition_config_static_selectorELNS0_4arch9wavefront6targetE1EEEvSO_,@function
_ZN7rocprim17ROCPRIM_400000_NS6detail17trampoline_kernelINS0_14default_configENS1_38merge_sort_block_merge_config_selectorIjN6thrust23THRUST_200600_302600_NS5tupleIffNS6_9null_typeES8_S8_S8_S8_S8_S8_S8_EEEEZZNS1_27merge_sort_block_merge_implIS3_NS6_6detail15normal_iteratorINS6_10device_ptrIjEEEENSD_INSE_IS9_EEEEjNS1_19radix_merge_compareILb0ELb0EjNS0_19identity_decomposerEEEEE10hipError_tT0_T1_T2_jT3_P12ihipStream_tbPNSt15iterator_traitsISN_E10value_typeEPNST_ISO_E10value_typeEPSP_NS1_7vsmem_tEENKUlT_SN_SO_SP_E_clIPjSG_PS9_SI_EESM_S12_SN_SO_SP_EUlS12_E_NS1_11comp_targetILNS1_3genE2ELNS1_11target_archE906ELNS1_3gpuE6ELNS1_3repE0EEENS1_48merge_mergepath_partition_config_static_selectorELNS0_4arch9wavefront6targetE1EEEvSO_: ; @_ZN7rocprim17ROCPRIM_400000_NS6detail17trampoline_kernelINS0_14default_configENS1_38merge_sort_block_merge_config_selectorIjN6thrust23THRUST_200600_302600_NS5tupleIffNS6_9null_typeES8_S8_S8_S8_S8_S8_S8_EEEEZZNS1_27merge_sort_block_merge_implIS3_NS6_6detail15normal_iteratorINS6_10device_ptrIjEEEENSD_INSE_IS9_EEEEjNS1_19radix_merge_compareILb0ELb0EjNS0_19identity_decomposerEEEEE10hipError_tT0_T1_T2_jT3_P12ihipStream_tbPNSt15iterator_traitsISN_E10value_typeEPNST_ISO_E10value_typeEPSP_NS1_7vsmem_tEENKUlT_SN_SO_SP_E_clIPjSG_PS9_SI_EESM_S12_SN_SO_SP_EUlS12_E_NS1_11comp_targetILNS1_3genE2ELNS1_11target_archE906ELNS1_3gpuE6ELNS1_3repE0EEENS1_48merge_mergepath_partition_config_static_selectorELNS0_4arch9wavefront6targetE1EEEvSO_
; %bb.0:
	.section	.rodata,"a",@progbits
	.p2align	6, 0x0
	.amdhsa_kernel _ZN7rocprim17ROCPRIM_400000_NS6detail17trampoline_kernelINS0_14default_configENS1_38merge_sort_block_merge_config_selectorIjN6thrust23THRUST_200600_302600_NS5tupleIffNS6_9null_typeES8_S8_S8_S8_S8_S8_S8_EEEEZZNS1_27merge_sort_block_merge_implIS3_NS6_6detail15normal_iteratorINS6_10device_ptrIjEEEENSD_INSE_IS9_EEEEjNS1_19radix_merge_compareILb0ELb0EjNS0_19identity_decomposerEEEEE10hipError_tT0_T1_T2_jT3_P12ihipStream_tbPNSt15iterator_traitsISN_E10value_typeEPNST_ISO_E10value_typeEPSP_NS1_7vsmem_tEENKUlT_SN_SO_SP_E_clIPjSG_PS9_SI_EESM_S12_SN_SO_SP_EUlS12_E_NS1_11comp_targetILNS1_3genE2ELNS1_11target_archE906ELNS1_3gpuE6ELNS1_3repE0EEENS1_48merge_mergepath_partition_config_static_selectorELNS0_4arch9wavefront6targetE1EEEvSO_
		.amdhsa_group_segment_fixed_size 0
		.amdhsa_private_segment_fixed_size 0
		.amdhsa_kernarg_size 40
		.amdhsa_user_sgpr_count 6
		.amdhsa_user_sgpr_private_segment_buffer 1
		.amdhsa_user_sgpr_dispatch_ptr 0
		.amdhsa_user_sgpr_queue_ptr 0
		.amdhsa_user_sgpr_kernarg_segment_ptr 1
		.amdhsa_user_sgpr_dispatch_id 0
		.amdhsa_user_sgpr_flat_scratch_init 0
		.amdhsa_user_sgpr_kernarg_preload_length 0
		.amdhsa_user_sgpr_kernarg_preload_offset 0
		.amdhsa_user_sgpr_private_segment_size 0
		.amdhsa_uses_dynamic_stack 0
		.amdhsa_system_sgpr_private_segment_wavefront_offset 0
		.amdhsa_system_sgpr_workgroup_id_x 1
		.amdhsa_system_sgpr_workgroup_id_y 0
		.amdhsa_system_sgpr_workgroup_id_z 0
		.amdhsa_system_sgpr_workgroup_info 0
		.amdhsa_system_vgpr_workitem_id 0
		.amdhsa_next_free_vgpr 1
		.amdhsa_next_free_sgpr 0
		.amdhsa_accum_offset 4
		.amdhsa_reserve_vcc 0
		.amdhsa_reserve_flat_scratch 0
		.amdhsa_float_round_mode_32 0
		.amdhsa_float_round_mode_16_64 0
		.amdhsa_float_denorm_mode_32 3
		.amdhsa_float_denorm_mode_16_64 3
		.amdhsa_dx10_clamp 1
		.amdhsa_ieee_mode 1
		.amdhsa_fp16_overflow 0
		.amdhsa_tg_split 0
		.amdhsa_exception_fp_ieee_invalid_op 0
		.amdhsa_exception_fp_denorm_src 0
		.amdhsa_exception_fp_ieee_div_zero 0
		.amdhsa_exception_fp_ieee_overflow 0
		.amdhsa_exception_fp_ieee_underflow 0
		.amdhsa_exception_fp_ieee_inexact 0
		.amdhsa_exception_int_div_zero 0
	.end_amdhsa_kernel
	.section	.text._ZN7rocprim17ROCPRIM_400000_NS6detail17trampoline_kernelINS0_14default_configENS1_38merge_sort_block_merge_config_selectorIjN6thrust23THRUST_200600_302600_NS5tupleIffNS6_9null_typeES8_S8_S8_S8_S8_S8_S8_EEEEZZNS1_27merge_sort_block_merge_implIS3_NS6_6detail15normal_iteratorINS6_10device_ptrIjEEEENSD_INSE_IS9_EEEEjNS1_19radix_merge_compareILb0ELb0EjNS0_19identity_decomposerEEEEE10hipError_tT0_T1_T2_jT3_P12ihipStream_tbPNSt15iterator_traitsISN_E10value_typeEPNST_ISO_E10value_typeEPSP_NS1_7vsmem_tEENKUlT_SN_SO_SP_E_clIPjSG_PS9_SI_EESM_S12_SN_SO_SP_EUlS12_E_NS1_11comp_targetILNS1_3genE2ELNS1_11target_archE906ELNS1_3gpuE6ELNS1_3repE0EEENS1_48merge_mergepath_partition_config_static_selectorELNS0_4arch9wavefront6targetE1EEEvSO_,"axG",@progbits,_ZN7rocprim17ROCPRIM_400000_NS6detail17trampoline_kernelINS0_14default_configENS1_38merge_sort_block_merge_config_selectorIjN6thrust23THRUST_200600_302600_NS5tupleIffNS6_9null_typeES8_S8_S8_S8_S8_S8_S8_EEEEZZNS1_27merge_sort_block_merge_implIS3_NS6_6detail15normal_iteratorINS6_10device_ptrIjEEEENSD_INSE_IS9_EEEEjNS1_19radix_merge_compareILb0ELb0EjNS0_19identity_decomposerEEEEE10hipError_tT0_T1_T2_jT3_P12ihipStream_tbPNSt15iterator_traitsISN_E10value_typeEPNST_ISO_E10value_typeEPSP_NS1_7vsmem_tEENKUlT_SN_SO_SP_E_clIPjSG_PS9_SI_EESM_S12_SN_SO_SP_EUlS12_E_NS1_11comp_targetILNS1_3genE2ELNS1_11target_archE906ELNS1_3gpuE6ELNS1_3repE0EEENS1_48merge_mergepath_partition_config_static_selectorELNS0_4arch9wavefront6targetE1EEEvSO_,comdat
.Lfunc_end30:
	.size	_ZN7rocprim17ROCPRIM_400000_NS6detail17trampoline_kernelINS0_14default_configENS1_38merge_sort_block_merge_config_selectorIjN6thrust23THRUST_200600_302600_NS5tupleIffNS6_9null_typeES8_S8_S8_S8_S8_S8_S8_EEEEZZNS1_27merge_sort_block_merge_implIS3_NS6_6detail15normal_iteratorINS6_10device_ptrIjEEEENSD_INSE_IS9_EEEEjNS1_19radix_merge_compareILb0ELb0EjNS0_19identity_decomposerEEEEE10hipError_tT0_T1_T2_jT3_P12ihipStream_tbPNSt15iterator_traitsISN_E10value_typeEPNST_ISO_E10value_typeEPSP_NS1_7vsmem_tEENKUlT_SN_SO_SP_E_clIPjSG_PS9_SI_EESM_S12_SN_SO_SP_EUlS12_E_NS1_11comp_targetILNS1_3genE2ELNS1_11target_archE906ELNS1_3gpuE6ELNS1_3repE0EEENS1_48merge_mergepath_partition_config_static_selectorELNS0_4arch9wavefront6targetE1EEEvSO_, .Lfunc_end30-_ZN7rocprim17ROCPRIM_400000_NS6detail17trampoline_kernelINS0_14default_configENS1_38merge_sort_block_merge_config_selectorIjN6thrust23THRUST_200600_302600_NS5tupleIffNS6_9null_typeES8_S8_S8_S8_S8_S8_S8_EEEEZZNS1_27merge_sort_block_merge_implIS3_NS6_6detail15normal_iteratorINS6_10device_ptrIjEEEENSD_INSE_IS9_EEEEjNS1_19radix_merge_compareILb0ELb0EjNS0_19identity_decomposerEEEEE10hipError_tT0_T1_T2_jT3_P12ihipStream_tbPNSt15iterator_traitsISN_E10value_typeEPNST_ISO_E10value_typeEPSP_NS1_7vsmem_tEENKUlT_SN_SO_SP_E_clIPjSG_PS9_SI_EESM_S12_SN_SO_SP_EUlS12_E_NS1_11comp_targetILNS1_3genE2ELNS1_11target_archE906ELNS1_3gpuE6ELNS1_3repE0EEENS1_48merge_mergepath_partition_config_static_selectorELNS0_4arch9wavefront6targetE1EEEvSO_
                                        ; -- End function
	.section	.AMDGPU.csdata,"",@progbits
; Kernel info:
; codeLenInByte = 0
; NumSgprs: 4
; NumVgprs: 0
; NumAgprs: 0
; TotalNumVgprs: 0
; ScratchSize: 0
; MemoryBound: 0
; FloatMode: 240
; IeeeMode: 1
; LDSByteSize: 0 bytes/workgroup (compile time only)
; SGPRBlocks: 0
; VGPRBlocks: 0
; NumSGPRsForWavesPerEU: 4
; NumVGPRsForWavesPerEU: 1
; AccumOffset: 4
; Occupancy: 8
; WaveLimiterHint : 0
; COMPUTE_PGM_RSRC2:SCRATCH_EN: 0
; COMPUTE_PGM_RSRC2:USER_SGPR: 6
; COMPUTE_PGM_RSRC2:TRAP_HANDLER: 0
; COMPUTE_PGM_RSRC2:TGID_X_EN: 1
; COMPUTE_PGM_RSRC2:TGID_Y_EN: 0
; COMPUTE_PGM_RSRC2:TGID_Z_EN: 0
; COMPUTE_PGM_RSRC2:TIDIG_COMP_CNT: 0
; COMPUTE_PGM_RSRC3_GFX90A:ACCUM_OFFSET: 0
; COMPUTE_PGM_RSRC3_GFX90A:TG_SPLIT: 0
	.section	.text._ZN7rocprim17ROCPRIM_400000_NS6detail17trampoline_kernelINS0_14default_configENS1_38merge_sort_block_merge_config_selectorIjN6thrust23THRUST_200600_302600_NS5tupleIffNS6_9null_typeES8_S8_S8_S8_S8_S8_S8_EEEEZZNS1_27merge_sort_block_merge_implIS3_NS6_6detail15normal_iteratorINS6_10device_ptrIjEEEENSD_INSE_IS9_EEEEjNS1_19radix_merge_compareILb0ELb0EjNS0_19identity_decomposerEEEEE10hipError_tT0_T1_T2_jT3_P12ihipStream_tbPNSt15iterator_traitsISN_E10value_typeEPNST_ISO_E10value_typeEPSP_NS1_7vsmem_tEENKUlT_SN_SO_SP_E_clIPjSG_PS9_SI_EESM_S12_SN_SO_SP_EUlS12_E_NS1_11comp_targetILNS1_3genE9ELNS1_11target_archE1100ELNS1_3gpuE3ELNS1_3repE0EEENS1_48merge_mergepath_partition_config_static_selectorELNS0_4arch9wavefront6targetE1EEEvSO_,"axG",@progbits,_ZN7rocprim17ROCPRIM_400000_NS6detail17trampoline_kernelINS0_14default_configENS1_38merge_sort_block_merge_config_selectorIjN6thrust23THRUST_200600_302600_NS5tupleIffNS6_9null_typeES8_S8_S8_S8_S8_S8_S8_EEEEZZNS1_27merge_sort_block_merge_implIS3_NS6_6detail15normal_iteratorINS6_10device_ptrIjEEEENSD_INSE_IS9_EEEEjNS1_19radix_merge_compareILb0ELb0EjNS0_19identity_decomposerEEEEE10hipError_tT0_T1_T2_jT3_P12ihipStream_tbPNSt15iterator_traitsISN_E10value_typeEPNST_ISO_E10value_typeEPSP_NS1_7vsmem_tEENKUlT_SN_SO_SP_E_clIPjSG_PS9_SI_EESM_S12_SN_SO_SP_EUlS12_E_NS1_11comp_targetILNS1_3genE9ELNS1_11target_archE1100ELNS1_3gpuE3ELNS1_3repE0EEENS1_48merge_mergepath_partition_config_static_selectorELNS0_4arch9wavefront6targetE1EEEvSO_,comdat
	.protected	_ZN7rocprim17ROCPRIM_400000_NS6detail17trampoline_kernelINS0_14default_configENS1_38merge_sort_block_merge_config_selectorIjN6thrust23THRUST_200600_302600_NS5tupleIffNS6_9null_typeES8_S8_S8_S8_S8_S8_S8_EEEEZZNS1_27merge_sort_block_merge_implIS3_NS6_6detail15normal_iteratorINS6_10device_ptrIjEEEENSD_INSE_IS9_EEEEjNS1_19radix_merge_compareILb0ELb0EjNS0_19identity_decomposerEEEEE10hipError_tT0_T1_T2_jT3_P12ihipStream_tbPNSt15iterator_traitsISN_E10value_typeEPNST_ISO_E10value_typeEPSP_NS1_7vsmem_tEENKUlT_SN_SO_SP_E_clIPjSG_PS9_SI_EESM_S12_SN_SO_SP_EUlS12_E_NS1_11comp_targetILNS1_3genE9ELNS1_11target_archE1100ELNS1_3gpuE3ELNS1_3repE0EEENS1_48merge_mergepath_partition_config_static_selectorELNS0_4arch9wavefront6targetE1EEEvSO_ ; -- Begin function _ZN7rocprim17ROCPRIM_400000_NS6detail17trampoline_kernelINS0_14default_configENS1_38merge_sort_block_merge_config_selectorIjN6thrust23THRUST_200600_302600_NS5tupleIffNS6_9null_typeES8_S8_S8_S8_S8_S8_S8_EEEEZZNS1_27merge_sort_block_merge_implIS3_NS6_6detail15normal_iteratorINS6_10device_ptrIjEEEENSD_INSE_IS9_EEEEjNS1_19radix_merge_compareILb0ELb0EjNS0_19identity_decomposerEEEEE10hipError_tT0_T1_T2_jT3_P12ihipStream_tbPNSt15iterator_traitsISN_E10value_typeEPNST_ISO_E10value_typeEPSP_NS1_7vsmem_tEENKUlT_SN_SO_SP_E_clIPjSG_PS9_SI_EESM_S12_SN_SO_SP_EUlS12_E_NS1_11comp_targetILNS1_3genE9ELNS1_11target_archE1100ELNS1_3gpuE3ELNS1_3repE0EEENS1_48merge_mergepath_partition_config_static_selectorELNS0_4arch9wavefront6targetE1EEEvSO_
	.globl	_ZN7rocprim17ROCPRIM_400000_NS6detail17trampoline_kernelINS0_14default_configENS1_38merge_sort_block_merge_config_selectorIjN6thrust23THRUST_200600_302600_NS5tupleIffNS6_9null_typeES8_S8_S8_S8_S8_S8_S8_EEEEZZNS1_27merge_sort_block_merge_implIS3_NS6_6detail15normal_iteratorINS6_10device_ptrIjEEEENSD_INSE_IS9_EEEEjNS1_19radix_merge_compareILb0ELb0EjNS0_19identity_decomposerEEEEE10hipError_tT0_T1_T2_jT3_P12ihipStream_tbPNSt15iterator_traitsISN_E10value_typeEPNST_ISO_E10value_typeEPSP_NS1_7vsmem_tEENKUlT_SN_SO_SP_E_clIPjSG_PS9_SI_EESM_S12_SN_SO_SP_EUlS12_E_NS1_11comp_targetILNS1_3genE9ELNS1_11target_archE1100ELNS1_3gpuE3ELNS1_3repE0EEENS1_48merge_mergepath_partition_config_static_selectorELNS0_4arch9wavefront6targetE1EEEvSO_
	.p2align	8
	.type	_ZN7rocprim17ROCPRIM_400000_NS6detail17trampoline_kernelINS0_14default_configENS1_38merge_sort_block_merge_config_selectorIjN6thrust23THRUST_200600_302600_NS5tupleIffNS6_9null_typeES8_S8_S8_S8_S8_S8_S8_EEEEZZNS1_27merge_sort_block_merge_implIS3_NS6_6detail15normal_iteratorINS6_10device_ptrIjEEEENSD_INSE_IS9_EEEEjNS1_19radix_merge_compareILb0ELb0EjNS0_19identity_decomposerEEEEE10hipError_tT0_T1_T2_jT3_P12ihipStream_tbPNSt15iterator_traitsISN_E10value_typeEPNST_ISO_E10value_typeEPSP_NS1_7vsmem_tEENKUlT_SN_SO_SP_E_clIPjSG_PS9_SI_EESM_S12_SN_SO_SP_EUlS12_E_NS1_11comp_targetILNS1_3genE9ELNS1_11target_archE1100ELNS1_3gpuE3ELNS1_3repE0EEENS1_48merge_mergepath_partition_config_static_selectorELNS0_4arch9wavefront6targetE1EEEvSO_,@function
_ZN7rocprim17ROCPRIM_400000_NS6detail17trampoline_kernelINS0_14default_configENS1_38merge_sort_block_merge_config_selectorIjN6thrust23THRUST_200600_302600_NS5tupleIffNS6_9null_typeES8_S8_S8_S8_S8_S8_S8_EEEEZZNS1_27merge_sort_block_merge_implIS3_NS6_6detail15normal_iteratorINS6_10device_ptrIjEEEENSD_INSE_IS9_EEEEjNS1_19radix_merge_compareILb0ELb0EjNS0_19identity_decomposerEEEEE10hipError_tT0_T1_T2_jT3_P12ihipStream_tbPNSt15iterator_traitsISN_E10value_typeEPNST_ISO_E10value_typeEPSP_NS1_7vsmem_tEENKUlT_SN_SO_SP_E_clIPjSG_PS9_SI_EESM_S12_SN_SO_SP_EUlS12_E_NS1_11comp_targetILNS1_3genE9ELNS1_11target_archE1100ELNS1_3gpuE3ELNS1_3repE0EEENS1_48merge_mergepath_partition_config_static_selectorELNS0_4arch9wavefront6targetE1EEEvSO_: ; @_ZN7rocprim17ROCPRIM_400000_NS6detail17trampoline_kernelINS0_14default_configENS1_38merge_sort_block_merge_config_selectorIjN6thrust23THRUST_200600_302600_NS5tupleIffNS6_9null_typeES8_S8_S8_S8_S8_S8_S8_EEEEZZNS1_27merge_sort_block_merge_implIS3_NS6_6detail15normal_iteratorINS6_10device_ptrIjEEEENSD_INSE_IS9_EEEEjNS1_19radix_merge_compareILb0ELb0EjNS0_19identity_decomposerEEEEE10hipError_tT0_T1_T2_jT3_P12ihipStream_tbPNSt15iterator_traitsISN_E10value_typeEPNST_ISO_E10value_typeEPSP_NS1_7vsmem_tEENKUlT_SN_SO_SP_E_clIPjSG_PS9_SI_EESM_S12_SN_SO_SP_EUlS12_E_NS1_11comp_targetILNS1_3genE9ELNS1_11target_archE1100ELNS1_3gpuE3ELNS1_3repE0EEENS1_48merge_mergepath_partition_config_static_selectorELNS0_4arch9wavefront6targetE1EEEvSO_
; %bb.0:
	.section	.rodata,"a",@progbits
	.p2align	6, 0x0
	.amdhsa_kernel _ZN7rocprim17ROCPRIM_400000_NS6detail17trampoline_kernelINS0_14default_configENS1_38merge_sort_block_merge_config_selectorIjN6thrust23THRUST_200600_302600_NS5tupleIffNS6_9null_typeES8_S8_S8_S8_S8_S8_S8_EEEEZZNS1_27merge_sort_block_merge_implIS3_NS6_6detail15normal_iteratorINS6_10device_ptrIjEEEENSD_INSE_IS9_EEEEjNS1_19radix_merge_compareILb0ELb0EjNS0_19identity_decomposerEEEEE10hipError_tT0_T1_T2_jT3_P12ihipStream_tbPNSt15iterator_traitsISN_E10value_typeEPNST_ISO_E10value_typeEPSP_NS1_7vsmem_tEENKUlT_SN_SO_SP_E_clIPjSG_PS9_SI_EESM_S12_SN_SO_SP_EUlS12_E_NS1_11comp_targetILNS1_3genE9ELNS1_11target_archE1100ELNS1_3gpuE3ELNS1_3repE0EEENS1_48merge_mergepath_partition_config_static_selectorELNS0_4arch9wavefront6targetE1EEEvSO_
		.amdhsa_group_segment_fixed_size 0
		.amdhsa_private_segment_fixed_size 0
		.amdhsa_kernarg_size 40
		.amdhsa_user_sgpr_count 6
		.amdhsa_user_sgpr_private_segment_buffer 1
		.amdhsa_user_sgpr_dispatch_ptr 0
		.amdhsa_user_sgpr_queue_ptr 0
		.amdhsa_user_sgpr_kernarg_segment_ptr 1
		.amdhsa_user_sgpr_dispatch_id 0
		.amdhsa_user_sgpr_flat_scratch_init 0
		.amdhsa_user_sgpr_kernarg_preload_length 0
		.amdhsa_user_sgpr_kernarg_preload_offset 0
		.amdhsa_user_sgpr_private_segment_size 0
		.amdhsa_uses_dynamic_stack 0
		.amdhsa_system_sgpr_private_segment_wavefront_offset 0
		.amdhsa_system_sgpr_workgroup_id_x 1
		.amdhsa_system_sgpr_workgroup_id_y 0
		.amdhsa_system_sgpr_workgroup_id_z 0
		.amdhsa_system_sgpr_workgroup_info 0
		.amdhsa_system_vgpr_workitem_id 0
		.amdhsa_next_free_vgpr 1
		.amdhsa_next_free_sgpr 0
		.amdhsa_accum_offset 4
		.amdhsa_reserve_vcc 0
		.amdhsa_reserve_flat_scratch 0
		.amdhsa_float_round_mode_32 0
		.amdhsa_float_round_mode_16_64 0
		.amdhsa_float_denorm_mode_32 3
		.amdhsa_float_denorm_mode_16_64 3
		.amdhsa_dx10_clamp 1
		.amdhsa_ieee_mode 1
		.amdhsa_fp16_overflow 0
		.amdhsa_tg_split 0
		.amdhsa_exception_fp_ieee_invalid_op 0
		.amdhsa_exception_fp_denorm_src 0
		.amdhsa_exception_fp_ieee_div_zero 0
		.amdhsa_exception_fp_ieee_overflow 0
		.amdhsa_exception_fp_ieee_underflow 0
		.amdhsa_exception_fp_ieee_inexact 0
		.amdhsa_exception_int_div_zero 0
	.end_amdhsa_kernel
	.section	.text._ZN7rocprim17ROCPRIM_400000_NS6detail17trampoline_kernelINS0_14default_configENS1_38merge_sort_block_merge_config_selectorIjN6thrust23THRUST_200600_302600_NS5tupleIffNS6_9null_typeES8_S8_S8_S8_S8_S8_S8_EEEEZZNS1_27merge_sort_block_merge_implIS3_NS6_6detail15normal_iteratorINS6_10device_ptrIjEEEENSD_INSE_IS9_EEEEjNS1_19radix_merge_compareILb0ELb0EjNS0_19identity_decomposerEEEEE10hipError_tT0_T1_T2_jT3_P12ihipStream_tbPNSt15iterator_traitsISN_E10value_typeEPNST_ISO_E10value_typeEPSP_NS1_7vsmem_tEENKUlT_SN_SO_SP_E_clIPjSG_PS9_SI_EESM_S12_SN_SO_SP_EUlS12_E_NS1_11comp_targetILNS1_3genE9ELNS1_11target_archE1100ELNS1_3gpuE3ELNS1_3repE0EEENS1_48merge_mergepath_partition_config_static_selectorELNS0_4arch9wavefront6targetE1EEEvSO_,"axG",@progbits,_ZN7rocprim17ROCPRIM_400000_NS6detail17trampoline_kernelINS0_14default_configENS1_38merge_sort_block_merge_config_selectorIjN6thrust23THRUST_200600_302600_NS5tupleIffNS6_9null_typeES8_S8_S8_S8_S8_S8_S8_EEEEZZNS1_27merge_sort_block_merge_implIS3_NS6_6detail15normal_iteratorINS6_10device_ptrIjEEEENSD_INSE_IS9_EEEEjNS1_19radix_merge_compareILb0ELb0EjNS0_19identity_decomposerEEEEE10hipError_tT0_T1_T2_jT3_P12ihipStream_tbPNSt15iterator_traitsISN_E10value_typeEPNST_ISO_E10value_typeEPSP_NS1_7vsmem_tEENKUlT_SN_SO_SP_E_clIPjSG_PS9_SI_EESM_S12_SN_SO_SP_EUlS12_E_NS1_11comp_targetILNS1_3genE9ELNS1_11target_archE1100ELNS1_3gpuE3ELNS1_3repE0EEENS1_48merge_mergepath_partition_config_static_selectorELNS0_4arch9wavefront6targetE1EEEvSO_,comdat
.Lfunc_end31:
	.size	_ZN7rocprim17ROCPRIM_400000_NS6detail17trampoline_kernelINS0_14default_configENS1_38merge_sort_block_merge_config_selectorIjN6thrust23THRUST_200600_302600_NS5tupleIffNS6_9null_typeES8_S8_S8_S8_S8_S8_S8_EEEEZZNS1_27merge_sort_block_merge_implIS3_NS6_6detail15normal_iteratorINS6_10device_ptrIjEEEENSD_INSE_IS9_EEEEjNS1_19radix_merge_compareILb0ELb0EjNS0_19identity_decomposerEEEEE10hipError_tT0_T1_T2_jT3_P12ihipStream_tbPNSt15iterator_traitsISN_E10value_typeEPNST_ISO_E10value_typeEPSP_NS1_7vsmem_tEENKUlT_SN_SO_SP_E_clIPjSG_PS9_SI_EESM_S12_SN_SO_SP_EUlS12_E_NS1_11comp_targetILNS1_3genE9ELNS1_11target_archE1100ELNS1_3gpuE3ELNS1_3repE0EEENS1_48merge_mergepath_partition_config_static_selectorELNS0_4arch9wavefront6targetE1EEEvSO_, .Lfunc_end31-_ZN7rocprim17ROCPRIM_400000_NS6detail17trampoline_kernelINS0_14default_configENS1_38merge_sort_block_merge_config_selectorIjN6thrust23THRUST_200600_302600_NS5tupleIffNS6_9null_typeES8_S8_S8_S8_S8_S8_S8_EEEEZZNS1_27merge_sort_block_merge_implIS3_NS6_6detail15normal_iteratorINS6_10device_ptrIjEEEENSD_INSE_IS9_EEEEjNS1_19radix_merge_compareILb0ELb0EjNS0_19identity_decomposerEEEEE10hipError_tT0_T1_T2_jT3_P12ihipStream_tbPNSt15iterator_traitsISN_E10value_typeEPNST_ISO_E10value_typeEPSP_NS1_7vsmem_tEENKUlT_SN_SO_SP_E_clIPjSG_PS9_SI_EESM_S12_SN_SO_SP_EUlS12_E_NS1_11comp_targetILNS1_3genE9ELNS1_11target_archE1100ELNS1_3gpuE3ELNS1_3repE0EEENS1_48merge_mergepath_partition_config_static_selectorELNS0_4arch9wavefront6targetE1EEEvSO_
                                        ; -- End function
	.section	.AMDGPU.csdata,"",@progbits
; Kernel info:
; codeLenInByte = 0
; NumSgprs: 4
; NumVgprs: 0
; NumAgprs: 0
; TotalNumVgprs: 0
; ScratchSize: 0
; MemoryBound: 0
; FloatMode: 240
; IeeeMode: 1
; LDSByteSize: 0 bytes/workgroup (compile time only)
; SGPRBlocks: 0
; VGPRBlocks: 0
; NumSGPRsForWavesPerEU: 4
; NumVGPRsForWavesPerEU: 1
; AccumOffset: 4
; Occupancy: 8
; WaveLimiterHint : 0
; COMPUTE_PGM_RSRC2:SCRATCH_EN: 0
; COMPUTE_PGM_RSRC2:USER_SGPR: 6
; COMPUTE_PGM_RSRC2:TRAP_HANDLER: 0
; COMPUTE_PGM_RSRC2:TGID_X_EN: 1
; COMPUTE_PGM_RSRC2:TGID_Y_EN: 0
; COMPUTE_PGM_RSRC2:TGID_Z_EN: 0
; COMPUTE_PGM_RSRC2:TIDIG_COMP_CNT: 0
; COMPUTE_PGM_RSRC3_GFX90A:ACCUM_OFFSET: 0
; COMPUTE_PGM_RSRC3_GFX90A:TG_SPLIT: 0
	.section	.text._ZN7rocprim17ROCPRIM_400000_NS6detail17trampoline_kernelINS0_14default_configENS1_38merge_sort_block_merge_config_selectorIjN6thrust23THRUST_200600_302600_NS5tupleIffNS6_9null_typeES8_S8_S8_S8_S8_S8_S8_EEEEZZNS1_27merge_sort_block_merge_implIS3_NS6_6detail15normal_iteratorINS6_10device_ptrIjEEEENSD_INSE_IS9_EEEEjNS1_19radix_merge_compareILb0ELb0EjNS0_19identity_decomposerEEEEE10hipError_tT0_T1_T2_jT3_P12ihipStream_tbPNSt15iterator_traitsISN_E10value_typeEPNST_ISO_E10value_typeEPSP_NS1_7vsmem_tEENKUlT_SN_SO_SP_E_clIPjSG_PS9_SI_EESM_S12_SN_SO_SP_EUlS12_E_NS1_11comp_targetILNS1_3genE8ELNS1_11target_archE1030ELNS1_3gpuE2ELNS1_3repE0EEENS1_48merge_mergepath_partition_config_static_selectorELNS0_4arch9wavefront6targetE1EEEvSO_,"axG",@progbits,_ZN7rocprim17ROCPRIM_400000_NS6detail17trampoline_kernelINS0_14default_configENS1_38merge_sort_block_merge_config_selectorIjN6thrust23THRUST_200600_302600_NS5tupleIffNS6_9null_typeES8_S8_S8_S8_S8_S8_S8_EEEEZZNS1_27merge_sort_block_merge_implIS3_NS6_6detail15normal_iteratorINS6_10device_ptrIjEEEENSD_INSE_IS9_EEEEjNS1_19radix_merge_compareILb0ELb0EjNS0_19identity_decomposerEEEEE10hipError_tT0_T1_T2_jT3_P12ihipStream_tbPNSt15iterator_traitsISN_E10value_typeEPNST_ISO_E10value_typeEPSP_NS1_7vsmem_tEENKUlT_SN_SO_SP_E_clIPjSG_PS9_SI_EESM_S12_SN_SO_SP_EUlS12_E_NS1_11comp_targetILNS1_3genE8ELNS1_11target_archE1030ELNS1_3gpuE2ELNS1_3repE0EEENS1_48merge_mergepath_partition_config_static_selectorELNS0_4arch9wavefront6targetE1EEEvSO_,comdat
	.protected	_ZN7rocprim17ROCPRIM_400000_NS6detail17trampoline_kernelINS0_14default_configENS1_38merge_sort_block_merge_config_selectorIjN6thrust23THRUST_200600_302600_NS5tupleIffNS6_9null_typeES8_S8_S8_S8_S8_S8_S8_EEEEZZNS1_27merge_sort_block_merge_implIS3_NS6_6detail15normal_iteratorINS6_10device_ptrIjEEEENSD_INSE_IS9_EEEEjNS1_19radix_merge_compareILb0ELb0EjNS0_19identity_decomposerEEEEE10hipError_tT0_T1_T2_jT3_P12ihipStream_tbPNSt15iterator_traitsISN_E10value_typeEPNST_ISO_E10value_typeEPSP_NS1_7vsmem_tEENKUlT_SN_SO_SP_E_clIPjSG_PS9_SI_EESM_S12_SN_SO_SP_EUlS12_E_NS1_11comp_targetILNS1_3genE8ELNS1_11target_archE1030ELNS1_3gpuE2ELNS1_3repE0EEENS1_48merge_mergepath_partition_config_static_selectorELNS0_4arch9wavefront6targetE1EEEvSO_ ; -- Begin function _ZN7rocprim17ROCPRIM_400000_NS6detail17trampoline_kernelINS0_14default_configENS1_38merge_sort_block_merge_config_selectorIjN6thrust23THRUST_200600_302600_NS5tupleIffNS6_9null_typeES8_S8_S8_S8_S8_S8_S8_EEEEZZNS1_27merge_sort_block_merge_implIS3_NS6_6detail15normal_iteratorINS6_10device_ptrIjEEEENSD_INSE_IS9_EEEEjNS1_19radix_merge_compareILb0ELb0EjNS0_19identity_decomposerEEEEE10hipError_tT0_T1_T2_jT3_P12ihipStream_tbPNSt15iterator_traitsISN_E10value_typeEPNST_ISO_E10value_typeEPSP_NS1_7vsmem_tEENKUlT_SN_SO_SP_E_clIPjSG_PS9_SI_EESM_S12_SN_SO_SP_EUlS12_E_NS1_11comp_targetILNS1_3genE8ELNS1_11target_archE1030ELNS1_3gpuE2ELNS1_3repE0EEENS1_48merge_mergepath_partition_config_static_selectorELNS0_4arch9wavefront6targetE1EEEvSO_
	.globl	_ZN7rocprim17ROCPRIM_400000_NS6detail17trampoline_kernelINS0_14default_configENS1_38merge_sort_block_merge_config_selectorIjN6thrust23THRUST_200600_302600_NS5tupleIffNS6_9null_typeES8_S8_S8_S8_S8_S8_S8_EEEEZZNS1_27merge_sort_block_merge_implIS3_NS6_6detail15normal_iteratorINS6_10device_ptrIjEEEENSD_INSE_IS9_EEEEjNS1_19radix_merge_compareILb0ELb0EjNS0_19identity_decomposerEEEEE10hipError_tT0_T1_T2_jT3_P12ihipStream_tbPNSt15iterator_traitsISN_E10value_typeEPNST_ISO_E10value_typeEPSP_NS1_7vsmem_tEENKUlT_SN_SO_SP_E_clIPjSG_PS9_SI_EESM_S12_SN_SO_SP_EUlS12_E_NS1_11comp_targetILNS1_3genE8ELNS1_11target_archE1030ELNS1_3gpuE2ELNS1_3repE0EEENS1_48merge_mergepath_partition_config_static_selectorELNS0_4arch9wavefront6targetE1EEEvSO_
	.p2align	8
	.type	_ZN7rocprim17ROCPRIM_400000_NS6detail17trampoline_kernelINS0_14default_configENS1_38merge_sort_block_merge_config_selectorIjN6thrust23THRUST_200600_302600_NS5tupleIffNS6_9null_typeES8_S8_S8_S8_S8_S8_S8_EEEEZZNS1_27merge_sort_block_merge_implIS3_NS6_6detail15normal_iteratorINS6_10device_ptrIjEEEENSD_INSE_IS9_EEEEjNS1_19radix_merge_compareILb0ELb0EjNS0_19identity_decomposerEEEEE10hipError_tT0_T1_T2_jT3_P12ihipStream_tbPNSt15iterator_traitsISN_E10value_typeEPNST_ISO_E10value_typeEPSP_NS1_7vsmem_tEENKUlT_SN_SO_SP_E_clIPjSG_PS9_SI_EESM_S12_SN_SO_SP_EUlS12_E_NS1_11comp_targetILNS1_3genE8ELNS1_11target_archE1030ELNS1_3gpuE2ELNS1_3repE0EEENS1_48merge_mergepath_partition_config_static_selectorELNS0_4arch9wavefront6targetE1EEEvSO_,@function
_ZN7rocprim17ROCPRIM_400000_NS6detail17trampoline_kernelINS0_14default_configENS1_38merge_sort_block_merge_config_selectorIjN6thrust23THRUST_200600_302600_NS5tupleIffNS6_9null_typeES8_S8_S8_S8_S8_S8_S8_EEEEZZNS1_27merge_sort_block_merge_implIS3_NS6_6detail15normal_iteratorINS6_10device_ptrIjEEEENSD_INSE_IS9_EEEEjNS1_19radix_merge_compareILb0ELb0EjNS0_19identity_decomposerEEEEE10hipError_tT0_T1_T2_jT3_P12ihipStream_tbPNSt15iterator_traitsISN_E10value_typeEPNST_ISO_E10value_typeEPSP_NS1_7vsmem_tEENKUlT_SN_SO_SP_E_clIPjSG_PS9_SI_EESM_S12_SN_SO_SP_EUlS12_E_NS1_11comp_targetILNS1_3genE8ELNS1_11target_archE1030ELNS1_3gpuE2ELNS1_3repE0EEENS1_48merge_mergepath_partition_config_static_selectorELNS0_4arch9wavefront6targetE1EEEvSO_: ; @_ZN7rocprim17ROCPRIM_400000_NS6detail17trampoline_kernelINS0_14default_configENS1_38merge_sort_block_merge_config_selectorIjN6thrust23THRUST_200600_302600_NS5tupleIffNS6_9null_typeES8_S8_S8_S8_S8_S8_S8_EEEEZZNS1_27merge_sort_block_merge_implIS3_NS6_6detail15normal_iteratorINS6_10device_ptrIjEEEENSD_INSE_IS9_EEEEjNS1_19radix_merge_compareILb0ELb0EjNS0_19identity_decomposerEEEEE10hipError_tT0_T1_T2_jT3_P12ihipStream_tbPNSt15iterator_traitsISN_E10value_typeEPNST_ISO_E10value_typeEPSP_NS1_7vsmem_tEENKUlT_SN_SO_SP_E_clIPjSG_PS9_SI_EESM_S12_SN_SO_SP_EUlS12_E_NS1_11comp_targetILNS1_3genE8ELNS1_11target_archE1030ELNS1_3gpuE2ELNS1_3repE0EEENS1_48merge_mergepath_partition_config_static_selectorELNS0_4arch9wavefront6targetE1EEEvSO_
; %bb.0:
	.section	.rodata,"a",@progbits
	.p2align	6, 0x0
	.amdhsa_kernel _ZN7rocprim17ROCPRIM_400000_NS6detail17trampoline_kernelINS0_14default_configENS1_38merge_sort_block_merge_config_selectorIjN6thrust23THRUST_200600_302600_NS5tupleIffNS6_9null_typeES8_S8_S8_S8_S8_S8_S8_EEEEZZNS1_27merge_sort_block_merge_implIS3_NS6_6detail15normal_iteratorINS6_10device_ptrIjEEEENSD_INSE_IS9_EEEEjNS1_19radix_merge_compareILb0ELb0EjNS0_19identity_decomposerEEEEE10hipError_tT0_T1_T2_jT3_P12ihipStream_tbPNSt15iterator_traitsISN_E10value_typeEPNST_ISO_E10value_typeEPSP_NS1_7vsmem_tEENKUlT_SN_SO_SP_E_clIPjSG_PS9_SI_EESM_S12_SN_SO_SP_EUlS12_E_NS1_11comp_targetILNS1_3genE8ELNS1_11target_archE1030ELNS1_3gpuE2ELNS1_3repE0EEENS1_48merge_mergepath_partition_config_static_selectorELNS0_4arch9wavefront6targetE1EEEvSO_
		.amdhsa_group_segment_fixed_size 0
		.amdhsa_private_segment_fixed_size 0
		.amdhsa_kernarg_size 40
		.amdhsa_user_sgpr_count 6
		.amdhsa_user_sgpr_private_segment_buffer 1
		.amdhsa_user_sgpr_dispatch_ptr 0
		.amdhsa_user_sgpr_queue_ptr 0
		.amdhsa_user_sgpr_kernarg_segment_ptr 1
		.amdhsa_user_sgpr_dispatch_id 0
		.amdhsa_user_sgpr_flat_scratch_init 0
		.amdhsa_user_sgpr_kernarg_preload_length 0
		.amdhsa_user_sgpr_kernarg_preload_offset 0
		.amdhsa_user_sgpr_private_segment_size 0
		.amdhsa_uses_dynamic_stack 0
		.amdhsa_system_sgpr_private_segment_wavefront_offset 0
		.amdhsa_system_sgpr_workgroup_id_x 1
		.amdhsa_system_sgpr_workgroup_id_y 0
		.amdhsa_system_sgpr_workgroup_id_z 0
		.amdhsa_system_sgpr_workgroup_info 0
		.amdhsa_system_vgpr_workitem_id 0
		.amdhsa_next_free_vgpr 1
		.amdhsa_next_free_sgpr 0
		.amdhsa_accum_offset 4
		.amdhsa_reserve_vcc 0
		.amdhsa_reserve_flat_scratch 0
		.amdhsa_float_round_mode_32 0
		.amdhsa_float_round_mode_16_64 0
		.amdhsa_float_denorm_mode_32 3
		.amdhsa_float_denorm_mode_16_64 3
		.amdhsa_dx10_clamp 1
		.amdhsa_ieee_mode 1
		.amdhsa_fp16_overflow 0
		.amdhsa_tg_split 0
		.amdhsa_exception_fp_ieee_invalid_op 0
		.amdhsa_exception_fp_denorm_src 0
		.amdhsa_exception_fp_ieee_div_zero 0
		.amdhsa_exception_fp_ieee_overflow 0
		.amdhsa_exception_fp_ieee_underflow 0
		.amdhsa_exception_fp_ieee_inexact 0
		.amdhsa_exception_int_div_zero 0
	.end_amdhsa_kernel
	.section	.text._ZN7rocprim17ROCPRIM_400000_NS6detail17trampoline_kernelINS0_14default_configENS1_38merge_sort_block_merge_config_selectorIjN6thrust23THRUST_200600_302600_NS5tupleIffNS6_9null_typeES8_S8_S8_S8_S8_S8_S8_EEEEZZNS1_27merge_sort_block_merge_implIS3_NS6_6detail15normal_iteratorINS6_10device_ptrIjEEEENSD_INSE_IS9_EEEEjNS1_19radix_merge_compareILb0ELb0EjNS0_19identity_decomposerEEEEE10hipError_tT0_T1_T2_jT3_P12ihipStream_tbPNSt15iterator_traitsISN_E10value_typeEPNST_ISO_E10value_typeEPSP_NS1_7vsmem_tEENKUlT_SN_SO_SP_E_clIPjSG_PS9_SI_EESM_S12_SN_SO_SP_EUlS12_E_NS1_11comp_targetILNS1_3genE8ELNS1_11target_archE1030ELNS1_3gpuE2ELNS1_3repE0EEENS1_48merge_mergepath_partition_config_static_selectorELNS0_4arch9wavefront6targetE1EEEvSO_,"axG",@progbits,_ZN7rocprim17ROCPRIM_400000_NS6detail17trampoline_kernelINS0_14default_configENS1_38merge_sort_block_merge_config_selectorIjN6thrust23THRUST_200600_302600_NS5tupleIffNS6_9null_typeES8_S8_S8_S8_S8_S8_S8_EEEEZZNS1_27merge_sort_block_merge_implIS3_NS6_6detail15normal_iteratorINS6_10device_ptrIjEEEENSD_INSE_IS9_EEEEjNS1_19radix_merge_compareILb0ELb0EjNS0_19identity_decomposerEEEEE10hipError_tT0_T1_T2_jT3_P12ihipStream_tbPNSt15iterator_traitsISN_E10value_typeEPNST_ISO_E10value_typeEPSP_NS1_7vsmem_tEENKUlT_SN_SO_SP_E_clIPjSG_PS9_SI_EESM_S12_SN_SO_SP_EUlS12_E_NS1_11comp_targetILNS1_3genE8ELNS1_11target_archE1030ELNS1_3gpuE2ELNS1_3repE0EEENS1_48merge_mergepath_partition_config_static_selectorELNS0_4arch9wavefront6targetE1EEEvSO_,comdat
.Lfunc_end32:
	.size	_ZN7rocprim17ROCPRIM_400000_NS6detail17trampoline_kernelINS0_14default_configENS1_38merge_sort_block_merge_config_selectorIjN6thrust23THRUST_200600_302600_NS5tupleIffNS6_9null_typeES8_S8_S8_S8_S8_S8_S8_EEEEZZNS1_27merge_sort_block_merge_implIS3_NS6_6detail15normal_iteratorINS6_10device_ptrIjEEEENSD_INSE_IS9_EEEEjNS1_19radix_merge_compareILb0ELb0EjNS0_19identity_decomposerEEEEE10hipError_tT0_T1_T2_jT3_P12ihipStream_tbPNSt15iterator_traitsISN_E10value_typeEPNST_ISO_E10value_typeEPSP_NS1_7vsmem_tEENKUlT_SN_SO_SP_E_clIPjSG_PS9_SI_EESM_S12_SN_SO_SP_EUlS12_E_NS1_11comp_targetILNS1_3genE8ELNS1_11target_archE1030ELNS1_3gpuE2ELNS1_3repE0EEENS1_48merge_mergepath_partition_config_static_selectorELNS0_4arch9wavefront6targetE1EEEvSO_, .Lfunc_end32-_ZN7rocprim17ROCPRIM_400000_NS6detail17trampoline_kernelINS0_14default_configENS1_38merge_sort_block_merge_config_selectorIjN6thrust23THRUST_200600_302600_NS5tupleIffNS6_9null_typeES8_S8_S8_S8_S8_S8_S8_EEEEZZNS1_27merge_sort_block_merge_implIS3_NS6_6detail15normal_iteratorINS6_10device_ptrIjEEEENSD_INSE_IS9_EEEEjNS1_19radix_merge_compareILb0ELb0EjNS0_19identity_decomposerEEEEE10hipError_tT0_T1_T2_jT3_P12ihipStream_tbPNSt15iterator_traitsISN_E10value_typeEPNST_ISO_E10value_typeEPSP_NS1_7vsmem_tEENKUlT_SN_SO_SP_E_clIPjSG_PS9_SI_EESM_S12_SN_SO_SP_EUlS12_E_NS1_11comp_targetILNS1_3genE8ELNS1_11target_archE1030ELNS1_3gpuE2ELNS1_3repE0EEENS1_48merge_mergepath_partition_config_static_selectorELNS0_4arch9wavefront6targetE1EEEvSO_
                                        ; -- End function
	.section	.AMDGPU.csdata,"",@progbits
; Kernel info:
; codeLenInByte = 0
; NumSgprs: 4
; NumVgprs: 0
; NumAgprs: 0
; TotalNumVgprs: 0
; ScratchSize: 0
; MemoryBound: 0
; FloatMode: 240
; IeeeMode: 1
; LDSByteSize: 0 bytes/workgroup (compile time only)
; SGPRBlocks: 0
; VGPRBlocks: 0
; NumSGPRsForWavesPerEU: 4
; NumVGPRsForWavesPerEU: 1
; AccumOffset: 4
; Occupancy: 8
; WaveLimiterHint : 0
; COMPUTE_PGM_RSRC2:SCRATCH_EN: 0
; COMPUTE_PGM_RSRC2:USER_SGPR: 6
; COMPUTE_PGM_RSRC2:TRAP_HANDLER: 0
; COMPUTE_PGM_RSRC2:TGID_X_EN: 1
; COMPUTE_PGM_RSRC2:TGID_Y_EN: 0
; COMPUTE_PGM_RSRC2:TGID_Z_EN: 0
; COMPUTE_PGM_RSRC2:TIDIG_COMP_CNT: 0
; COMPUTE_PGM_RSRC3_GFX90A:ACCUM_OFFSET: 0
; COMPUTE_PGM_RSRC3_GFX90A:TG_SPLIT: 0
	.section	.text._ZN7rocprim17ROCPRIM_400000_NS6detail17trampoline_kernelINS0_14default_configENS1_38merge_sort_block_merge_config_selectorIjN6thrust23THRUST_200600_302600_NS5tupleIffNS6_9null_typeES8_S8_S8_S8_S8_S8_S8_EEEEZZNS1_27merge_sort_block_merge_implIS3_NS6_6detail15normal_iteratorINS6_10device_ptrIjEEEENSD_INSE_IS9_EEEEjNS1_19radix_merge_compareILb0ELb0EjNS0_19identity_decomposerEEEEE10hipError_tT0_T1_T2_jT3_P12ihipStream_tbPNSt15iterator_traitsISN_E10value_typeEPNST_ISO_E10value_typeEPSP_NS1_7vsmem_tEENKUlT_SN_SO_SP_E_clIPjSG_PS9_SI_EESM_S12_SN_SO_SP_EUlS12_E0_NS1_11comp_targetILNS1_3genE0ELNS1_11target_archE4294967295ELNS1_3gpuE0ELNS1_3repE0EEENS1_38merge_mergepath_config_static_selectorELNS0_4arch9wavefront6targetE1EEEvSO_,"axG",@progbits,_ZN7rocprim17ROCPRIM_400000_NS6detail17trampoline_kernelINS0_14default_configENS1_38merge_sort_block_merge_config_selectorIjN6thrust23THRUST_200600_302600_NS5tupleIffNS6_9null_typeES8_S8_S8_S8_S8_S8_S8_EEEEZZNS1_27merge_sort_block_merge_implIS3_NS6_6detail15normal_iteratorINS6_10device_ptrIjEEEENSD_INSE_IS9_EEEEjNS1_19radix_merge_compareILb0ELb0EjNS0_19identity_decomposerEEEEE10hipError_tT0_T1_T2_jT3_P12ihipStream_tbPNSt15iterator_traitsISN_E10value_typeEPNST_ISO_E10value_typeEPSP_NS1_7vsmem_tEENKUlT_SN_SO_SP_E_clIPjSG_PS9_SI_EESM_S12_SN_SO_SP_EUlS12_E0_NS1_11comp_targetILNS1_3genE0ELNS1_11target_archE4294967295ELNS1_3gpuE0ELNS1_3repE0EEENS1_38merge_mergepath_config_static_selectorELNS0_4arch9wavefront6targetE1EEEvSO_,comdat
	.protected	_ZN7rocprim17ROCPRIM_400000_NS6detail17trampoline_kernelINS0_14default_configENS1_38merge_sort_block_merge_config_selectorIjN6thrust23THRUST_200600_302600_NS5tupleIffNS6_9null_typeES8_S8_S8_S8_S8_S8_S8_EEEEZZNS1_27merge_sort_block_merge_implIS3_NS6_6detail15normal_iteratorINS6_10device_ptrIjEEEENSD_INSE_IS9_EEEEjNS1_19radix_merge_compareILb0ELb0EjNS0_19identity_decomposerEEEEE10hipError_tT0_T1_T2_jT3_P12ihipStream_tbPNSt15iterator_traitsISN_E10value_typeEPNST_ISO_E10value_typeEPSP_NS1_7vsmem_tEENKUlT_SN_SO_SP_E_clIPjSG_PS9_SI_EESM_S12_SN_SO_SP_EUlS12_E0_NS1_11comp_targetILNS1_3genE0ELNS1_11target_archE4294967295ELNS1_3gpuE0ELNS1_3repE0EEENS1_38merge_mergepath_config_static_selectorELNS0_4arch9wavefront6targetE1EEEvSO_ ; -- Begin function _ZN7rocprim17ROCPRIM_400000_NS6detail17trampoline_kernelINS0_14default_configENS1_38merge_sort_block_merge_config_selectorIjN6thrust23THRUST_200600_302600_NS5tupleIffNS6_9null_typeES8_S8_S8_S8_S8_S8_S8_EEEEZZNS1_27merge_sort_block_merge_implIS3_NS6_6detail15normal_iteratorINS6_10device_ptrIjEEEENSD_INSE_IS9_EEEEjNS1_19radix_merge_compareILb0ELb0EjNS0_19identity_decomposerEEEEE10hipError_tT0_T1_T2_jT3_P12ihipStream_tbPNSt15iterator_traitsISN_E10value_typeEPNST_ISO_E10value_typeEPSP_NS1_7vsmem_tEENKUlT_SN_SO_SP_E_clIPjSG_PS9_SI_EESM_S12_SN_SO_SP_EUlS12_E0_NS1_11comp_targetILNS1_3genE0ELNS1_11target_archE4294967295ELNS1_3gpuE0ELNS1_3repE0EEENS1_38merge_mergepath_config_static_selectorELNS0_4arch9wavefront6targetE1EEEvSO_
	.globl	_ZN7rocprim17ROCPRIM_400000_NS6detail17trampoline_kernelINS0_14default_configENS1_38merge_sort_block_merge_config_selectorIjN6thrust23THRUST_200600_302600_NS5tupleIffNS6_9null_typeES8_S8_S8_S8_S8_S8_S8_EEEEZZNS1_27merge_sort_block_merge_implIS3_NS6_6detail15normal_iteratorINS6_10device_ptrIjEEEENSD_INSE_IS9_EEEEjNS1_19radix_merge_compareILb0ELb0EjNS0_19identity_decomposerEEEEE10hipError_tT0_T1_T2_jT3_P12ihipStream_tbPNSt15iterator_traitsISN_E10value_typeEPNST_ISO_E10value_typeEPSP_NS1_7vsmem_tEENKUlT_SN_SO_SP_E_clIPjSG_PS9_SI_EESM_S12_SN_SO_SP_EUlS12_E0_NS1_11comp_targetILNS1_3genE0ELNS1_11target_archE4294967295ELNS1_3gpuE0ELNS1_3repE0EEENS1_38merge_mergepath_config_static_selectorELNS0_4arch9wavefront6targetE1EEEvSO_
	.p2align	8
	.type	_ZN7rocprim17ROCPRIM_400000_NS6detail17trampoline_kernelINS0_14default_configENS1_38merge_sort_block_merge_config_selectorIjN6thrust23THRUST_200600_302600_NS5tupleIffNS6_9null_typeES8_S8_S8_S8_S8_S8_S8_EEEEZZNS1_27merge_sort_block_merge_implIS3_NS6_6detail15normal_iteratorINS6_10device_ptrIjEEEENSD_INSE_IS9_EEEEjNS1_19radix_merge_compareILb0ELb0EjNS0_19identity_decomposerEEEEE10hipError_tT0_T1_T2_jT3_P12ihipStream_tbPNSt15iterator_traitsISN_E10value_typeEPNST_ISO_E10value_typeEPSP_NS1_7vsmem_tEENKUlT_SN_SO_SP_E_clIPjSG_PS9_SI_EESM_S12_SN_SO_SP_EUlS12_E0_NS1_11comp_targetILNS1_3genE0ELNS1_11target_archE4294967295ELNS1_3gpuE0ELNS1_3repE0EEENS1_38merge_mergepath_config_static_selectorELNS0_4arch9wavefront6targetE1EEEvSO_,@function
_ZN7rocprim17ROCPRIM_400000_NS6detail17trampoline_kernelINS0_14default_configENS1_38merge_sort_block_merge_config_selectorIjN6thrust23THRUST_200600_302600_NS5tupleIffNS6_9null_typeES8_S8_S8_S8_S8_S8_S8_EEEEZZNS1_27merge_sort_block_merge_implIS3_NS6_6detail15normal_iteratorINS6_10device_ptrIjEEEENSD_INSE_IS9_EEEEjNS1_19radix_merge_compareILb0ELb0EjNS0_19identity_decomposerEEEEE10hipError_tT0_T1_T2_jT3_P12ihipStream_tbPNSt15iterator_traitsISN_E10value_typeEPNST_ISO_E10value_typeEPSP_NS1_7vsmem_tEENKUlT_SN_SO_SP_E_clIPjSG_PS9_SI_EESM_S12_SN_SO_SP_EUlS12_E0_NS1_11comp_targetILNS1_3genE0ELNS1_11target_archE4294967295ELNS1_3gpuE0ELNS1_3repE0EEENS1_38merge_mergepath_config_static_selectorELNS0_4arch9wavefront6targetE1EEEvSO_: ; @_ZN7rocprim17ROCPRIM_400000_NS6detail17trampoline_kernelINS0_14default_configENS1_38merge_sort_block_merge_config_selectorIjN6thrust23THRUST_200600_302600_NS5tupleIffNS6_9null_typeES8_S8_S8_S8_S8_S8_S8_EEEEZZNS1_27merge_sort_block_merge_implIS3_NS6_6detail15normal_iteratorINS6_10device_ptrIjEEEENSD_INSE_IS9_EEEEjNS1_19radix_merge_compareILb0ELb0EjNS0_19identity_decomposerEEEEE10hipError_tT0_T1_T2_jT3_P12ihipStream_tbPNSt15iterator_traitsISN_E10value_typeEPNST_ISO_E10value_typeEPSP_NS1_7vsmem_tEENKUlT_SN_SO_SP_E_clIPjSG_PS9_SI_EESM_S12_SN_SO_SP_EUlS12_E0_NS1_11comp_targetILNS1_3genE0ELNS1_11target_archE4294967295ELNS1_3gpuE0ELNS1_3repE0EEENS1_38merge_mergepath_config_static_selectorELNS0_4arch9wavefront6targetE1EEEvSO_
; %bb.0:
	.section	.rodata,"a",@progbits
	.p2align	6, 0x0
	.amdhsa_kernel _ZN7rocprim17ROCPRIM_400000_NS6detail17trampoline_kernelINS0_14default_configENS1_38merge_sort_block_merge_config_selectorIjN6thrust23THRUST_200600_302600_NS5tupleIffNS6_9null_typeES8_S8_S8_S8_S8_S8_S8_EEEEZZNS1_27merge_sort_block_merge_implIS3_NS6_6detail15normal_iteratorINS6_10device_ptrIjEEEENSD_INSE_IS9_EEEEjNS1_19radix_merge_compareILb0ELb0EjNS0_19identity_decomposerEEEEE10hipError_tT0_T1_T2_jT3_P12ihipStream_tbPNSt15iterator_traitsISN_E10value_typeEPNST_ISO_E10value_typeEPSP_NS1_7vsmem_tEENKUlT_SN_SO_SP_E_clIPjSG_PS9_SI_EESM_S12_SN_SO_SP_EUlS12_E0_NS1_11comp_targetILNS1_3genE0ELNS1_11target_archE4294967295ELNS1_3gpuE0ELNS1_3repE0EEENS1_38merge_mergepath_config_static_selectorELNS0_4arch9wavefront6targetE1EEEvSO_
		.amdhsa_group_segment_fixed_size 0
		.amdhsa_private_segment_fixed_size 0
		.amdhsa_kernarg_size 64
		.amdhsa_user_sgpr_count 6
		.amdhsa_user_sgpr_private_segment_buffer 1
		.amdhsa_user_sgpr_dispatch_ptr 0
		.amdhsa_user_sgpr_queue_ptr 0
		.amdhsa_user_sgpr_kernarg_segment_ptr 1
		.amdhsa_user_sgpr_dispatch_id 0
		.amdhsa_user_sgpr_flat_scratch_init 0
		.amdhsa_user_sgpr_kernarg_preload_length 0
		.amdhsa_user_sgpr_kernarg_preload_offset 0
		.amdhsa_user_sgpr_private_segment_size 0
		.amdhsa_uses_dynamic_stack 0
		.amdhsa_system_sgpr_private_segment_wavefront_offset 0
		.amdhsa_system_sgpr_workgroup_id_x 1
		.amdhsa_system_sgpr_workgroup_id_y 0
		.amdhsa_system_sgpr_workgroup_id_z 0
		.amdhsa_system_sgpr_workgroup_info 0
		.amdhsa_system_vgpr_workitem_id 0
		.amdhsa_next_free_vgpr 1
		.amdhsa_next_free_sgpr 0
		.amdhsa_accum_offset 4
		.amdhsa_reserve_vcc 0
		.amdhsa_reserve_flat_scratch 0
		.amdhsa_float_round_mode_32 0
		.amdhsa_float_round_mode_16_64 0
		.amdhsa_float_denorm_mode_32 3
		.amdhsa_float_denorm_mode_16_64 3
		.amdhsa_dx10_clamp 1
		.amdhsa_ieee_mode 1
		.amdhsa_fp16_overflow 0
		.amdhsa_tg_split 0
		.amdhsa_exception_fp_ieee_invalid_op 0
		.amdhsa_exception_fp_denorm_src 0
		.amdhsa_exception_fp_ieee_div_zero 0
		.amdhsa_exception_fp_ieee_overflow 0
		.amdhsa_exception_fp_ieee_underflow 0
		.amdhsa_exception_fp_ieee_inexact 0
		.amdhsa_exception_int_div_zero 0
	.end_amdhsa_kernel
	.section	.text._ZN7rocprim17ROCPRIM_400000_NS6detail17trampoline_kernelINS0_14default_configENS1_38merge_sort_block_merge_config_selectorIjN6thrust23THRUST_200600_302600_NS5tupleIffNS6_9null_typeES8_S8_S8_S8_S8_S8_S8_EEEEZZNS1_27merge_sort_block_merge_implIS3_NS6_6detail15normal_iteratorINS6_10device_ptrIjEEEENSD_INSE_IS9_EEEEjNS1_19radix_merge_compareILb0ELb0EjNS0_19identity_decomposerEEEEE10hipError_tT0_T1_T2_jT3_P12ihipStream_tbPNSt15iterator_traitsISN_E10value_typeEPNST_ISO_E10value_typeEPSP_NS1_7vsmem_tEENKUlT_SN_SO_SP_E_clIPjSG_PS9_SI_EESM_S12_SN_SO_SP_EUlS12_E0_NS1_11comp_targetILNS1_3genE0ELNS1_11target_archE4294967295ELNS1_3gpuE0ELNS1_3repE0EEENS1_38merge_mergepath_config_static_selectorELNS0_4arch9wavefront6targetE1EEEvSO_,"axG",@progbits,_ZN7rocprim17ROCPRIM_400000_NS6detail17trampoline_kernelINS0_14default_configENS1_38merge_sort_block_merge_config_selectorIjN6thrust23THRUST_200600_302600_NS5tupleIffNS6_9null_typeES8_S8_S8_S8_S8_S8_S8_EEEEZZNS1_27merge_sort_block_merge_implIS3_NS6_6detail15normal_iteratorINS6_10device_ptrIjEEEENSD_INSE_IS9_EEEEjNS1_19radix_merge_compareILb0ELb0EjNS0_19identity_decomposerEEEEE10hipError_tT0_T1_T2_jT3_P12ihipStream_tbPNSt15iterator_traitsISN_E10value_typeEPNST_ISO_E10value_typeEPSP_NS1_7vsmem_tEENKUlT_SN_SO_SP_E_clIPjSG_PS9_SI_EESM_S12_SN_SO_SP_EUlS12_E0_NS1_11comp_targetILNS1_3genE0ELNS1_11target_archE4294967295ELNS1_3gpuE0ELNS1_3repE0EEENS1_38merge_mergepath_config_static_selectorELNS0_4arch9wavefront6targetE1EEEvSO_,comdat
.Lfunc_end33:
	.size	_ZN7rocprim17ROCPRIM_400000_NS6detail17trampoline_kernelINS0_14default_configENS1_38merge_sort_block_merge_config_selectorIjN6thrust23THRUST_200600_302600_NS5tupleIffNS6_9null_typeES8_S8_S8_S8_S8_S8_S8_EEEEZZNS1_27merge_sort_block_merge_implIS3_NS6_6detail15normal_iteratorINS6_10device_ptrIjEEEENSD_INSE_IS9_EEEEjNS1_19radix_merge_compareILb0ELb0EjNS0_19identity_decomposerEEEEE10hipError_tT0_T1_T2_jT3_P12ihipStream_tbPNSt15iterator_traitsISN_E10value_typeEPNST_ISO_E10value_typeEPSP_NS1_7vsmem_tEENKUlT_SN_SO_SP_E_clIPjSG_PS9_SI_EESM_S12_SN_SO_SP_EUlS12_E0_NS1_11comp_targetILNS1_3genE0ELNS1_11target_archE4294967295ELNS1_3gpuE0ELNS1_3repE0EEENS1_38merge_mergepath_config_static_selectorELNS0_4arch9wavefront6targetE1EEEvSO_, .Lfunc_end33-_ZN7rocprim17ROCPRIM_400000_NS6detail17trampoline_kernelINS0_14default_configENS1_38merge_sort_block_merge_config_selectorIjN6thrust23THRUST_200600_302600_NS5tupleIffNS6_9null_typeES8_S8_S8_S8_S8_S8_S8_EEEEZZNS1_27merge_sort_block_merge_implIS3_NS6_6detail15normal_iteratorINS6_10device_ptrIjEEEENSD_INSE_IS9_EEEEjNS1_19radix_merge_compareILb0ELb0EjNS0_19identity_decomposerEEEEE10hipError_tT0_T1_T2_jT3_P12ihipStream_tbPNSt15iterator_traitsISN_E10value_typeEPNST_ISO_E10value_typeEPSP_NS1_7vsmem_tEENKUlT_SN_SO_SP_E_clIPjSG_PS9_SI_EESM_S12_SN_SO_SP_EUlS12_E0_NS1_11comp_targetILNS1_3genE0ELNS1_11target_archE4294967295ELNS1_3gpuE0ELNS1_3repE0EEENS1_38merge_mergepath_config_static_selectorELNS0_4arch9wavefront6targetE1EEEvSO_
                                        ; -- End function
	.section	.AMDGPU.csdata,"",@progbits
; Kernel info:
; codeLenInByte = 0
; NumSgprs: 4
; NumVgprs: 0
; NumAgprs: 0
; TotalNumVgprs: 0
; ScratchSize: 0
; MemoryBound: 0
; FloatMode: 240
; IeeeMode: 1
; LDSByteSize: 0 bytes/workgroup (compile time only)
; SGPRBlocks: 0
; VGPRBlocks: 0
; NumSGPRsForWavesPerEU: 4
; NumVGPRsForWavesPerEU: 1
; AccumOffset: 4
; Occupancy: 8
; WaveLimiterHint : 0
; COMPUTE_PGM_RSRC2:SCRATCH_EN: 0
; COMPUTE_PGM_RSRC2:USER_SGPR: 6
; COMPUTE_PGM_RSRC2:TRAP_HANDLER: 0
; COMPUTE_PGM_RSRC2:TGID_X_EN: 1
; COMPUTE_PGM_RSRC2:TGID_Y_EN: 0
; COMPUTE_PGM_RSRC2:TGID_Z_EN: 0
; COMPUTE_PGM_RSRC2:TIDIG_COMP_CNT: 0
; COMPUTE_PGM_RSRC3_GFX90A:ACCUM_OFFSET: 0
; COMPUTE_PGM_RSRC3_GFX90A:TG_SPLIT: 0
	.section	.text._ZN7rocprim17ROCPRIM_400000_NS6detail17trampoline_kernelINS0_14default_configENS1_38merge_sort_block_merge_config_selectorIjN6thrust23THRUST_200600_302600_NS5tupleIffNS6_9null_typeES8_S8_S8_S8_S8_S8_S8_EEEEZZNS1_27merge_sort_block_merge_implIS3_NS6_6detail15normal_iteratorINS6_10device_ptrIjEEEENSD_INSE_IS9_EEEEjNS1_19radix_merge_compareILb0ELb0EjNS0_19identity_decomposerEEEEE10hipError_tT0_T1_T2_jT3_P12ihipStream_tbPNSt15iterator_traitsISN_E10value_typeEPNST_ISO_E10value_typeEPSP_NS1_7vsmem_tEENKUlT_SN_SO_SP_E_clIPjSG_PS9_SI_EESM_S12_SN_SO_SP_EUlS12_E0_NS1_11comp_targetILNS1_3genE10ELNS1_11target_archE1201ELNS1_3gpuE5ELNS1_3repE0EEENS1_38merge_mergepath_config_static_selectorELNS0_4arch9wavefront6targetE1EEEvSO_,"axG",@progbits,_ZN7rocprim17ROCPRIM_400000_NS6detail17trampoline_kernelINS0_14default_configENS1_38merge_sort_block_merge_config_selectorIjN6thrust23THRUST_200600_302600_NS5tupleIffNS6_9null_typeES8_S8_S8_S8_S8_S8_S8_EEEEZZNS1_27merge_sort_block_merge_implIS3_NS6_6detail15normal_iteratorINS6_10device_ptrIjEEEENSD_INSE_IS9_EEEEjNS1_19radix_merge_compareILb0ELb0EjNS0_19identity_decomposerEEEEE10hipError_tT0_T1_T2_jT3_P12ihipStream_tbPNSt15iterator_traitsISN_E10value_typeEPNST_ISO_E10value_typeEPSP_NS1_7vsmem_tEENKUlT_SN_SO_SP_E_clIPjSG_PS9_SI_EESM_S12_SN_SO_SP_EUlS12_E0_NS1_11comp_targetILNS1_3genE10ELNS1_11target_archE1201ELNS1_3gpuE5ELNS1_3repE0EEENS1_38merge_mergepath_config_static_selectorELNS0_4arch9wavefront6targetE1EEEvSO_,comdat
	.protected	_ZN7rocprim17ROCPRIM_400000_NS6detail17trampoline_kernelINS0_14default_configENS1_38merge_sort_block_merge_config_selectorIjN6thrust23THRUST_200600_302600_NS5tupleIffNS6_9null_typeES8_S8_S8_S8_S8_S8_S8_EEEEZZNS1_27merge_sort_block_merge_implIS3_NS6_6detail15normal_iteratorINS6_10device_ptrIjEEEENSD_INSE_IS9_EEEEjNS1_19radix_merge_compareILb0ELb0EjNS0_19identity_decomposerEEEEE10hipError_tT0_T1_T2_jT3_P12ihipStream_tbPNSt15iterator_traitsISN_E10value_typeEPNST_ISO_E10value_typeEPSP_NS1_7vsmem_tEENKUlT_SN_SO_SP_E_clIPjSG_PS9_SI_EESM_S12_SN_SO_SP_EUlS12_E0_NS1_11comp_targetILNS1_3genE10ELNS1_11target_archE1201ELNS1_3gpuE5ELNS1_3repE0EEENS1_38merge_mergepath_config_static_selectorELNS0_4arch9wavefront6targetE1EEEvSO_ ; -- Begin function _ZN7rocprim17ROCPRIM_400000_NS6detail17trampoline_kernelINS0_14default_configENS1_38merge_sort_block_merge_config_selectorIjN6thrust23THRUST_200600_302600_NS5tupleIffNS6_9null_typeES8_S8_S8_S8_S8_S8_S8_EEEEZZNS1_27merge_sort_block_merge_implIS3_NS6_6detail15normal_iteratorINS6_10device_ptrIjEEEENSD_INSE_IS9_EEEEjNS1_19radix_merge_compareILb0ELb0EjNS0_19identity_decomposerEEEEE10hipError_tT0_T1_T2_jT3_P12ihipStream_tbPNSt15iterator_traitsISN_E10value_typeEPNST_ISO_E10value_typeEPSP_NS1_7vsmem_tEENKUlT_SN_SO_SP_E_clIPjSG_PS9_SI_EESM_S12_SN_SO_SP_EUlS12_E0_NS1_11comp_targetILNS1_3genE10ELNS1_11target_archE1201ELNS1_3gpuE5ELNS1_3repE0EEENS1_38merge_mergepath_config_static_selectorELNS0_4arch9wavefront6targetE1EEEvSO_
	.globl	_ZN7rocprim17ROCPRIM_400000_NS6detail17trampoline_kernelINS0_14default_configENS1_38merge_sort_block_merge_config_selectorIjN6thrust23THRUST_200600_302600_NS5tupleIffNS6_9null_typeES8_S8_S8_S8_S8_S8_S8_EEEEZZNS1_27merge_sort_block_merge_implIS3_NS6_6detail15normal_iteratorINS6_10device_ptrIjEEEENSD_INSE_IS9_EEEEjNS1_19radix_merge_compareILb0ELb0EjNS0_19identity_decomposerEEEEE10hipError_tT0_T1_T2_jT3_P12ihipStream_tbPNSt15iterator_traitsISN_E10value_typeEPNST_ISO_E10value_typeEPSP_NS1_7vsmem_tEENKUlT_SN_SO_SP_E_clIPjSG_PS9_SI_EESM_S12_SN_SO_SP_EUlS12_E0_NS1_11comp_targetILNS1_3genE10ELNS1_11target_archE1201ELNS1_3gpuE5ELNS1_3repE0EEENS1_38merge_mergepath_config_static_selectorELNS0_4arch9wavefront6targetE1EEEvSO_
	.p2align	8
	.type	_ZN7rocprim17ROCPRIM_400000_NS6detail17trampoline_kernelINS0_14default_configENS1_38merge_sort_block_merge_config_selectorIjN6thrust23THRUST_200600_302600_NS5tupleIffNS6_9null_typeES8_S8_S8_S8_S8_S8_S8_EEEEZZNS1_27merge_sort_block_merge_implIS3_NS6_6detail15normal_iteratorINS6_10device_ptrIjEEEENSD_INSE_IS9_EEEEjNS1_19radix_merge_compareILb0ELb0EjNS0_19identity_decomposerEEEEE10hipError_tT0_T1_T2_jT3_P12ihipStream_tbPNSt15iterator_traitsISN_E10value_typeEPNST_ISO_E10value_typeEPSP_NS1_7vsmem_tEENKUlT_SN_SO_SP_E_clIPjSG_PS9_SI_EESM_S12_SN_SO_SP_EUlS12_E0_NS1_11comp_targetILNS1_3genE10ELNS1_11target_archE1201ELNS1_3gpuE5ELNS1_3repE0EEENS1_38merge_mergepath_config_static_selectorELNS0_4arch9wavefront6targetE1EEEvSO_,@function
_ZN7rocprim17ROCPRIM_400000_NS6detail17trampoline_kernelINS0_14default_configENS1_38merge_sort_block_merge_config_selectorIjN6thrust23THRUST_200600_302600_NS5tupleIffNS6_9null_typeES8_S8_S8_S8_S8_S8_S8_EEEEZZNS1_27merge_sort_block_merge_implIS3_NS6_6detail15normal_iteratorINS6_10device_ptrIjEEEENSD_INSE_IS9_EEEEjNS1_19radix_merge_compareILb0ELb0EjNS0_19identity_decomposerEEEEE10hipError_tT0_T1_T2_jT3_P12ihipStream_tbPNSt15iterator_traitsISN_E10value_typeEPNST_ISO_E10value_typeEPSP_NS1_7vsmem_tEENKUlT_SN_SO_SP_E_clIPjSG_PS9_SI_EESM_S12_SN_SO_SP_EUlS12_E0_NS1_11comp_targetILNS1_3genE10ELNS1_11target_archE1201ELNS1_3gpuE5ELNS1_3repE0EEENS1_38merge_mergepath_config_static_selectorELNS0_4arch9wavefront6targetE1EEEvSO_: ; @_ZN7rocprim17ROCPRIM_400000_NS6detail17trampoline_kernelINS0_14default_configENS1_38merge_sort_block_merge_config_selectorIjN6thrust23THRUST_200600_302600_NS5tupleIffNS6_9null_typeES8_S8_S8_S8_S8_S8_S8_EEEEZZNS1_27merge_sort_block_merge_implIS3_NS6_6detail15normal_iteratorINS6_10device_ptrIjEEEENSD_INSE_IS9_EEEEjNS1_19radix_merge_compareILb0ELb0EjNS0_19identity_decomposerEEEEE10hipError_tT0_T1_T2_jT3_P12ihipStream_tbPNSt15iterator_traitsISN_E10value_typeEPNST_ISO_E10value_typeEPSP_NS1_7vsmem_tEENKUlT_SN_SO_SP_E_clIPjSG_PS9_SI_EESM_S12_SN_SO_SP_EUlS12_E0_NS1_11comp_targetILNS1_3genE10ELNS1_11target_archE1201ELNS1_3gpuE5ELNS1_3repE0EEENS1_38merge_mergepath_config_static_selectorELNS0_4arch9wavefront6targetE1EEEvSO_
; %bb.0:
	.section	.rodata,"a",@progbits
	.p2align	6, 0x0
	.amdhsa_kernel _ZN7rocprim17ROCPRIM_400000_NS6detail17trampoline_kernelINS0_14default_configENS1_38merge_sort_block_merge_config_selectorIjN6thrust23THRUST_200600_302600_NS5tupleIffNS6_9null_typeES8_S8_S8_S8_S8_S8_S8_EEEEZZNS1_27merge_sort_block_merge_implIS3_NS6_6detail15normal_iteratorINS6_10device_ptrIjEEEENSD_INSE_IS9_EEEEjNS1_19radix_merge_compareILb0ELb0EjNS0_19identity_decomposerEEEEE10hipError_tT0_T1_T2_jT3_P12ihipStream_tbPNSt15iterator_traitsISN_E10value_typeEPNST_ISO_E10value_typeEPSP_NS1_7vsmem_tEENKUlT_SN_SO_SP_E_clIPjSG_PS9_SI_EESM_S12_SN_SO_SP_EUlS12_E0_NS1_11comp_targetILNS1_3genE10ELNS1_11target_archE1201ELNS1_3gpuE5ELNS1_3repE0EEENS1_38merge_mergepath_config_static_selectorELNS0_4arch9wavefront6targetE1EEEvSO_
		.amdhsa_group_segment_fixed_size 0
		.amdhsa_private_segment_fixed_size 0
		.amdhsa_kernarg_size 64
		.amdhsa_user_sgpr_count 6
		.amdhsa_user_sgpr_private_segment_buffer 1
		.amdhsa_user_sgpr_dispatch_ptr 0
		.amdhsa_user_sgpr_queue_ptr 0
		.amdhsa_user_sgpr_kernarg_segment_ptr 1
		.amdhsa_user_sgpr_dispatch_id 0
		.amdhsa_user_sgpr_flat_scratch_init 0
		.amdhsa_user_sgpr_kernarg_preload_length 0
		.amdhsa_user_sgpr_kernarg_preload_offset 0
		.amdhsa_user_sgpr_private_segment_size 0
		.amdhsa_uses_dynamic_stack 0
		.amdhsa_system_sgpr_private_segment_wavefront_offset 0
		.amdhsa_system_sgpr_workgroup_id_x 1
		.amdhsa_system_sgpr_workgroup_id_y 0
		.amdhsa_system_sgpr_workgroup_id_z 0
		.amdhsa_system_sgpr_workgroup_info 0
		.amdhsa_system_vgpr_workitem_id 0
		.amdhsa_next_free_vgpr 1
		.amdhsa_next_free_sgpr 0
		.amdhsa_accum_offset 4
		.amdhsa_reserve_vcc 0
		.amdhsa_reserve_flat_scratch 0
		.amdhsa_float_round_mode_32 0
		.amdhsa_float_round_mode_16_64 0
		.amdhsa_float_denorm_mode_32 3
		.amdhsa_float_denorm_mode_16_64 3
		.amdhsa_dx10_clamp 1
		.amdhsa_ieee_mode 1
		.amdhsa_fp16_overflow 0
		.amdhsa_tg_split 0
		.amdhsa_exception_fp_ieee_invalid_op 0
		.amdhsa_exception_fp_denorm_src 0
		.amdhsa_exception_fp_ieee_div_zero 0
		.amdhsa_exception_fp_ieee_overflow 0
		.amdhsa_exception_fp_ieee_underflow 0
		.amdhsa_exception_fp_ieee_inexact 0
		.amdhsa_exception_int_div_zero 0
	.end_amdhsa_kernel
	.section	.text._ZN7rocprim17ROCPRIM_400000_NS6detail17trampoline_kernelINS0_14default_configENS1_38merge_sort_block_merge_config_selectorIjN6thrust23THRUST_200600_302600_NS5tupleIffNS6_9null_typeES8_S8_S8_S8_S8_S8_S8_EEEEZZNS1_27merge_sort_block_merge_implIS3_NS6_6detail15normal_iteratorINS6_10device_ptrIjEEEENSD_INSE_IS9_EEEEjNS1_19radix_merge_compareILb0ELb0EjNS0_19identity_decomposerEEEEE10hipError_tT0_T1_T2_jT3_P12ihipStream_tbPNSt15iterator_traitsISN_E10value_typeEPNST_ISO_E10value_typeEPSP_NS1_7vsmem_tEENKUlT_SN_SO_SP_E_clIPjSG_PS9_SI_EESM_S12_SN_SO_SP_EUlS12_E0_NS1_11comp_targetILNS1_3genE10ELNS1_11target_archE1201ELNS1_3gpuE5ELNS1_3repE0EEENS1_38merge_mergepath_config_static_selectorELNS0_4arch9wavefront6targetE1EEEvSO_,"axG",@progbits,_ZN7rocprim17ROCPRIM_400000_NS6detail17trampoline_kernelINS0_14default_configENS1_38merge_sort_block_merge_config_selectorIjN6thrust23THRUST_200600_302600_NS5tupleIffNS6_9null_typeES8_S8_S8_S8_S8_S8_S8_EEEEZZNS1_27merge_sort_block_merge_implIS3_NS6_6detail15normal_iteratorINS6_10device_ptrIjEEEENSD_INSE_IS9_EEEEjNS1_19radix_merge_compareILb0ELb0EjNS0_19identity_decomposerEEEEE10hipError_tT0_T1_T2_jT3_P12ihipStream_tbPNSt15iterator_traitsISN_E10value_typeEPNST_ISO_E10value_typeEPSP_NS1_7vsmem_tEENKUlT_SN_SO_SP_E_clIPjSG_PS9_SI_EESM_S12_SN_SO_SP_EUlS12_E0_NS1_11comp_targetILNS1_3genE10ELNS1_11target_archE1201ELNS1_3gpuE5ELNS1_3repE0EEENS1_38merge_mergepath_config_static_selectorELNS0_4arch9wavefront6targetE1EEEvSO_,comdat
.Lfunc_end34:
	.size	_ZN7rocprim17ROCPRIM_400000_NS6detail17trampoline_kernelINS0_14default_configENS1_38merge_sort_block_merge_config_selectorIjN6thrust23THRUST_200600_302600_NS5tupleIffNS6_9null_typeES8_S8_S8_S8_S8_S8_S8_EEEEZZNS1_27merge_sort_block_merge_implIS3_NS6_6detail15normal_iteratorINS6_10device_ptrIjEEEENSD_INSE_IS9_EEEEjNS1_19radix_merge_compareILb0ELb0EjNS0_19identity_decomposerEEEEE10hipError_tT0_T1_T2_jT3_P12ihipStream_tbPNSt15iterator_traitsISN_E10value_typeEPNST_ISO_E10value_typeEPSP_NS1_7vsmem_tEENKUlT_SN_SO_SP_E_clIPjSG_PS9_SI_EESM_S12_SN_SO_SP_EUlS12_E0_NS1_11comp_targetILNS1_3genE10ELNS1_11target_archE1201ELNS1_3gpuE5ELNS1_3repE0EEENS1_38merge_mergepath_config_static_selectorELNS0_4arch9wavefront6targetE1EEEvSO_, .Lfunc_end34-_ZN7rocprim17ROCPRIM_400000_NS6detail17trampoline_kernelINS0_14default_configENS1_38merge_sort_block_merge_config_selectorIjN6thrust23THRUST_200600_302600_NS5tupleIffNS6_9null_typeES8_S8_S8_S8_S8_S8_S8_EEEEZZNS1_27merge_sort_block_merge_implIS3_NS6_6detail15normal_iteratorINS6_10device_ptrIjEEEENSD_INSE_IS9_EEEEjNS1_19radix_merge_compareILb0ELb0EjNS0_19identity_decomposerEEEEE10hipError_tT0_T1_T2_jT3_P12ihipStream_tbPNSt15iterator_traitsISN_E10value_typeEPNST_ISO_E10value_typeEPSP_NS1_7vsmem_tEENKUlT_SN_SO_SP_E_clIPjSG_PS9_SI_EESM_S12_SN_SO_SP_EUlS12_E0_NS1_11comp_targetILNS1_3genE10ELNS1_11target_archE1201ELNS1_3gpuE5ELNS1_3repE0EEENS1_38merge_mergepath_config_static_selectorELNS0_4arch9wavefront6targetE1EEEvSO_
                                        ; -- End function
	.section	.AMDGPU.csdata,"",@progbits
; Kernel info:
; codeLenInByte = 0
; NumSgprs: 4
; NumVgprs: 0
; NumAgprs: 0
; TotalNumVgprs: 0
; ScratchSize: 0
; MemoryBound: 0
; FloatMode: 240
; IeeeMode: 1
; LDSByteSize: 0 bytes/workgroup (compile time only)
; SGPRBlocks: 0
; VGPRBlocks: 0
; NumSGPRsForWavesPerEU: 4
; NumVGPRsForWavesPerEU: 1
; AccumOffset: 4
; Occupancy: 8
; WaveLimiterHint : 0
; COMPUTE_PGM_RSRC2:SCRATCH_EN: 0
; COMPUTE_PGM_RSRC2:USER_SGPR: 6
; COMPUTE_PGM_RSRC2:TRAP_HANDLER: 0
; COMPUTE_PGM_RSRC2:TGID_X_EN: 1
; COMPUTE_PGM_RSRC2:TGID_Y_EN: 0
; COMPUTE_PGM_RSRC2:TGID_Z_EN: 0
; COMPUTE_PGM_RSRC2:TIDIG_COMP_CNT: 0
; COMPUTE_PGM_RSRC3_GFX90A:ACCUM_OFFSET: 0
; COMPUTE_PGM_RSRC3_GFX90A:TG_SPLIT: 0
	.section	.text._ZN7rocprim17ROCPRIM_400000_NS6detail17trampoline_kernelINS0_14default_configENS1_38merge_sort_block_merge_config_selectorIjN6thrust23THRUST_200600_302600_NS5tupleIffNS6_9null_typeES8_S8_S8_S8_S8_S8_S8_EEEEZZNS1_27merge_sort_block_merge_implIS3_NS6_6detail15normal_iteratorINS6_10device_ptrIjEEEENSD_INSE_IS9_EEEEjNS1_19radix_merge_compareILb0ELb0EjNS0_19identity_decomposerEEEEE10hipError_tT0_T1_T2_jT3_P12ihipStream_tbPNSt15iterator_traitsISN_E10value_typeEPNST_ISO_E10value_typeEPSP_NS1_7vsmem_tEENKUlT_SN_SO_SP_E_clIPjSG_PS9_SI_EESM_S12_SN_SO_SP_EUlS12_E0_NS1_11comp_targetILNS1_3genE5ELNS1_11target_archE942ELNS1_3gpuE9ELNS1_3repE0EEENS1_38merge_mergepath_config_static_selectorELNS0_4arch9wavefront6targetE1EEEvSO_,"axG",@progbits,_ZN7rocprim17ROCPRIM_400000_NS6detail17trampoline_kernelINS0_14default_configENS1_38merge_sort_block_merge_config_selectorIjN6thrust23THRUST_200600_302600_NS5tupleIffNS6_9null_typeES8_S8_S8_S8_S8_S8_S8_EEEEZZNS1_27merge_sort_block_merge_implIS3_NS6_6detail15normal_iteratorINS6_10device_ptrIjEEEENSD_INSE_IS9_EEEEjNS1_19radix_merge_compareILb0ELb0EjNS0_19identity_decomposerEEEEE10hipError_tT0_T1_T2_jT3_P12ihipStream_tbPNSt15iterator_traitsISN_E10value_typeEPNST_ISO_E10value_typeEPSP_NS1_7vsmem_tEENKUlT_SN_SO_SP_E_clIPjSG_PS9_SI_EESM_S12_SN_SO_SP_EUlS12_E0_NS1_11comp_targetILNS1_3genE5ELNS1_11target_archE942ELNS1_3gpuE9ELNS1_3repE0EEENS1_38merge_mergepath_config_static_selectorELNS0_4arch9wavefront6targetE1EEEvSO_,comdat
	.protected	_ZN7rocprim17ROCPRIM_400000_NS6detail17trampoline_kernelINS0_14default_configENS1_38merge_sort_block_merge_config_selectorIjN6thrust23THRUST_200600_302600_NS5tupleIffNS6_9null_typeES8_S8_S8_S8_S8_S8_S8_EEEEZZNS1_27merge_sort_block_merge_implIS3_NS6_6detail15normal_iteratorINS6_10device_ptrIjEEEENSD_INSE_IS9_EEEEjNS1_19radix_merge_compareILb0ELb0EjNS0_19identity_decomposerEEEEE10hipError_tT0_T1_T2_jT3_P12ihipStream_tbPNSt15iterator_traitsISN_E10value_typeEPNST_ISO_E10value_typeEPSP_NS1_7vsmem_tEENKUlT_SN_SO_SP_E_clIPjSG_PS9_SI_EESM_S12_SN_SO_SP_EUlS12_E0_NS1_11comp_targetILNS1_3genE5ELNS1_11target_archE942ELNS1_3gpuE9ELNS1_3repE0EEENS1_38merge_mergepath_config_static_selectorELNS0_4arch9wavefront6targetE1EEEvSO_ ; -- Begin function _ZN7rocprim17ROCPRIM_400000_NS6detail17trampoline_kernelINS0_14default_configENS1_38merge_sort_block_merge_config_selectorIjN6thrust23THRUST_200600_302600_NS5tupleIffNS6_9null_typeES8_S8_S8_S8_S8_S8_S8_EEEEZZNS1_27merge_sort_block_merge_implIS3_NS6_6detail15normal_iteratorINS6_10device_ptrIjEEEENSD_INSE_IS9_EEEEjNS1_19radix_merge_compareILb0ELb0EjNS0_19identity_decomposerEEEEE10hipError_tT0_T1_T2_jT3_P12ihipStream_tbPNSt15iterator_traitsISN_E10value_typeEPNST_ISO_E10value_typeEPSP_NS1_7vsmem_tEENKUlT_SN_SO_SP_E_clIPjSG_PS9_SI_EESM_S12_SN_SO_SP_EUlS12_E0_NS1_11comp_targetILNS1_3genE5ELNS1_11target_archE942ELNS1_3gpuE9ELNS1_3repE0EEENS1_38merge_mergepath_config_static_selectorELNS0_4arch9wavefront6targetE1EEEvSO_
	.globl	_ZN7rocprim17ROCPRIM_400000_NS6detail17trampoline_kernelINS0_14default_configENS1_38merge_sort_block_merge_config_selectorIjN6thrust23THRUST_200600_302600_NS5tupleIffNS6_9null_typeES8_S8_S8_S8_S8_S8_S8_EEEEZZNS1_27merge_sort_block_merge_implIS3_NS6_6detail15normal_iteratorINS6_10device_ptrIjEEEENSD_INSE_IS9_EEEEjNS1_19radix_merge_compareILb0ELb0EjNS0_19identity_decomposerEEEEE10hipError_tT0_T1_T2_jT3_P12ihipStream_tbPNSt15iterator_traitsISN_E10value_typeEPNST_ISO_E10value_typeEPSP_NS1_7vsmem_tEENKUlT_SN_SO_SP_E_clIPjSG_PS9_SI_EESM_S12_SN_SO_SP_EUlS12_E0_NS1_11comp_targetILNS1_3genE5ELNS1_11target_archE942ELNS1_3gpuE9ELNS1_3repE0EEENS1_38merge_mergepath_config_static_selectorELNS0_4arch9wavefront6targetE1EEEvSO_
	.p2align	8
	.type	_ZN7rocprim17ROCPRIM_400000_NS6detail17trampoline_kernelINS0_14default_configENS1_38merge_sort_block_merge_config_selectorIjN6thrust23THRUST_200600_302600_NS5tupleIffNS6_9null_typeES8_S8_S8_S8_S8_S8_S8_EEEEZZNS1_27merge_sort_block_merge_implIS3_NS6_6detail15normal_iteratorINS6_10device_ptrIjEEEENSD_INSE_IS9_EEEEjNS1_19radix_merge_compareILb0ELb0EjNS0_19identity_decomposerEEEEE10hipError_tT0_T1_T2_jT3_P12ihipStream_tbPNSt15iterator_traitsISN_E10value_typeEPNST_ISO_E10value_typeEPSP_NS1_7vsmem_tEENKUlT_SN_SO_SP_E_clIPjSG_PS9_SI_EESM_S12_SN_SO_SP_EUlS12_E0_NS1_11comp_targetILNS1_3genE5ELNS1_11target_archE942ELNS1_3gpuE9ELNS1_3repE0EEENS1_38merge_mergepath_config_static_selectorELNS0_4arch9wavefront6targetE1EEEvSO_,@function
_ZN7rocprim17ROCPRIM_400000_NS6detail17trampoline_kernelINS0_14default_configENS1_38merge_sort_block_merge_config_selectorIjN6thrust23THRUST_200600_302600_NS5tupleIffNS6_9null_typeES8_S8_S8_S8_S8_S8_S8_EEEEZZNS1_27merge_sort_block_merge_implIS3_NS6_6detail15normal_iteratorINS6_10device_ptrIjEEEENSD_INSE_IS9_EEEEjNS1_19radix_merge_compareILb0ELb0EjNS0_19identity_decomposerEEEEE10hipError_tT0_T1_T2_jT3_P12ihipStream_tbPNSt15iterator_traitsISN_E10value_typeEPNST_ISO_E10value_typeEPSP_NS1_7vsmem_tEENKUlT_SN_SO_SP_E_clIPjSG_PS9_SI_EESM_S12_SN_SO_SP_EUlS12_E0_NS1_11comp_targetILNS1_3genE5ELNS1_11target_archE942ELNS1_3gpuE9ELNS1_3repE0EEENS1_38merge_mergepath_config_static_selectorELNS0_4arch9wavefront6targetE1EEEvSO_: ; @_ZN7rocprim17ROCPRIM_400000_NS6detail17trampoline_kernelINS0_14default_configENS1_38merge_sort_block_merge_config_selectorIjN6thrust23THRUST_200600_302600_NS5tupleIffNS6_9null_typeES8_S8_S8_S8_S8_S8_S8_EEEEZZNS1_27merge_sort_block_merge_implIS3_NS6_6detail15normal_iteratorINS6_10device_ptrIjEEEENSD_INSE_IS9_EEEEjNS1_19radix_merge_compareILb0ELb0EjNS0_19identity_decomposerEEEEE10hipError_tT0_T1_T2_jT3_P12ihipStream_tbPNSt15iterator_traitsISN_E10value_typeEPNST_ISO_E10value_typeEPSP_NS1_7vsmem_tEENKUlT_SN_SO_SP_E_clIPjSG_PS9_SI_EESM_S12_SN_SO_SP_EUlS12_E0_NS1_11comp_targetILNS1_3genE5ELNS1_11target_archE942ELNS1_3gpuE9ELNS1_3repE0EEENS1_38merge_mergepath_config_static_selectorELNS0_4arch9wavefront6targetE1EEEvSO_
; %bb.0:
	.section	.rodata,"a",@progbits
	.p2align	6, 0x0
	.amdhsa_kernel _ZN7rocprim17ROCPRIM_400000_NS6detail17trampoline_kernelINS0_14default_configENS1_38merge_sort_block_merge_config_selectorIjN6thrust23THRUST_200600_302600_NS5tupleIffNS6_9null_typeES8_S8_S8_S8_S8_S8_S8_EEEEZZNS1_27merge_sort_block_merge_implIS3_NS6_6detail15normal_iteratorINS6_10device_ptrIjEEEENSD_INSE_IS9_EEEEjNS1_19radix_merge_compareILb0ELb0EjNS0_19identity_decomposerEEEEE10hipError_tT0_T1_T2_jT3_P12ihipStream_tbPNSt15iterator_traitsISN_E10value_typeEPNST_ISO_E10value_typeEPSP_NS1_7vsmem_tEENKUlT_SN_SO_SP_E_clIPjSG_PS9_SI_EESM_S12_SN_SO_SP_EUlS12_E0_NS1_11comp_targetILNS1_3genE5ELNS1_11target_archE942ELNS1_3gpuE9ELNS1_3repE0EEENS1_38merge_mergepath_config_static_selectorELNS0_4arch9wavefront6targetE1EEEvSO_
		.amdhsa_group_segment_fixed_size 0
		.amdhsa_private_segment_fixed_size 0
		.amdhsa_kernarg_size 64
		.amdhsa_user_sgpr_count 6
		.amdhsa_user_sgpr_private_segment_buffer 1
		.amdhsa_user_sgpr_dispatch_ptr 0
		.amdhsa_user_sgpr_queue_ptr 0
		.amdhsa_user_sgpr_kernarg_segment_ptr 1
		.amdhsa_user_sgpr_dispatch_id 0
		.amdhsa_user_sgpr_flat_scratch_init 0
		.amdhsa_user_sgpr_kernarg_preload_length 0
		.amdhsa_user_sgpr_kernarg_preload_offset 0
		.amdhsa_user_sgpr_private_segment_size 0
		.amdhsa_uses_dynamic_stack 0
		.amdhsa_system_sgpr_private_segment_wavefront_offset 0
		.amdhsa_system_sgpr_workgroup_id_x 1
		.amdhsa_system_sgpr_workgroup_id_y 0
		.amdhsa_system_sgpr_workgroup_id_z 0
		.amdhsa_system_sgpr_workgroup_info 0
		.amdhsa_system_vgpr_workitem_id 0
		.amdhsa_next_free_vgpr 1
		.amdhsa_next_free_sgpr 0
		.amdhsa_accum_offset 4
		.amdhsa_reserve_vcc 0
		.amdhsa_reserve_flat_scratch 0
		.amdhsa_float_round_mode_32 0
		.amdhsa_float_round_mode_16_64 0
		.amdhsa_float_denorm_mode_32 3
		.amdhsa_float_denorm_mode_16_64 3
		.amdhsa_dx10_clamp 1
		.amdhsa_ieee_mode 1
		.amdhsa_fp16_overflow 0
		.amdhsa_tg_split 0
		.amdhsa_exception_fp_ieee_invalid_op 0
		.amdhsa_exception_fp_denorm_src 0
		.amdhsa_exception_fp_ieee_div_zero 0
		.amdhsa_exception_fp_ieee_overflow 0
		.amdhsa_exception_fp_ieee_underflow 0
		.amdhsa_exception_fp_ieee_inexact 0
		.amdhsa_exception_int_div_zero 0
	.end_amdhsa_kernel
	.section	.text._ZN7rocprim17ROCPRIM_400000_NS6detail17trampoline_kernelINS0_14default_configENS1_38merge_sort_block_merge_config_selectorIjN6thrust23THRUST_200600_302600_NS5tupleIffNS6_9null_typeES8_S8_S8_S8_S8_S8_S8_EEEEZZNS1_27merge_sort_block_merge_implIS3_NS6_6detail15normal_iteratorINS6_10device_ptrIjEEEENSD_INSE_IS9_EEEEjNS1_19radix_merge_compareILb0ELb0EjNS0_19identity_decomposerEEEEE10hipError_tT0_T1_T2_jT3_P12ihipStream_tbPNSt15iterator_traitsISN_E10value_typeEPNST_ISO_E10value_typeEPSP_NS1_7vsmem_tEENKUlT_SN_SO_SP_E_clIPjSG_PS9_SI_EESM_S12_SN_SO_SP_EUlS12_E0_NS1_11comp_targetILNS1_3genE5ELNS1_11target_archE942ELNS1_3gpuE9ELNS1_3repE0EEENS1_38merge_mergepath_config_static_selectorELNS0_4arch9wavefront6targetE1EEEvSO_,"axG",@progbits,_ZN7rocprim17ROCPRIM_400000_NS6detail17trampoline_kernelINS0_14default_configENS1_38merge_sort_block_merge_config_selectorIjN6thrust23THRUST_200600_302600_NS5tupleIffNS6_9null_typeES8_S8_S8_S8_S8_S8_S8_EEEEZZNS1_27merge_sort_block_merge_implIS3_NS6_6detail15normal_iteratorINS6_10device_ptrIjEEEENSD_INSE_IS9_EEEEjNS1_19radix_merge_compareILb0ELb0EjNS0_19identity_decomposerEEEEE10hipError_tT0_T1_T2_jT3_P12ihipStream_tbPNSt15iterator_traitsISN_E10value_typeEPNST_ISO_E10value_typeEPSP_NS1_7vsmem_tEENKUlT_SN_SO_SP_E_clIPjSG_PS9_SI_EESM_S12_SN_SO_SP_EUlS12_E0_NS1_11comp_targetILNS1_3genE5ELNS1_11target_archE942ELNS1_3gpuE9ELNS1_3repE0EEENS1_38merge_mergepath_config_static_selectorELNS0_4arch9wavefront6targetE1EEEvSO_,comdat
.Lfunc_end35:
	.size	_ZN7rocprim17ROCPRIM_400000_NS6detail17trampoline_kernelINS0_14default_configENS1_38merge_sort_block_merge_config_selectorIjN6thrust23THRUST_200600_302600_NS5tupleIffNS6_9null_typeES8_S8_S8_S8_S8_S8_S8_EEEEZZNS1_27merge_sort_block_merge_implIS3_NS6_6detail15normal_iteratorINS6_10device_ptrIjEEEENSD_INSE_IS9_EEEEjNS1_19radix_merge_compareILb0ELb0EjNS0_19identity_decomposerEEEEE10hipError_tT0_T1_T2_jT3_P12ihipStream_tbPNSt15iterator_traitsISN_E10value_typeEPNST_ISO_E10value_typeEPSP_NS1_7vsmem_tEENKUlT_SN_SO_SP_E_clIPjSG_PS9_SI_EESM_S12_SN_SO_SP_EUlS12_E0_NS1_11comp_targetILNS1_3genE5ELNS1_11target_archE942ELNS1_3gpuE9ELNS1_3repE0EEENS1_38merge_mergepath_config_static_selectorELNS0_4arch9wavefront6targetE1EEEvSO_, .Lfunc_end35-_ZN7rocprim17ROCPRIM_400000_NS6detail17trampoline_kernelINS0_14default_configENS1_38merge_sort_block_merge_config_selectorIjN6thrust23THRUST_200600_302600_NS5tupleIffNS6_9null_typeES8_S8_S8_S8_S8_S8_S8_EEEEZZNS1_27merge_sort_block_merge_implIS3_NS6_6detail15normal_iteratorINS6_10device_ptrIjEEEENSD_INSE_IS9_EEEEjNS1_19radix_merge_compareILb0ELb0EjNS0_19identity_decomposerEEEEE10hipError_tT0_T1_T2_jT3_P12ihipStream_tbPNSt15iterator_traitsISN_E10value_typeEPNST_ISO_E10value_typeEPSP_NS1_7vsmem_tEENKUlT_SN_SO_SP_E_clIPjSG_PS9_SI_EESM_S12_SN_SO_SP_EUlS12_E0_NS1_11comp_targetILNS1_3genE5ELNS1_11target_archE942ELNS1_3gpuE9ELNS1_3repE0EEENS1_38merge_mergepath_config_static_selectorELNS0_4arch9wavefront6targetE1EEEvSO_
                                        ; -- End function
	.section	.AMDGPU.csdata,"",@progbits
; Kernel info:
; codeLenInByte = 0
; NumSgprs: 4
; NumVgprs: 0
; NumAgprs: 0
; TotalNumVgprs: 0
; ScratchSize: 0
; MemoryBound: 0
; FloatMode: 240
; IeeeMode: 1
; LDSByteSize: 0 bytes/workgroup (compile time only)
; SGPRBlocks: 0
; VGPRBlocks: 0
; NumSGPRsForWavesPerEU: 4
; NumVGPRsForWavesPerEU: 1
; AccumOffset: 4
; Occupancy: 8
; WaveLimiterHint : 0
; COMPUTE_PGM_RSRC2:SCRATCH_EN: 0
; COMPUTE_PGM_RSRC2:USER_SGPR: 6
; COMPUTE_PGM_RSRC2:TRAP_HANDLER: 0
; COMPUTE_PGM_RSRC2:TGID_X_EN: 1
; COMPUTE_PGM_RSRC2:TGID_Y_EN: 0
; COMPUTE_PGM_RSRC2:TGID_Z_EN: 0
; COMPUTE_PGM_RSRC2:TIDIG_COMP_CNT: 0
; COMPUTE_PGM_RSRC3_GFX90A:ACCUM_OFFSET: 0
; COMPUTE_PGM_RSRC3_GFX90A:TG_SPLIT: 0
	.section	.text._ZN7rocprim17ROCPRIM_400000_NS6detail17trampoline_kernelINS0_14default_configENS1_38merge_sort_block_merge_config_selectorIjN6thrust23THRUST_200600_302600_NS5tupleIffNS6_9null_typeES8_S8_S8_S8_S8_S8_S8_EEEEZZNS1_27merge_sort_block_merge_implIS3_NS6_6detail15normal_iteratorINS6_10device_ptrIjEEEENSD_INSE_IS9_EEEEjNS1_19radix_merge_compareILb0ELb0EjNS0_19identity_decomposerEEEEE10hipError_tT0_T1_T2_jT3_P12ihipStream_tbPNSt15iterator_traitsISN_E10value_typeEPNST_ISO_E10value_typeEPSP_NS1_7vsmem_tEENKUlT_SN_SO_SP_E_clIPjSG_PS9_SI_EESM_S12_SN_SO_SP_EUlS12_E0_NS1_11comp_targetILNS1_3genE4ELNS1_11target_archE910ELNS1_3gpuE8ELNS1_3repE0EEENS1_38merge_mergepath_config_static_selectorELNS0_4arch9wavefront6targetE1EEEvSO_,"axG",@progbits,_ZN7rocprim17ROCPRIM_400000_NS6detail17trampoline_kernelINS0_14default_configENS1_38merge_sort_block_merge_config_selectorIjN6thrust23THRUST_200600_302600_NS5tupleIffNS6_9null_typeES8_S8_S8_S8_S8_S8_S8_EEEEZZNS1_27merge_sort_block_merge_implIS3_NS6_6detail15normal_iteratorINS6_10device_ptrIjEEEENSD_INSE_IS9_EEEEjNS1_19radix_merge_compareILb0ELb0EjNS0_19identity_decomposerEEEEE10hipError_tT0_T1_T2_jT3_P12ihipStream_tbPNSt15iterator_traitsISN_E10value_typeEPNST_ISO_E10value_typeEPSP_NS1_7vsmem_tEENKUlT_SN_SO_SP_E_clIPjSG_PS9_SI_EESM_S12_SN_SO_SP_EUlS12_E0_NS1_11comp_targetILNS1_3genE4ELNS1_11target_archE910ELNS1_3gpuE8ELNS1_3repE0EEENS1_38merge_mergepath_config_static_selectorELNS0_4arch9wavefront6targetE1EEEvSO_,comdat
	.protected	_ZN7rocprim17ROCPRIM_400000_NS6detail17trampoline_kernelINS0_14default_configENS1_38merge_sort_block_merge_config_selectorIjN6thrust23THRUST_200600_302600_NS5tupleIffNS6_9null_typeES8_S8_S8_S8_S8_S8_S8_EEEEZZNS1_27merge_sort_block_merge_implIS3_NS6_6detail15normal_iteratorINS6_10device_ptrIjEEEENSD_INSE_IS9_EEEEjNS1_19radix_merge_compareILb0ELb0EjNS0_19identity_decomposerEEEEE10hipError_tT0_T1_T2_jT3_P12ihipStream_tbPNSt15iterator_traitsISN_E10value_typeEPNST_ISO_E10value_typeEPSP_NS1_7vsmem_tEENKUlT_SN_SO_SP_E_clIPjSG_PS9_SI_EESM_S12_SN_SO_SP_EUlS12_E0_NS1_11comp_targetILNS1_3genE4ELNS1_11target_archE910ELNS1_3gpuE8ELNS1_3repE0EEENS1_38merge_mergepath_config_static_selectorELNS0_4arch9wavefront6targetE1EEEvSO_ ; -- Begin function _ZN7rocprim17ROCPRIM_400000_NS6detail17trampoline_kernelINS0_14default_configENS1_38merge_sort_block_merge_config_selectorIjN6thrust23THRUST_200600_302600_NS5tupleIffNS6_9null_typeES8_S8_S8_S8_S8_S8_S8_EEEEZZNS1_27merge_sort_block_merge_implIS3_NS6_6detail15normal_iteratorINS6_10device_ptrIjEEEENSD_INSE_IS9_EEEEjNS1_19radix_merge_compareILb0ELb0EjNS0_19identity_decomposerEEEEE10hipError_tT0_T1_T2_jT3_P12ihipStream_tbPNSt15iterator_traitsISN_E10value_typeEPNST_ISO_E10value_typeEPSP_NS1_7vsmem_tEENKUlT_SN_SO_SP_E_clIPjSG_PS9_SI_EESM_S12_SN_SO_SP_EUlS12_E0_NS1_11comp_targetILNS1_3genE4ELNS1_11target_archE910ELNS1_3gpuE8ELNS1_3repE0EEENS1_38merge_mergepath_config_static_selectorELNS0_4arch9wavefront6targetE1EEEvSO_
	.globl	_ZN7rocprim17ROCPRIM_400000_NS6detail17trampoline_kernelINS0_14default_configENS1_38merge_sort_block_merge_config_selectorIjN6thrust23THRUST_200600_302600_NS5tupleIffNS6_9null_typeES8_S8_S8_S8_S8_S8_S8_EEEEZZNS1_27merge_sort_block_merge_implIS3_NS6_6detail15normal_iteratorINS6_10device_ptrIjEEEENSD_INSE_IS9_EEEEjNS1_19radix_merge_compareILb0ELb0EjNS0_19identity_decomposerEEEEE10hipError_tT0_T1_T2_jT3_P12ihipStream_tbPNSt15iterator_traitsISN_E10value_typeEPNST_ISO_E10value_typeEPSP_NS1_7vsmem_tEENKUlT_SN_SO_SP_E_clIPjSG_PS9_SI_EESM_S12_SN_SO_SP_EUlS12_E0_NS1_11comp_targetILNS1_3genE4ELNS1_11target_archE910ELNS1_3gpuE8ELNS1_3repE0EEENS1_38merge_mergepath_config_static_selectorELNS0_4arch9wavefront6targetE1EEEvSO_
	.p2align	8
	.type	_ZN7rocprim17ROCPRIM_400000_NS6detail17trampoline_kernelINS0_14default_configENS1_38merge_sort_block_merge_config_selectorIjN6thrust23THRUST_200600_302600_NS5tupleIffNS6_9null_typeES8_S8_S8_S8_S8_S8_S8_EEEEZZNS1_27merge_sort_block_merge_implIS3_NS6_6detail15normal_iteratorINS6_10device_ptrIjEEEENSD_INSE_IS9_EEEEjNS1_19radix_merge_compareILb0ELb0EjNS0_19identity_decomposerEEEEE10hipError_tT0_T1_T2_jT3_P12ihipStream_tbPNSt15iterator_traitsISN_E10value_typeEPNST_ISO_E10value_typeEPSP_NS1_7vsmem_tEENKUlT_SN_SO_SP_E_clIPjSG_PS9_SI_EESM_S12_SN_SO_SP_EUlS12_E0_NS1_11comp_targetILNS1_3genE4ELNS1_11target_archE910ELNS1_3gpuE8ELNS1_3repE0EEENS1_38merge_mergepath_config_static_selectorELNS0_4arch9wavefront6targetE1EEEvSO_,@function
_ZN7rocprim17ROCPRIM_400000_NS6detail17trampoline_kernelINS0_14default_configENS1_38merge_sort_block_merge_config_selectorIjN6thrust23THRUST_200600_302600_NS5tupleIffNS6_9null_typeES8_S8_S8_S8_S8_S8_S8_EEEEZZNS1_27merge_sort_block_merge_implIS3_NS6_6detail15normal_iteratorINS6_10device_ptrIjEEEENSD_INSE_IS9_EEEEjNS1_19radix_merge_compareILb0ELb0EjNS0_19identity_decomposerEEEEE10hipError_tT0_T1_T2_jT3_P12ihipStream_tbPNSt15iterator_traitsISN_E10value_typeEPNST_ISO_E10value_typeEPSP_NS1_7vsmem_tEENKUlT_SN_SO_SP_E_clIPjSG_PS9_SI_EESM_S12_SN_SO_SP_EUlS12_E0_NS1_11comp_targetILNS1_3genE4ELNS1_11target_archE910ELNS1_3gpuE8ELNS1_3repE0EEENS1_38merge_mergepath_config_static_selectorELNS0_4arch9wavefront6targetE1EEEvSO_: ; @_ZN7rocprim17ROCPRIM_400000_NS6detail17trampoline_kernelINS0_14default_configENS1_38merge_sort_block_merge_config_selectorIjN6thrust23THRUST_200600_302600_NS5tupleIffNS6_9null_typeES8_S8_S8_S8_S8_S8_S8_EEEEZZNS1_27merge_sort_block_merge_implIS3_NS6_6detail15normal_iteratorINS6_10device_ptrIjEEEENSD_INSE_IS9_EEEEjNS1_19radix_merge_compareILb0ELb0EjNS0_19identity_decomposerEEEEE10hipError_tT0_T1_T2_jT3_P12ihipStream_tbPNSt15iterator_traitsISN_E10value_typeEPNST_ISO_E10value_typeEPSP_NS1_7vsmem_tEENKUlT_SN_SO_SP_E_clIPjSG_PS9_SI_EESM_S12_SN_SO_SP_EUlS12_E0_NS1_11comp_targetILNS1_3genE4ELNS1_11target_archE910ELNS1_3gpuE8ELNS1_3repE0EEENS1_38merge_mergepath_config_static_selectorELNS0_4arch9wavefront6targetE1EEEvSO_
; %bb.0:
	s_load_dwordx2 s[22:23], s[4:5], 0x40
	s_load_dword s2, s[4:5], 0x30
	s_add_u32 s0, s4, 64
	s_addc_u32 s1, s5, 0
	s_waitcnt lgkmcnt(0)
	s_mul_i32 s3, s23, s8
	s_add_i32 s3, s3, s7
	s_mul_i32 s3, s3, s22
	s_add_i32 s20, s3, s6
	s_cmp_ge_u32 s20, s2
	s_cbranch_scc1 .LBB36_46
; %bb.1:
	s_load_dwordx8 s[8:15], s[4:5], 0x10
	s_load_dwordx2 s[26:27], s[4:5], 0x8
	s_load_dwordx2 s[2:3], s[4:5], 0x38
	s_mov_b32 s21, 0
	v_mov_b32_e32 v5, 0
	s_waitcnt lgkmcnt(0)
	s_lshr_b32 s7, s14, 10
	s_cmp_lg_u32 s20, s7
	s_cselect_b64 s[18:19], -1, 0
	s_lshl_b64 s[4:5], s[20:21], 2
	s_add_u32 s2, s2, s4
	s_addc_u32 s3, s3, s5
	s_lshr_b32 s4, s15, 9
	s_and_b32 s4, s4, 0x7ffffe
	s_load_dwordx2 s[2:3], s[2:3], 0x0
	s_sub_i32 s5, 0, s4
	s_and_b32 s4, s20, s5
	s_lshl_b32 s17, s4, 10
	s_lshl_b32 s16, s20, 10
	;; [unrolled: 1-line block ×3, first 2 shown]
	s_sub_i32 s23, s16, s17
	s_add_i32 s24, s4, s15
	s_add_i32 s23, s24, s23
	s_waitcnt lgkmcnt(0)
	s_sub_i32 s4, s23, s2
	s_sub_i32 s23, s23, s3
	;; [unrolled: 1-line block ×3, first 2 shown]
	s_min_u32 s4, s14, s4
	s_addk_i32 s23, 0x400
	s_or_b32 s5, s20, s5
	s_min_u32 s24, s14, s17
	s_add_i32 s17, s17, s15
	s_cmp_eq_u32 s5, -1
	s_cselect_b32 s3, s24, s3
	s_cselect_b32 s5, s17, s23
	s_sub_i32 s15, s3, s2
	s_mov_b32 s3, s21
	s_min_u32 s17, s5, s14
	s_lshl_b64 s[24:25], s[2:3], 2
	s_add_u32 s24, s26, s24
	s_mov_b32 s5, s21
	s_addc_u32 s25, s27, s25
	s_lshl_b64 s[28:29], s[4:5], 2
	s_add_u32 s21, s26, s28
	s_addc_u32 s23, s27, s29
	s_cmp_lt_u32 s6, s22
	s_cselect_b32 s6, 12, 18
	global_load_dword v1, v5, s[0:1] offset:14
	s_add_u32 s0, s0, s6
	s_addc_u32 s1, s1, 0
	global_load_ushort v2, v5, s[0:1]
	s_cmp_eq_u32 s20, s7
	s_waitcnt vmcnt(1)
	v_lshrrev_b32_e32 v3, 16, v1
	v_and_b32_e32 v1, 0xffff, v1
	v_mul_lo_u32 v1, v1, v3
	s_waitcnt vmcnt(0)
	v_mul_lo_u32 v19, v1, v2
	v_add_u32_e32 v8, v19, v0
	v_lshlrev_b32_e32 v1, 2, v0
	v_add_u32_e32 v6, v8, v19
	s_cbranch_scc1 .LBB36_3
; %bb.2:
	v_mov_b32_e32 v2, s25
	v_add_co_u32_e32 v7, vcc, s24, v1
	v_subrev_u32_e32 v4, s15, v0
	v_addc_co_u32_e32 v9, vcc, 0, v2, vcc
	v_lshlrev_b64 v[2:3], 2, v[4:5]
	v_mov_b32_e32 v4, s23
	v_add_co_u32_e32 v2, vcc, s21, v2
	v_addc_co_u32_e32 v3, vcc, v4, v3, vcc
	v_cmp_gt_u32_e32 vcc, s15, v0
	v_cndmask_b32_e32 v3, v3, v9, vcc
	v_mov_b32_e32 v9, v5
	v_cndmask_b32_e32 v2, v2, v7, vcc
	v_lshlrev_b64 v[10:11], 2, v[8:9]
	global_load_dword v2, v[2:3], off
	v_mov_b32_e32 v3, s25
	v_add_co_u32_e32 v7, vcc, s24, v10
	v_subrev_u32_e32 v4, s15, v8
	v_addc_co_u32_e32 v3, vcc, v3, v11, vcc
	v_lshlrev_b64 v[10:11], 2, v[4:5]
	v_mov_b32_e32 v4, s23
	v_add_co_u32_e32 v9, vcc, s21, v10
	v_addc_co_u32_e32 v4, vcc, v4, v11, vcc
	v_cmp_gt_u32_e32 vcc, s15, v8
	v_cndmask_b32_e32 v11, v4, v3, vcc
	v_cndmask_b32_e32 v10, v9, v7, vcc
	v_mov_b32_e32 v7, v5
	global_load_dword v3, v[10:11], off
	v_lshlrev_b64 v[10:11], 2, v[6:7]
	v_mov_b32_e32 v4, s25
	v_add_co_u32_e32 v7, vcc, s24, v10
	v_addc_co_u32_e32 v9, vcc, v4, v11, vcc
	v_subrev_u32_e32 v4, s15, v6
	v_lshlrev_b64 v[4:5], 2, v[4:5]
	v_mov_b32_e32 v10, s23
	v_add_co_u32_e32 v4, vcc, s21, v4
	v_addc_co_u32_e32 v5, vcc, v10, v5, vcc
	v_cmp_gt_u32_e32 vcc, s15, v6
	v_cndmask_b32_e32 v5, v5, v9, vcc
	v_cndmask_b32_e32 v4, v4, v7, vcc
	global_load_dword v4, v[4:5], off
	v_add_u32_e32 v10, v6, v19
	s_mov_b64 s[0:1], -1
	s_sub_i32 s17, s17, s4
	s_cbranch_execz .LBB36_4
	s_branch .LBB36_9
.LBB36_3:
	s_mov_b64 s[0:1], 0
                                        ; implicit-def: $vgpr2_vgpr3_vgpr4_vgpr5
                                        ; implicit-def: $vgpr10
	s_sub_i32 s17, s17, s4
.LBB36_4:
	s_add_i32 s6, s17, s15
	v_cmp_gt_u32_e32 vcc, s6, v0
                                        ; implicit-def: $vgpr2_vgpr3_vgpr4_vgpr5
	s_and_saveexec_b64 s[0:1], vcc
	s_cbranch_execnz .LBB36_47
; %bb.5:
	s_or_b64 exec, exec, s[0:1]
	v_cmp_gt_u32_e32 vcc, s6, v8
	s_and_saveexec_b64 s[0:1], vcc
	s_cbranch_execnz .LBB36_48
.LBB36_6:
	s_or_b64 exec, exec, s[0:1]
	v_cmp_gt_u32_e32 vcc, s6, v6
	s_and_saveexec_b64 s[0:1], vcc
	s_cbranch_execz .LBB36_8
.LBB36_7:
	v_mov_b32_e32 v7, 0
	v_lshlrev_b64 v[10:11], 2, v[6:7]
	s_waitcnt vmcnt(0)
	v_mov_b32_e32 v4, s25
	v_add_co_u32_e32 v9, vcc, s24, v10
	v_addc_co_u32_e32 v4, vcc, v4, v11, vcc
	v_subrev_u32_e32 v10, s15, v6
	v_mov_b32_e32 v11, v7
	v_lshlrev_b64 v[10:11], 2, v[10:11]
	v_mov_b32_e32 v7, s23
	v_add_co_u32_e32 v10, vcc, s21, v10
	v_addc_co_u32_e32 v7, vcc, v7, v11, vcc
	v_cmp_gt_u32_e32 vcc, s15, v6
	v_cndmask_b32_e32 v11, v7, v4, vcc
	v_cndmask_b32_e32 v10, v10, v9, vcc
	global_load_dword v4, v[10:11], off
.LBB36_8:
	s_or_b64 exec, exec, s[0:1]
	v_add_u32_e32 v10, v6, v19
	v_cmp_gt_u32_e64 s[0:1], s6, v10
.LBB36_9:
	s_and_saveexec_b64 s[6:7], s[0:1]
	s_cbranch_execz .LBB36_11
; %bb.10:
	v_mov_b32_e32 v11, 0
	v_lshlrev_b64 v[12:13], 2, v[10:11]
	v_mov_b32_e32 v5, s25
	v_add_co_u32_e32 v7, vcc, s24, v12
	v_addc_co_u32_e32 v5, vcc, v5, v13, vcc
	v_cmp_gt_u32_e32 vcc, s15, v10
	v_subrev_u32_e32 v10, s15, v10
	v_lshlrev_b64 v[10:11], 2, v[10:11]
	v_mov_b32_e32 v9, s23
	v_add_co_u32_e64 v10, s[0:1], s21, v10
	v_addc_co_u32_e64 v9, s[0:1], v9, v11, s[0:1]
	v_cndmask_b32_e32 v11, v9, v5, vcc
	v_cndmask_b32_e32 v10, v10, v7, vcc
	global_load_dword v5, v[10:11], off
.LBB36_11:
	s_or_b64 exec, exec, s[6:7]
	s_lshl_b64 s[0:1], s[2:3], 3
	s_add_u32 s6, s10, s0
	s_addc_u32 s7, s11, s1
	s_lshl_b64 s[0:1], s[4:5], 3
	s_add_u32 s4, s10, s0
	s_addc_u32 s5, s11, s1
	s_andn2_b64 vcc, exec, s[18:19]
	v_lshlrev_b32_e32 v18, 3, v0
	s_waitcnt vmcnt(0)
	ds_write2st64_b32 v1, v2, v3 offset1:4
	ds_write2st64_b32 v1, v4, v5 offset0:8 offset1:12
	s_cbranch_vccnz .LBB36_13
; %bb.12:
	v_mov_b32_e32 v17, 0
	v_mov_b32_e32 v7, s7
	v_add_co_u32_e32 v9, vcc, s6, v18
	v_subrev_u32_e32 v16, s15, v0
	v_addc_co_u32_e32 v7, vcc, 0, v7, vcc
	v_lshlrev_b64 v[10:11], 3, v[16:17]
	v_mov_b32_e32 v12, s5
	v_add_co_u32_e32 v10, vcc, s4, v10
	v_addc_co_u32_e32 v11, vcc, v12, v11, vcc
	v_cmp_gt_u32_e32 vcc, s15, v0
	v_cndmask_b32_e32 v10, v10, v9, vcc
	v_mov_b32_e32 v9, v17
	v_lshlrev_b64 v[12:13], 3, v[8:9]
	v_cndmask_b32_e32 v11, v11, v7, vcc
	v_mov_b32_e32 v7, s7
	v_add_co_u32_e32 v9, vcc, s6, v12
	v_subrev_u32_e32 v16, s15, v8
	v_addc_co_u32_e32 v7, vcc, v7, v13, vcc
	v_lshlrev_b64 v[12:13], 3, v[16:17]
	v_mov_b32_e32 v14, s5
	v_add_co_u32_e32 v12, vcc, s4, v12
	v_addc_co_u32_e32 v13, vcc, v14, v13, vcc
	v_cmp_gt_u32_e32 vcc, s15, v8
	v_cndmask_b32_e32 v13, v13, v7, vcc
	v_mov_b32_e32 v7, v17
	v_lshlrev_b64 v[14:15], 3, v[6:7]
	v_cndmask_b32_e32 v12, v12, v9, vcc
	v_mov_b32_e32 v7, s7
	v_add_co_u32_e32 v9, vcc, s6, v14
	v_subrev_u32_e32 v16, s15, v6
	v_addc_co_u32_e32 v7, vcc, v7, v15, vcc
	v_lshlrev_b64 v[14:15], 3, v[16:17]
	v_mov_b32_e32 v16, s5
	v_add_co_u32_e32 v14, vcc, s4, v14
	v_addc_co_u32_e32 v15, vcc, v16, v15, vcc
	v_add_u32_e32 v16, v6, v19
	v_cmp_gt_u32_e32 vcc, s15, v6
	v_lshlrev_b64 v[20:21], 3, v[16:17]
	v_cndmask_b32_e32 v15, v15, v7, vcc
	v_cndmask_b32_e32 v14, v14, v9, vcc
	v_mov_b32_e32 v7, s7
	v_add_co_u32_e32 v9, vcc, s6, v20
	v_addc_co_u32_e32 v7, vcc, v7, v21, vcc
	v_cmp_gt_u32_e32 vcc, s15, v16
	v_subrev_u32_e32 v16, s15, v16
	v_lshlrev_b64 v[16:17], 3, v[16:17]
	v_mov_b32_e32 v20, s5
	v_add_co_u32_e64 v16, s[0:1], s4, v16
	v_addc_co_u32_e64 v17, s[0:1], v20, v17, s[0:1]
	v_cndmask_b32_e32 v17, v17, v7, vcc
	v_cndmask_b32_e32 v16, v16, v9, vcc
	global_load_dwordx2 v[10:11], v[10:11], off
	s_add_i32 s20, s17, s15
	global_load_dwordx2 v[12:13], v[12:13], off
	s_nop 0
	global_load_dwordx2 v[14:15], v[14:15], off
	s_nop 0
	global_load_dwordx2 v[16:17], v[16:17], off
	s_cbranch_execz .LBB36_14
	s_branch .LBB36_23
.LBB36_13:
                                        ; implicit-def: $vgpr17
                                        ; implicit-def: $vgpr14_vgpr15
                                        ; implicit-def: $vgpr12_vgpr13
                                        ; implicit-def: $vgpr10_vgpr11
                                        ; implicit-def: $sgpr20
.LBB36_14:
	s_mov_b32 s0, 0
	s_add_i32 s20, s17, s15
	s_mov_b32 s1, s0
	v_cmp_gt_u32_e32 vcc, s20, v0
	s_waitcnt vmcnt(3)
	v_pk_mov_b32 v[10:11], s[0:1], s[0:1] op_sel:[0,1]
	s_and_saveexec_b64 s[2:3], vcc
	s_cbranch_execz .LBB36_16
; %bb.15:
	v_mov_b32_e32 v11, 0
	v_mov_b32_e32 v7, s7
	v_add_co_u32_e32 v9, vcc, s6, v18
	v_subrev_u32_e32 v10, s15, v0
	v_addc_co_u32_e32 v7, vcc, 0, v7, vcc
	v_lshlrev_b64 v[10:11], 3, v[10:11]
	s_waitcnt vmcnt(2)
	v_mov_b32_e32 v12, s5
	v_add_co_u32_e32 v10, vcc, s4, v10
	v_addc_co_u32_e32 v11, vcc, v12, v11, vcc
	v_cmp_gt_u32_e32 vcc, s15, v0
	v_cndmask_b32_e32 v11, v11, v7, vcc
	v_cndmask_b32_e32 v10, v10, v9, vcc
	global_load_dwordx2 v[10:11], v[10:11], off
.LBB36_16:
	s_or_b64 exec, exec, s[2:3]
	v_cmp_gt_u32_e32 vcc, s20, v8
	s_waitcnt vmcnt(2)
	v_pk_mov_b32 v[12:13], s[0:1], s[0:1] op_sel:[0,1]
	s_and_saveexec_b64 s[2:3], vcc
	s_cbranch_execz .LBB36_18
; %bb.17:
	v_mov_b32_e32 v9, 0
	v_lshlrev_b64 v[12:13], 3, v[8:9]
	v_mov_b32_e32 v7, s7
	v_add_co_u32_e32 v12, vcc, s6, v12
	v_addc_co_u32_e32 v7, vcc, v7, v13, vcc
	v_cmp_gt_u32_e32 vcc, s15, v8
	v_subrev_u32_e32 v8, s15, v8
	v_lshlrev_b64 v[8:9], 3, v[8:9]
	v_mov_b32_e32 v13, s5
	v_add_co_u32_e64 v8, s[0:1], s4, v8
	v_addc_co_u32_e64 v9, s[0:1], v13, v9, s[0:1]
	v_cndmask_b32_e32 v9, v9, v7, vcc
	v_cndmask_b32_e32 v8, v8, v12, vcc
	global_load_dwordx2 v[12:13], v[8:9], off
.LBB36_18:
	s_or_b64 exec, exec, s[2:3]
	s_mov_b32 s0, 0
	s_mov_b32 s1, s0
	v_cmp_gt_u32_e32 vcc, s20, v6
	s_waitcnt vmcnt(1)
	v_pk_mov_b32 v[14:15], s[0:1], s[0:1] op_sel:[0,1]
	s_and_saveexec_b64 s[0:1], vcc
	s_cbranch_execz .LBB36_20
; %bb.19:
	v_mov_b32_e32 v7, 0
	v_lshlrev_b64 v[8:9], 3, v[6:7]
	v_mov_b32_e32 v14, s7
	v_add_co_u32_e32 v15, vcc, s6, v8
	v_addc_co_u32_e32 v14, vcc, v14, v9, vcc
	v_subrev_u32_e32 v8, s15, v6
	v_mov_b32_e32 v9, v7
	v_lshlrev_b64 v[8:9], 3, v[8:9]
	v_mov_b32_e32 v7, s5
	v_add_co_u32_e32 v8, vcc, s4, v8
	v_addc_co_u32_e32 v7, vcc, v7, v9, vcc
	v_cmp_gt_u32_e32 vcc, s15, v6
	v_cndmask_b32_e32 v9, v7, v14, vcc
	v_cndmask_b32_e32 v8, v8, v15, vcc
	global_load_dwordx2 v[14:15], v[8:9], off
.LBB36_20:
	s_or_b64 exec, exec, s[0:1]
	v_add_u32_e32 v6, v6, v19
	v_cmp_gt_u32_e32 vcc, s20, v6
	s_waitcnt vmcnt(0)
	v_mov_b32_e32 v17, 0
	v_mov_b32_e32 v16, 0
	s_and_saveexec_b64 s[2:3], vcc
	s_cbranch_execz .LBB36_22
; %bb.21:
	v_mov_b32_e32 v7, 0
	v_lshlrev_b64 v[8:9], 3, v[6:7]
	v_mov_b32_e32 v16, s7
	v_add_co_u32_e32 v8, vcc, s6, v8
	v_addc_co_u32_e32 v9, vcc, v16, v9, vcc
	v_cmp_gt_u32_e32 vcc, s15, v6
	v_subrev_u32_e32 v6, s15, v6
	v_lshlrev_b64 v[6:7], 3, v[6:7]
	v_mov_b32_e32 v16, s5
	v_add_co_u32_e64 v6, s[0:1], s4, v6
	v_addc_co_u32_e64 v7, s[0:1], v16, v7, s[0:1]
	v_cndmask_b32_e32 v7, v7, v9, vcc
	v_cndmask_b32_e32 v6, v6, v8, vcc
	global_load_dwordx2 v[16:17], v[6:7], off
.LBB36_22:
	s_or_b64 exec, exec, s[2:3]
.LBB36_23:
	v_min_u32_e32 v7, s20, v1
	v_sub_u32_e64 v6, v7, s17 clamp
	v_min_u32_e32 v8, s15, v7
	v_cmp_lt_u32_e32 vcc, v6, v8
	s_waitcnt lgkmcnt(0)
	s_barrier
	s_and_saveexec_b64 s[0:1], vcc
	s_cbranch_execz .LBB36_27
; %bb.24:
	v_lshlrev_b32_e32 v9, 2, v7
	v_lshl_add_u32 v9, s15, 2, v9
	s_mov_b64 s[2:3], 0
.LBB36_25:                              ; =>This Inner Loop Header: Depth=1
	v_add_u32_e32 v19, v8, v6
	v_lshrrev_b32_e32 v19, 1, v19
	v_not_b32_e32 v20, v19
	v_lshlrev_b32_e32 v21, 2, v19
	v_lshl_add_u32 v20, v20, 2, v9
	ds_read_b32 v21, v21
	ds_read_b32 v20, v20
	v_add_u32_e32 v22, 1, v19
	s_waitcnt lgkmcnt(0)
	v_cmp_gt_u32_e32 vcc, v21, v20
	v_cndmask_b32_e32 v8, v8, v19, vcc
	v_cndmask_b32_e32 v6, v22, v6, vcc
	v_cmp_ge_u32_e32 vcc, v6, v8
	s_or_b64 s[2:3], vcc, s[2:3]
	s_andn2_b64 exec, exec, s[2:3]
	s_cbranch_execnz .LBB36_25
; %bb.26:
	s_or_b64 exec, exec, s[2:3]
.LBB36_27:
	s_or_b64 exec, exec, s[0:1]
	v_sub_u32_e32 v7, v7, v6
	v_add_u32_e32 v19, s15, v7
	v_cmp_ge_u32_e32 vcc, s15, v6
	v_cmp_ge_u32_e64 s[0:1], s20, v19
	s_or_b64 s[0:1], vcc, s[0:1]
                                        ; implicit-def: $vgpr20
                                        ; implicit-def: $vgpr9
                                        ; implicit-def: $vgpr8
                                        ; implicit-def: $vgpr7
	s_and_saveexec_b64 s[10:11], s[0:1]
	s_cbranch_execz .LBB36_33
; %bb.28:
	v_cmp_gt_u32_e32 vcc, s15, v6
                                        ; implicit-def: $vgpr2
	s_and_saveexec_b64 s[0:1], vcc
	s_cbranch_execz .LBB36_30
; %bb.29:
	v_lshlrev_b32_e32 v2, 2, v6
	ds_read_b32 v2, v2
.LBB36_30:
	s_or_b64 exec, exec, s[0:1]
	v_cmp_le_u32_e64 s[0:1], s20, v19
	v_cmp_gt_u32_e64 s[2:3], s20, v19
                                        ; implicit-def: $vgpr3
	s_and_saveexec_b64 s[4:5], s[2:3]
	s_cbranch_execz .LBB36_32
; %bb.31:
	v_lshlrev_b32_e32 v3, 2, v19
	ds_read_b32 v3, v3
.LBB36_32:
	s_or_b64 exec, exec, s[4:5]
	s_waitcnt lgkmcnt(0)
	v_cmp_le_u32_e64 s[2:3], v2, v3
	s_and_b64 s[2:3], vcc, s[2:3]
	s_or_b64 vcc, s[0:1], s[2:3]
	v_mov_b32_e32 v4, s20
	v_mov_b32_e32 v5, s15
	v_cndmask_b32_e32 v7, v19, v6, vcc
	v_cndmask_b32_e32 v8, v4, v5, vcc
	v_add_u32_e32 v9, 1, v7
	v_add_u32_e32 v8, -1, v8
	v_min_u32_e32 v8, v9, v8
	v_lshlrev_b32_e32 v8, 2, v8
	ds_read_b32 v8, v8
	v_cndmask_b32_e32 v6, v6, v9, vcc
	v_cndmask_b32_e32 v19, v9, v19, vcc
	v_cmp_gt_u32_e64 s[2:3], s15, v6
	v_cmp_le_u32_e64 s[0:1], s20, v19
	s_waitcnt lgkmcnt(0)
	v_cndmask_b32_e32 v20, v8, v3, vcc
	v_cndmask_b32_e32 v21, v2, v8, vcc
	v_cmp_le_u32_e64 s[4:5], v21, v20
	s_and_b64 s[2:3], s[2:3], s[4:5]
	s_or_b64 s[0:1], s[0:1], s[2:3]
	v_cndmask_b32_e64 v8, v19, v6, s[0:1]
	v_cndmask_b32_e64 v9, v4, v5, s[0:1]
	v_add_u32_e32 v22, 1, v8
	v_add_u32_e32 v9, -1, v9
	v_min_u32_e32 v9, v22, v9
	v_lshlrev_b32_e32 v9, 2, v9
	ds_read_b32 v9, v9
	v_cndmask_b32_e64 v6, v6, v22, s[0:1]
	v_cndmask_b32_e64 v19, v22, v19, s[0:1]
	v_cmp_gt_u32_e64 s[4:5], s15, v6
	v_cmp_le_u32_e64 s[2:3], s20, v19
	s_waitcnt lgkmcnt(0)
	v_cndmask_b32_e64 v23, v9, v20, s[0:1]
	v_cndmask_b32_e64 v24, v21, v9, s[0:1]
	v_cmp_le_u32_e64 s[6:7], v24, v23
	s_and_b64 s[4:5], s[4:5], s[6:7]
	s_or_b64 s[2:3], s[2:3], s[4:5]
	v_cndmask_b32_e64 v9, v19, v6, s[2:3]
	v_cndmask_b32_e64 v4, v4, v5, s[2:3]
	v_add_u32_e32 v5, 1, v9
	v_add_u32_e32 v4, -1, v4
	v_min_u32_e32 v4, v5, v4
	v_lshlrev_b32_e32 v4, 2, v4
	ds_read_b32 v22, v4
	v_cndmask_b32_e32 v2, v3, v2, vcc
	v_cndmask_b32_e64 v3, v20, v21, s[0:1]
	v_cndmask_b32_e64 v19, v5, v19, s[2:3]
	;; [unrolled: 1-line block ×3, first 2 shown]
	s_waitcnt lgkmcnt(0)
	v_cndmask_b32_e64 v21, v22, v23, s[2:3]
	v_cndmask_b32_e64 v22, v24, v22, s[2:3]
	;; [unrolled: 1-line block ×3, first 2 shown]
	v_cmp_gt_u32_e64 s[0:1], s15, v5
	v_cmp_le_u32_e64 s[2:3], v22, v21
	v_cmp_le_u32_e32 vcc, s20, v19
	s_and_b64 s[0:1], s[0:1], s[2:3]
	s_or_b64 vcc, vcc, s[0:1]
	v_cndmask_b32_e32 v20, v19, v5, vcc
	v_cndmask_b32_e32 v5, v21, v22, vcc
.LBB36_33:
	s_or_b64 exec, exec, s[10:11]
	v_add_u32_e32 v22, v1, v1
	v_lshlrev_b32_e32 v6, 3, v7
	v_lshlrev_b32_e32 v7, 3, v8
	v_lshlrev_b32_e32 v8, 3, v9
	v_lshlrev_b32_e32 v9, 3, v20
	s_barrier
	s_waitcnt vmcnt(2)
	ds_write2st64_b64 v22, v[10:11], v[12:13] offset1:4
	s_waitcnt vmcnt(0)
	ds_write2st64_b64 v22, v[14:15], v[16:17] offset0:8 offset1:12
	s_waitcnt lgkmcnt(0)
	s_barrier
	ds_read_b64 v[10:11], v6
	ds_read_b64 v[12:13], v7
	;; [unrolled: 1-line block ×4, first 2 shown]
	s_mov_b32 s17, 0
	s_lshl_b64 s[0:1], s[16:17], 2
	v_lshrrev_b32_e32 v14, 3, v0
	s_add_u32 s0, s8, s0
	v_add_u32_e32 v16, v14, v1
	s_addc_u32 s1, s9, s1
	v_lshlrev_b32_e32 v17, 2, v16
	s_waitcnt lgkmcnt(0)
	s_barrier
	s_barrier
	ds_write2_b32 v17, v2, v3 offset1:1
	ds_write2_b32 v17, v4, v5 offset0:2 offset1:3
	v_or_b32_e32 v21, 0x100, v0
	v_or_b32_e32 v20, 0x200, v0
	v_or_b32_e32 v19, 0x300, v0
	v_mov_b32_e32 v3, s1
	v_add_co_u32_e32 v2, vcc, s0, v1
	v_lshrrev_b32_e32 v14, 5, v0
	v_lshrrev_b32_e32 v4, 5, v21
	;; [unrolled: 1-line block ×4, first 2 shown]
	v_addc_co_u32_e32 v3, vcc, 0, v3, vcc
	v_lshl_add_u32 v15, v14, 2, v1
	v_lshl_add_u32 v23, v4, 2, v1
	;; [unrolled: 1-line block ×4, first 2 shown]
	s_mov_b64 s[0:1], -1
	s_and_b64 vcc, exec, s[18:19]
	v_lshl_add_u32 v1, v4, 3, v22
	v_lshl_add_u32 v4, v5, 3, v22
	;; [unrolled: 1-line block ×3, first 2 shown]
	s_waitcnt lgkmcnt(0)
	s_cbranch_vccz .LBB36_35
; %bb.34:
	s_barrier
	ds_read_b32 v26, v15
	ds_read_b32 v27, v23 offset:1024
	ds_read_b32 v28, v24 offset:2048
	;; [unrolled: 1-line block ×3, first 2 shown]
	s_lshl_b64 s[0:1], s[16:17], 3
	s_add_u32 s0, s12, s0
	s_waitcnt lgkmcnt(3)
	global_store_dword v[2:3], v26, off
	s_waitcnt lgkmcnt(2)
	global_store_dword v[2:3], v27, off offset:1024
	s_waitcnt lgkmcnt(1)
	global_store_dword v[2:3], v28, off offset:2048
	;; [unrolled: 2-line block ×3, first 2 shown]
	v_lshlrev_b32_e32 v26, 3, v16
	v_lshl_add_u32 v22, v14, 3, v22
	s_barrier
	s_addc_u32 s1, s13, s1
	ds_write2_b64 v26, v[10:11], v[12:13] offset1:1
	ds_write2_b64 v26, v[6:7], v[8:9] offset0:2 offset1:3
	s_waitcnt lgkmcnt(0)
	s_barrier
	ds_read_b64 v[26:27], v22
	ds_read_b64 v[28:29], v1 offset:2048
	v_mov_b32_e32 v30, s1
	v_add_co_u32_e32 v22, vcc, s0, v18
	v_addc_co_u32_e32 v34, vcc, 0, v30, vcc
	ds_read_b64 v[30:31], v4 offset:4096
	ds_read_b64 v[32:33], v5 offset:6144
	s_waitcnt lgkmcnt(3)
	global_store_dwordx2 v18, v[26:27], s[0:1]
	s_waitcnt lgkmcnt(2)
	global_store_dwordx2 v18, v[28:29], s[0:1] offset:2048
	v_add_co_u32_e32 v26, vcc, 0x1000, v22
	v_addc_co_u32_e32 v27, vcc, 0, v34, vcc
	s_waitcnt lgkmcnt(1)
	global_store_dwordx2 v[26:27], v[30:31], off
	s_waitcnt lgkmcnt(0)
	global_store_dwordx2 v[26:27], v[32:33], off offset:2048
	s_mov_b64 s[0:1], 0
.LBB36_35:
	s_andn2_b64 vcc, exec, s[0:1]
	s_cbranch_vccnz .LBB36_46
; %bb.36:
	s_barrier
	ds_read_b32 v26, v23 offset:1024
	ds_read_b32 v23, v24 offset:2048
	;; [unrolled: 1-line block ×3, first 2 shown]
	s_sub_i32 s6, s14, s16
	v_cmp_gt_u32_e32 vcc, s6, v0
	s_and_saveexec_b64 s[0:1], vcc
	s_cbranch_execnz .LBB36_49
; %bb.37:
	s_or_b64 exec, exec, s[0:1]
	v_cmp_gt_u32_e64 s[2:3], s6, v21
	s_and_saveexec_b64 s[0:1], s[2:3]
	s_cbranch_execnz .LBB36_50
.LBB36_38:
	s_or_b64 exec, exec, s[0:1]
	v_cmp_gt_u32_e64 s[4:5], s6, v20
	s_and_saveexec_b64 s[0:1], s[4:5]
	s_cbranch_execnz .LBB36_51
.LBB36_39:
	s_or_b64 exec, exec, s[0:1]
	v_cmp_gt_u32_e64 s[0:1], s6, v19
	s_and_saveexec_b64 s[6:7], s[0:1]
	s_cbranch_execz .LBB36_41
.LBB36_40:
	s_waitcnt lgkmcnt(0)
	global_store_dword v[2:3], v22, off offset:3072
.LBB36_41:
	s_or_b64 exec, exec, s[6:7]
	v_lshl_add_u32 v2, v16, 2, v17
	s_waitcnt lgkmcnt(0)
	s_barrier
	ds_write2_b64 v2, v[10:11], v[12:13] offset1:1
	ds_write2_b64 v2, v[6:7], v[8:9] offset0:2 offset1:3
	s_waitcnt lgkmcnt(0)
	s_barrier
	ds_read_b64 v[8:9], v1 offset:2048
	ds_read_b64 v[6:7], v4 offset:4096
	;; [unrolled: 1-line block ×3, first 2 shown]
	s_lshl_b64 s[6:7], s[16:17], 3
	s_add_u32 s6, s12, s6
	s_addc_u32 s7, s13, s7
	v_mov_b32_e32 v1, s7
	v_add_co_u32_e64 v4, s[6:7], s6, v18
	v_addc_co_u32_e64 v5, s[6:7], 0, v1, s[6:7]
	s_and_saveexec_b64 s[6:7], vcc
	s_cbranch_execnz .LBB36_52
; %bb.42:
	s_or_b64 exec, exec, s[6:7]
	s_and_saveexec_b64 s[6:7], s[2:3]
	s_cbranch_execnz .LBB36_53
.LBB36_43:
	s_or_b64 exec, exec, s[6:7]
	s_and_saveexec_b64 s[2:3], s[4:5]
	s_cbranch_execnz .LBB36_54
.LBB36_44:
	s_or_b64 exec, exec, s[2:3]
	s_and_saveexec_b64 s[2:3], s[0:1]
	s_cbranch_execz .LBB36_46
.LBB36_45:
	v_add_co_u32_e32 v0, vcc, 0x1000, v4
	v_addc_co_u32_e32 v1, vcc, 0, v5, vcc
	s_waitcnt lgkmcnt(0)
	global_store_dwordx2 v[0:1], v[2:3], off offset:2048
.LBB36_46:
	s_endpgm
.LBB36_47:
	s_waitcnt vmcnt(2)
	v_mov_b32_e32 v2, s25
	s_waitcnt vmcnt(0)
	v_add_co_u32_e32 v4, vcc, s24, v1
	v_mov_b32_e32 v3, 0
	v_addc_co_u32_e32 v5, vcc, 0, v2, vcc
	v_subrev_u32_e32 v2, s15, v0
	v_lshlrev_b64 v[2:3], 2, v[2:3]
	v_mov_b32_e32 v7, s23
	v_add_co_u32_e32 v2, vcc, s21, v2
	v_addc_co_u32_e32 v3, vcc, v7, v3, vcc
	v_cmp_gt_u32_e32 vcc, s15, v0
	v_cndmask_b32_e32 v3, v3, v5, vcc
	v_cndmask_b32_e32 v2, v2, v4, vcc
	global_load_dword v2, v[2:3], off
	s_or_b64 exec, exec, s[0:1]
	v_cmp_gt_u32_e32 vcc, s6, v8
	s_and_saveexec_b64 s[0:1], vcc
	s_cbranch_execz .LBB36_6
.LBB36_48:
	v_mov_b32_e32 v9, 0
	v_lshlrev_b64 v[10:11], 2, v[8:9]
	s_waitcnt vmcnt(1)
	v_mov_b32_e32 v3, s25
	v_add_co_u32_e32 v7, vcc, s24, v10
	v_addc_co_u32_e32 v3, vcc, v3, v11, vcc
	v_subrev_u32_e32 v10, s15, v8
	v_mov_b32_e32 v11, v9
	v_lshlrev_b64 v[10:11], 2, v[10:11]
	v_mov_b32_e32 v9, s23
	v_add_co_u32_e32 v10, vcc, s21, v10
	v_addc_co_u32_e32 v9, vcc, v9, v11, vcc
	v_cmp_gt_u32_e32 vcc, s15, v8
	v_cndmask_b32_e32 v11, v9, v3, vcc
	v_cndmask_b32_e32 v10, v10, v7, vcc
	global_load_dword v3, v[10:11], off
	s_or_b64 exec, exec, s[0:1]
	v_cmp_gt_u32_e32 vcc, s6, v6
	s_and_saveexec_b64 s[0:1], vcc
	s_cbranch_execnz .LBB36_7
	s_branch .LBB36_8
.LBB36_49:
	ds_read_b32 v24, v15
	s_waitcnt lgkmcnt(0)
	global_store_dword v[2:3], v24, off
	s_or_b64 exec, exec, s[0:1]
	v_cmp_gt_u32_e64 s[2:3], s6, v21
	s_and_saveexec_b64 s[0:1], s[2:3]
	s_cbranch_execz .LBB36_38
.LBB36_50:
	s_waitcnt lgkmcnt(2)
	global_store_dword v[2:3], v26, off offset:1024
	s_or_b64 exec, exec, s[0:1]
	v_cmp_gt_u32_e64 s[4:5], s6, v20
	s_and_saveexec_b64 s[0:1], s[4:5]
	s_cbranch_execz .LBB36_39
.LBB36_51:
	s_waitcnt lgkmcnt(1)
	global_store_dword v[2:3], v23, off offset:2048
	s_or_b64 exec, exec, s[0:1]
	v_cmp_gt_u32_e64 s[0:1], s6, v19
	s_and_saveexec_b64 s[6:7], s[0:1]
	s_cbranch_execnz .LBB36_40
	s_branch .LBB36_41
.LBB36_52:
	v_add_u32_e32 v0, v14, v0
	v_lshl_add_u32 v0, v0, 2, v15
	ds_read_b64 v[0:1], v0
	s_waitcnt lgkmcnt(0)
	global_store_dwordx2 v[4:5], v[0:1], off
	s_or_b64 exec, exec, s[6:7]
	s_and_saveexec_b64 s[6:7], s[2:3]
	s_cbranch_execz .LBB36_43
.LBB36_53:
	s_waitcnt lgkmcnt(2)
	global_store_dwordx2 v[4:5], v[8:9], off offset:2048
	s_or_b64 exec, exec, s[6:7]
	s_and_saveexec_b64 s[2:3], s[4:5]
	s_cbranch_execz .LBB36_44
.LBB36_54:
	v_add_co_u32_e32 v0, vcc, 0x1000, v4
	v_addc_co_u32_e32 v1, vcc, 0, v5, vcc
	s_waitcnt lgkmcnt(1)
	global_store_dwordx2 v[0:1], v[6:7], off
	s_or_b64 exec, exec, s[2:3]
	s_and_saveexec_b64 s[2:3], s[0:1]
	s_cbranch_execnz .LBB36_45
	s_branch .LBB36_46
	.section	.rodata,"a",@progbits
	.p2align	6, 0x0
	.amdhsa_kernel _ZN7rocprim17ROCPRIM_400000_NS6detail17trampoline_kernelINS0_14default_configENS1_38merge_sort_block_merge_config_selectorIjN6thrust23THRUST_200600_302600_NS5tupleIffNS6_9null_typeES8_S8_S8_S8_S8_S8_S8_EEEEZZNS1_27merge_sort_block_merge_implIS3_NS6_6detail15normal_iteratorINS6_10device_ptrIjEEEENSD_INSE_IS9_EEEEjNS1_19radix_merge_compareILb0ELb0EjNS0_19identity_decomposerEEEEE10hipError_tT0_T1_T2_jT3_P12ihipStream_tbPNSt15iterator_traitsISN_E10value_typeEPNST_ISO_E10value_typeEPSP_NS1_7vsmem_tEENKUlT_SN_SO_SP_E_clIPjSG_PS9_SI_EESM_S12_SN_SO_SP_EUlS12_E0_NS1_11comp_targetILNS1_3genE4ELNS1_11target_archE910ELNS1_3gpuE8ELNS1_3repE0EEENS1_38merge_mergepath_config_static_selectorELNS0_4arch9wavefront6targetE1EEEvSO_
		.amdhsa_group_segment_fixed_size 8448
		.amdhsa_private_segment_fixed_size 0
		.amdhsa_kernarg_size 320
		.amdhsa_user_sgpr_count 6
		.amdhsa_user_sgpr_private_segment_buffer 1
		.amdhsa_user_sgpr_dispatch_ptr 0
		.amdhsa_user_sgpr_queue_ptr 0
		.amdhsa_user_sgpr_kernarg_segment_ptr 1
		.amdhsa_user_sgpr_dispatch_id 0
		.amdhsa_user_sgpr_flat_scratch_init 0
		.amdhsa_user_sgpr_kernarg_preload_length 0
		.amdhsa_user_sgpr_kernarg_preload_offset 0
		.amdhsa_user_sgpr_private_segment_size 0
		.amdhsa_uses_dynamic_stack 0
		.amdhsa_system_sgpr_private_segment_wavefront_offset 0
		.amdhsa_system_sgpr_workgroup_id_x 1
		.amdhsa_system_sgpr_workgroup_id_y 1
		.amdhsa_system_sgpr_workgroup_id_z 1
		.amdhsa_system_sgpr_workgroup_info 0
		.amdhsa_system_vgpr_workitem_id 0
		.amdhsa_next_free_vgpr 35
		.amdhsa_next_free_sgpr 30
		.amdhsa_accum_offset 36
		.amdhsa_reserve_vcc 1
		.amdhsa_reserve_flat_scratch 0
		.amdhsa_float_round_mode_32 0
		.amdhsa_float_round_mode_16_64 0
		.amdhsa_float_denorm_mode_32 3
		.amdhsa_float_denorm_mode_16_64 3
		.amdhsa_dx10_clamp 1
		.amdhsa_ieee_mode 1
		.amdhsa_fp16_overflow 0
		.amdhsa_tg_split 0
		.amdhsa_exception_fp_ieee_invalid_op 0
		.amdhsa_exception_fp_denorm_src 0
		.amdhsa_exception_fp_ieee_div_zero 0
		.amdhsa_exception_fp_ieee_overflow 0
		.amdhsa_exception_fp_ieee_underflow 0
		.amdhsa_exception_fp_ieee_inexact 0
		.amdhsa_exception_int_div_zero 0
	.end_amdhsa_kernel
	.section	.text._ZN7rocprim17ROCPRIM_400000_NS6detail17trampoline_kernelINS0_14default_configENS1_38merge_sort_block_merge_config_selectorIjN6thrust23THRUST_200600_302600_NS5tupleIffNS6_9null_typeES8_S8_S8_S8_S8_S8_S8_EEEEZZNS1_27merge_sort_block_merge_implIS3_NS6_6detail15normal_iteratorINS6_10device_ptrIjEEEENSD_INSE_IS9_EEEEjNS1_19radix_merge_compareILb0ELb0EjNS0_19identity_decomposerEEEEE10hipError_tT0_T1_T2_jT3_P12ihipStream_tbPNSt15iterator_traitsISN_E10value_typeEPNST_ISO_E10value_typeEPSP_NS1_7vsmem_tEENKUlT_SN_SO_SP_E_clIPjSG_PS9_SI_EESM_S12_SN_SO_SP_EUlS12_E0_NS1_11comp_targetILNS1_3genE4ELNS1_11target_archE910ELNS1_3gpuE8ELNS1_3repE0EEENS1_38merge_mergepath_config_static_selectorELNS0_4arch9wavefront6targetE1EEEvSO_,"axG",@progbits,_ZN7rocprim17ROCPRIM_400000_NS6detail17trampoline_kernelINS0_14default_configENS1_38merge_sort_block_merge_config_selectorIjN6thrust23THRUST_200600_302600_NS5tupleIffNS6_9null_typeES8_S8_S8_S8_S8_S8_S8_EEEEZZNS1_27merge_sort_block_merge_implIS3_NS6_6detail15normal_iteratorINS6_10device_ptrIjEEEENSD_INSE_IS9_EEEEjNS1_19radix_merge_compareILb0ELb0EjNS0_19identity_decomposerEEEEE10hipError_tT0_T1_T2_jT3_P12ihipStream_tbPNSt15iterator_traitsISN_E10value_typeEPNST_ISO_E10value_typeEPSP_NS1_7vsmem_tEENKUlT_SN_SO_SP_E_clIPjSG_PS9_SI_EESM_S12_SN_SO_SP_EUlS12_E0_NS1_11comp_targetILNS1_3genE4ELNS1_11target_archE910ELNS1_3gpuE8ELNS1_3repE0EEENS1_38merge_mergepath_config_static_selectorELNS0_4arch9wavefront6targetE1EEEvSO_,comdat
.Lfunc_end36:
	.size	_ZN7rocprim17ROCPRIM_400000_NS6detail17trampoline_kernelINS0_14default_configENS1_38merge_sort_block_merge_config_selectorIjN6thrust23THRUST_200600_302600_NS5tupleIffNS6_9null_typeES8_S8_S8_S8_S8_S8_S8_EEEEZZNS1_27merge_sort_block_merge_implIS3_NS6_6detail15normal_iteratorINS6_10device_ptrIjEEEENSD_INSE_IS9_EEEEjNS1_19radix_merge_compareILb0ELb0EjNS0_19identity_decomposerEEEEE10hipError_tT0_T1_T2_jT3_P12ihipStream_tbPNSt15iterator_traitsISN_E10value_typeEPNST_ISO_E10value_typeEPSP_NS1_7vsmem_tEENKUlT_SN_SO_SP_E_clIPjSG_PS9_SI_EESM_S12_SN_SO_SP_EUlS12_E0_NS1_11comp_targetILNS1_3genE4ELNS1_11target_archE910ELNS1_3gpuE8ELNS1_3repE0EEENS1_38merge_mergepath_config_static_selectorELNS0_4arch9wavefront6targetE1EEEvSO_, .Lfunc_end36-_ZN7rocprim17ROCPRIM_400000_NS6detail17trampoline_kernelINS0_14default_configENS1_38merge_sort_block_merge_config_selectorIjN6thrust23THRUST_200600_302600_NS5tupleIffNS6_9null_typeES8_S8_S8_S8_S8_S8_S8_EEEEZZNS1_27merge_sort_block_merge_implIS3_NS6_6detail15normal_iteratorINS6_10device_ptrIjEEEENSD_INSE_IS9_EEEEjNS1_19radix_merge_compareILb0ELb0EjNS0_19identity_decomposerEEEEE10hipError_tT0_T1_T2_jT3_P12ihipStream_tbPNSt15iterator_traitsISN_E10value_typeEPNST_ISO_E10value_typeEPSP_NS1_7vsmem_tEENKUlT_SN_SO_SP_E_clIPjSG_PS9_SI_EESM_S12_SN_SO_SP_EUlS12_E0_NS1_11comp_targetILNS1_3genE4ELNS1_11target_archE910ELNS1_3gpuE8ELNS1_3repE0EEENS1_38merge_mergepath_config_static_selectorELNS0_4arch9wavefront6targetE1EEEvSO_
                                        ; -- End function
	.section	.AMDGPU.csdata,"",@progbits
; Kernel info:
; codeLenInByte = 3356
; NumSgprs: 34
; NumVgprs: 35
; NumAgprs: 0
; TotalNumVgprs: 35
; ScratchSize: 0
; MemoryBound: 0
; FloatMode: 240
; IeeeMode: 1
; LDSByteSize: 8448 bytes/workgroup (compile time only)
; SGPRBlocks: 4
; VGPRBlocks: 4
; NumSGPRsForWavesPerEU: 34
; NumVGPRsForWavesPerEU: 35
; AccumOffset: 36
; Occupancy: 7
; WaveLimiterHint : 1
; COMPUTE_PGM_RSRC2:SCRATCH_EN: 0
; COMPUTE_PGM_RSRC2:USER_SGPR: 6
; COMPUTE_PGM_RSRC2:TRAP_HANDLER: 0
; COMPUTE_PGM_RSRC2:TGID_X_EN: 1
; COMPUTE_PGM_RSRC2:TGID_Y_EN: 1
; COMPUTE_PGM_RSRC2:TGID_Z_EN: 1
; COMPUTE_PGM_RSRC2:TIDIG_COMP_CNT: 0
; COMPUTE_PGM_RSRC3_GFX90A:ACCUM_OFFSET: 8
; COMPUTE_PGM_RSRC3_GFX90A:TG_SPLIT: 0
	.section	.text._ZN7rocprim17ROCPRIM_400000_NS6detail17trampoline_kernelINS0_14default_configENS1_38merge_sort_block_merge_config_selectorIjN6thrust23THRUST_200600_302600_NS5tupleIffNS6_9null_typeES8_S8_S8_S8_S8_S8_S8_EEEEZZNS1_27merge_sort_block_merge_implIS3_NS6_6detail15normal_iteratorINS6_10device_ptrIjEEEENSD_INSE_IS9_EEEEjNS1_19radix_merge_compareILb0ELb0EjNS0_19identity_decomposerEEEEE10hipError_tT0_T1_T2_jT3_P12ihipStream_tbPNSt15iterator_traitsISN_E10value_typeEPNST_ISO_E10value_typeEPSP_NS1_7vsmem_tEENKUlT_SN_SO_SP_E_clIPjSG_PS9_SI_EESM_S12_SN_SO_SP_EUlS12_E0_NS1_11comp_targetILNS1_3genE3ELNS1_11target_archE908ELNS1_3gpuE7ELNS1_3repE0EEENS1_38merge_mergepath_config_static_selectorELNS0_4arch9wavefront6targetE1EEEvSO_,"axG",@progbits,_ZN7rocprim17ROCPRIM_400000_NS6detail17trampoline_kernelINS0_14default_configENS1_38merge_sort_block_merge_config_selectorIjN6thrust23THRUST_200600_302600_NS5tupleIffNS6_9null_typeES8_S8_S8_S8_S8_S8_S8_EEEEZZNS1_27merge_sort_block_merge_implIS3_NS6_6detail15normal_iteratorINS6_10device_ptrIjEEEENSD_INSE_IS9_EEEEjNS1_19radix_merge_compareILb0ELb0EjNS0_19identity_decomposerEEEEE10hipError_tT0_T1_T2_jT3_P12ihipStream_tbPNSt15iterator_traitsISN_E10value_typeEPNST_ISO_E10value_typeEPSP_NS1_7vsmem_tEENKUlT_SN_SO_SP_E_clIPjSG_PS9_SI_EESM_S12_SN_SO_SP_EUlS12_E0_NS1_11comp_targetILNS1_3genE3ELNS1_11target_archE908ELNS1_3gpuE7ELNS1_3repE0EEENS1_38merge_mergepath_config_static_selectorELNS0_4arch9wavefront6targetE1EEEvSO_,comdat
	.protected	_ZN7rocprim17ROCPRIM_400000_NS6detail17trampoline_kernelINS0_14default_configENS1_38merge_sort_block_merge_config_selectorIjN6thrust23THRUST_200600_302600_NS5tupleIffNS6_9null_typeES8_S8_S8_S8_S8_S8_S8_EEEEZZNS1_27merge_sort_block_merge_implIS3_NS6_6detail15normal_iteratorINS6_10device_ptrIjEEEENSD_INSE_IS9_EEEEjNS1_19radix_merge_compareILb0ELb0EjNS0_19identity_decomposerEEEEE10hipError_tT0_T1_T2_jT3_P12ihipStream_tbPNSt15iterator_traitsISN_E10value_typeEPNST_ISO_E10value_typeEPSP_NS1_7vsmem_tEENKUlT_SN_SO_SP_E_clIPjSG_PS9_SI_EESM_S12_SN_SO_SP_EUlS12_E0_NS1_11comp_targetILNS1_3genE3ELNS1_11target_archE908ELNS1_3gpuE7ELNS1_3repE0EEENS1_38merge_mergepath_config_static_selectorELNS0_4arch9wavefront6targetE1EEEvSO_ ; -- Begin function _ZN7rocprim17ROCPRIM_400000_NS6detail17trampoline_kernelINS0_14default_configENS1_38merge_sort_block_merge_config_selectorIjN6thrust23THRUST_200600_302600_NS5tupleIffNS6_9null_typeES8_S8_S8_S8_S8_S8_S8_EEEEZZNS1_27merge_sort_block_merge_implIS3_NS6_6detail15normal_iteratorINS6_10device_ptrIjEEEENSD_INSE_IS9_EEEEjNS1_19radix_merge_compareILb0ELb0EjNS0_19identity_decomposerEEEEE10hipError_tT0_T1_T2_jT3_P12ihipStream_tbPNSt15iterator_traitsISN_E10value_typeEPNST_ISO_E10value_typeEPSP_NS1_7vsmem_tEENKUlT_SN_SO_SP_E_clIPjSG_PS9_SI_EESM_S12_SN_SO_SP_EUlS12_E0_NS1_11comp_targetILNS1_3genE3ELNS1_11target_archE908ELNS1_3gpuE7ELNS1_3repE0EEENS1_38merge_mergepath_config_static_selectorELNS0_4arch9wavefront6targetE1EEEvSO_
	.globl	_ZN7rocprim17ROCPRIM_400000_NS6detail17trampoline_kernelINS0_14default_configENS1_38merge_sort_block_merge_config_selectorIjN6thrust23THRUST_200600_302600_NS5tupleIffNS6_9null_typeES8_S8_S8_S8_S8_S8_S8_EEEEZZNS1_27merge_sort_block_merge_implIS3_NS6_6detail15normal_iteratorINS6_10device_ptrIjEEEENSD_INSE_IS9_EEEEjNS1_19radix_merge_compareILb0ELb0EjNS0_19identity_decomposerEEEEE10hipError_tT0_T1_T2_jT3_P12ihipStream_tbPNSt15iterator_traitsISN_E10value_typeEPNST_ISO_E10value_typeEPSP_NS1_7vsmem_tEENKUlT_SN_SO_SP_E_clIPjSG_PS9_SI_EESM_S12_SN_SO_SP_EUlS12_E0_NS1_11comp_targetILNS1_3genE3ELNS1_11target_archE908ELNS1_3gpuE7ELNS1_3repE0EEENS1_38merge_mergepath_config_static_selectorELNS0_4arch9wavefront6targetE1EEEvSO_
	.p2align	8
	.type	_ZN7rocprim17ROCPRIM_400000_NS6detail17trampoline_kernelINS0_14default_configENS1_38merge_sort_block_merge_config_selectorIjN6thrust23THRUST_200600_302600_NS5tupleIffNS6_9null_typeES8_S8_S8_S8_S8_S8_S8_EEEEZZNS1_27merge_sort_block_merge_implIS3_NS6_6detail15normal_iteratorINS6_10device_ptrIjEEEENSD_INSE_IS9_EEEEjNS1_19radix_merge_compareILb0ELb0EjNS0_19identity_decomposerEEEEE10hipError_tT0_T1_T2_jT3_P12ihipStream_tbPNSt15iterator_traitsISN_E10value_typeEPNST_ISO_E10value_typeEPSP_NS1_7vsmem_tEENKUlT_SN_SO_SP_E_clIPjSG_PS9_SI_EESM_S12_SN_SO_SP_EUlS12_E0_NS1_11comp_targetILNS1_3genE3ELNS1_11target_archE908ELNS1_3gpuE7ELNS1_3repE0EEENS1_38merge_mergepath_config_static_selectorELNS0_4arch9wavefront6targetE1EEEvSO_,@function
_ZN7rocprim17ROCPRIM_400000_NS6detail17trampoline_kernelINS0_14default_configENS1_38merge_sort_block_merge_config_selectorIjN6thrust23THRUST_200600_302600_NS5tupleIffNS6_9null_typeES8_S8_S8_S8_S8_S8_S8_EEEEZZNS1_27merge_sort_block_merge_implIS3_NS6_6detail15normal_iteratorINS6_10device_ptrIjEEEENSD_INSE_IS9_EEEEjNS1_19radix_merge_compareILb0ELb0EjNS0_19identity_decomposerEEEEE10hipError_tT0_T1_T2_jT3_P12ihipStream_tbPNSt15iterator_traitsISN_E10value_typeEPNST_ISO_E10value_typeEPSP_NS1_7vsmem_tEENKUlT_SN_SO_SP_E_clIPjSG_PS9_SI_EESM_S12_SN_SO_SP_EUlS12_E0_NS1_11comp_targetILNS1_3genE3ELNS1_11target_archE908ELNS1_3gpuE7ELNS1_3repE0EEENS1_38merge_mergepath_config_static_selectorELNS0_4arch9wavefront6targetE1EEEvSO_: ; @_ZN7rocprim17ROCPRIM_400000_NS6detail17trampoline_kernelINS0_14default_configENS1_38merge_sort_block_merge_config_selectorIjN6thrust23THRUST_200600_302600_NS5tupleIffNS6_9null_typeES8_S8_S8_S8_S8_S8_S8_EEEEZZNS1_27merge_sort_block_merge_implIS3_NS6_6detail15normal_iteratorINS6_10device_ptrIjEEEENSD_INSE_IS9_EEEEjNS1_19radix_merge_compareILb0ELb0EjNS0_19identity_decomposerEEEEE10hipError_tT0_T1_T2_jT3_P12ihipStream_tbPNSt15iterator_traitsISN_E10value_typeEPNST_ISO_E10value_typeEPSP_NS1_7vsmem_tEENKUlT_SN_SO_SP_E_clIPjSG_PS9_SI_EESM_S12_SN_SO_SP_EUlS12_E0_NS1_11comp_targetILNS1_3genE3ELNS1_11target_archE908ELNS1_3gpuE7ELNS1_3repE0EEENS1_38merge_mergepath_config_static_selectorELNS0_4arch9wavefront6targetE1EEEvSO_
; %bb.0:
	.section	.rodata,"a",@progbits
	.p2align	6, 0x0
	.amdhsa_kernel _ZN7rocprim17ROCPRIM_400000_NS6detail17trampoline_kernelINS0_14default_configENS1_38merge_sort_block_merge_config_selectorIjN6thrust23THRUST_200600_302600_NS5tupleIffNS6_9null_typeES8_S8_S8_S8_S8_S8_S8_EEEEZZNS1_27merge_sort_block_merge_implIS3_NS6_6detail15normal_iteratorINS6_10device_ptrIjEEEENSD_INSE_IS9_EEEEjNS1_19radix_merge_compareILb0ELb0EjNS0_19identity_decomposerEEEEE10hipError_tT0_T1_T2_jT3_P12ihipStream_tbPNSt15iterator_traitsISN_E10value_typeEPNST_ISO_E10value_typeEPSP_NS1_7vsmem_tEENKUlT_SN_SO_SP_E_clIPjSG_PS9_SI_EESM_S12_SN_SO_SP_EUlS12_E0_NS1_11comp_targetILNS1_3genE3ELNS1_11target_archE908ELNS1_3gpuE7ELNS1_3repE0EEENS1_38merge_mergepath_config_static_selectorELNS0_4arch9wavefront6targetE1EEEvSO_
		.amdhsa_group_segment_fixed_size 0
		.amdhsa_private_segment_fixed_size 0
		.amdhsa_kernarg_size 64
		.amdhsa_user_sgpr_count 6
		.amdhsa_user_sgpr_private_segment_buffer 1
		.amdhsa_user_sgpr_dispatch_ptr 0
		.amdhsa_user_sgpr_queue_ptr 0
		.amdhsa_user_sgpr_kernarg_segment_ptr 1
		.amdhsa_user_sgpr_dispatch_id 0
		.amdhsa_user_sgpr_flat_scratch_init 0
		.amdhsa_user_sgpr_kernarg_preload_length 0
		.amdhsa_user_sgpr_kernarg_preload_offset 0
		.amdhsa_user_sgpr_private_segment_size 0
		.amdhsa_uses_dynamic_stack 0
		.amdhsa_system_sgpr_private_segment_wavefront_offset 0
		.amdhsa_system_sgpr_workgroup_id_x 1
		.amdhsa_system_sgpr_workgroup_id_y 0
		.amdhsa_system_sgpr_workgroup_id_z 0
		.amdhsa_system_sgpr_workgroup_info 0
		.amdhsa_system_vgpr_workitem_id 0
		.amdhsa_next_free_vgpr 1
		.amdhsa_next_free_sgpr 0
		.amdhsa_accum_offset 4
		.amdhsa_reserve_vcc 0
		.amdhsa_reserve_flat_scratch 0
		.amdhsa_float_round_mode_32 0
		.amdhsa_float_round_mode_16_64 0
		.amdhsa_float_denorm_mode_32 3
		.amdhsa_float_denorm_mode_16_64 3
		.amdhsa_dx10_clamp 1
		.amdhsa_ieee_mode 1
		.amdhsa_fp16_overflow 0
		.amdhsa_tg_split 0
		.amdhsa_exception_fp_ieee_invalid_op 0
		.amdhsa_exception_fp_denorm_src 0
		.amdhsa_exception_fp_ieee_div_zero 0
		.amdhsa_exception_fp_ieee_overflow 0
		.amdhsa_exception_fp_ieee_underflow 0
		.amdhsa_exception_fp_ieee_inexact 0
		.amdhsa_exception_int_div_zero 0
	.end_amdhsa_kernel
	.section	.text._ZN7rocprim17ROCPRIM_400000_NS6detail17trampoline_kernelINS0_14default_configENS1_38merge_sort_block_merge_config_selectorIjN6thrust23THRUST_200600_302600_NS5tupleIffNS6_9null_typeES8_S8_S8_S8_S8_S8_S8_EEEEZZNS1_27merge_sort_block_merge_implIS3_NS6_6detail15normal_iteratorINS6_10device_ptrIjEEEENSD_INSE_IS9_EEEEjNS1_19radix_merge_compareILb0ELb0EjNS0_19identity_decomposerEEEEE10hipError_tT0_T1_T2_jT3_P12ihipStream_tbPNSt15iterator_traitsISN_E10value_typeEPNST_ISO_E10value_typeEPSP_NS1_7vsmem_tEENKUlT_SN_SO_SP_E_clIPjSG_PS9_SI_EESM_S12_SN_SO_SP_EUlS12_E0_NS1_11comp_targetILNS1_3genE3ELNS1_11target_archE908ELNS1_3gpuE7ELNS1_3repE0EEENS1_38merge_mergepath_config_static_selectorELNS0_4arch9wavefront6targetE1EEEvSO_,"axG",@progbits,_ZN7rocprim17ROCPRIM_400000_NS6detail17trampoline_kernelINS0_14default_configENS1_38merge_sort_block_merge_config_selectorIjN6thrust23THRUST_200600_302600_NS5tupleIffNS6_9null_typeES8_S8_S8_S8_S8_S8_S8_EEEEZZNS1_27merge_sort_block_merge_implIS3_NS6_6detail15normal_iteratorINS6_10device_ptrIjEEEENSD_INSE_IS9_EEEEjNS1_19radix_merge_compareILb0ELb0EjNS0_19identity_decomposerEEEEE10hipError_tT0_T1_T2_jT3_P12ihipStream_tbPNSt15iterator_traitsISN_E10value_typeEPNST_ISO_E10value_typeEPSP_NS1_7vsmem_tEENKUlT_SN_SO_SP_E_clIPjSG_PS9_SI_EESM_S12_SN_SO_SP_EUlS12_E0_NS1_11comp_targetILNS1_3genE3ELNS1_11target_archE908ELNS1_3gpuE7ELNS1_3repE0EEENS1_38merge_mergepath_config_static_selectorELNS0_4arch9wavefront6targetE1EEEvSO_,comdat
.Lfunc_end37:
	.size	_ZN7rocprim17ROCPRIM_400000_NS6detail17trampoline_kernelINS0_14default_configENS1_38merge_sort_block_merge_config_selectorIjN6thrust23THRUST_200600_302600_NS5tupleIffNS6_9null_typeES8_S8_S8_S8_S8_S8_S8_EEEEZZNS1_27merge_sort_block_merge_implIS3_NS6_6detail15normal_iteratorINS6_10device_ptrIjEEEENSD_INSE_IS9_EEEEjNS1_19radix_merge_compareILb0ELb0EjNS0_19identity_decomposerEEEEE10hipError_tT0_T1_T2_jT3_P12ihipStream_tbPNSt15iterator_traitsISN_E10value_typeEPNST_ISO_E10value_typeEPSP_NS1_7vsmem_tEENKUlT_SN_SO_SP_E_clIPjSG_PS9_SI_EESM_S12_SN_SO_SP_EUlS12_E0_NS1_11comp_targetILNS1_3genE3ELNS1_11target_archE908ELNS1_3gpuE7ELNS1_3repE0EEENS1_38merge_mergepath_config_static_selectorELNS0_4arch9wavefront6targetE1EEEvSO_, .Lfunc_end37-_ZN7rocprim17ROCPRIM_400000_NS6detail17trampoline_kernelINS0_14default_configENS1_38merge_sort_block_merge_config_selectorIjN6thrust23THRUST_200600_302600_NS5tupleIffNS6_9null_typeES8_S8_S8_S8_S8_S8_S8_EEEEZZNS1_27merge_sort_block_merge_implIS3_NS6_6detail15normal_iteratorINS6_10device_ptrIjEEEENSD_INSE_IS9_EEEEjNS1_19radix_merge_compareILb0ELb0EjNS0_19identity_decomposerEEEEE10hipError_tT0_T1_T2_jT3_P12ihipStream_tbPNSt15iterator_traitsISN_E10value_typeEPNST_ISO_E10value_typeEPSP_NS1_7vsmem_tEENKUlT_SN_SO_SP_E_clIPjSG_PS9_SI_EESM_S12_SN_SO_SP_EUlS12_E0_NS1_11comp_targetILNS1_3genE3ELNS1_11target_archE908ELNS1_3gpuE7ELNS1_3repE0EEENS1_38merge_mergepath_config_static_selectorELNS0_4arch9wavefront6targetE1EEEvSO_
                                        ; -- End function
	.section	.AMDGPU.csdata,"",@progbits
; Kernel info:
; codeLenInByte = 0
; NumSgprs: 4
; NumVgprs: 0
; NumAgprs: 0
; TotalNumVgprs: 0
; ScratchSize: 0
; MemoryBound: 0
; FloatMode: 240
; IeeeMode: 1
; LDSByteSize: 0 bytes/workgroup (compile time only)
; SGPRBlocks: 0
; VGPRBlocks: 0
; NumSGPRsForWavesPerEU: 4
; NumVGPRsForWavesPerEU: 1
; AccumOffset: 4
; Occupancy: 8
; WaveLimiterHint : 0
; COMPUTE_PGM_RSRC2:SCRATCH_EN: 0
; COMPUTE_PGM_RSRC2:USER_SGPR: 6
; COMPUTE_PGM_RSRC2:TRAP_HANDLER: 0
; COMPUTE_PGM_RSRC2:TGID_X_EN: 1
; COMPUTE_PGM_RSRC2:TGID_Y_EN: 0
; COMPUTE_PGM_RSRC2:TGID_Z_EN: 0
; COMPUTE_PGM_RSRC2:TIDIG_COMP_CNT: 0
; COMPUTE_PGM_RSRC3_GFX90A:ACCUM_OFFSET: 0
; COMPUTE_PGM_RSRC3_GFX90A:TG_SPLIT: 0
	.section	.text._ZN7rocprim17ROCPRIM_400000_NS6detail17trampoline_kernelINS0_14default_configENS1_38merge_sort_block_merge_config_selectorIjN6thrust23THRUST_200600_302600_NS5tupleIffNS6_9null_typeES8_S8_S8_S8_S8_S8_S8_EEEEZZNS1_27merge_sort_block_merge_implIS3_NS6_6detail15normal_iteratorINS6_10device_ptrIjEEEENSD_INSE_IS9_EEEEjNS1_19radix_merge_compareILb0ELb0EjNS0_19identity_decomposerEEEEE10hipError_tT0_T1_T2_jT3_P12ihipStream_tbPNSt15iterator_traitsISN_E10value_typeEPNST_ISO_E10value_typeEPSP_NS1_7vsmem_tEENKUlT_SN_SO_SP_E_clIPjSG_PS9_SI_EESM_S12_SN_SO_SP_EUlS12_E0_NS1_11comp_targetILNS1_3genE2ELNS1_11target_archE906ELNS1_3gpuE6ELNS1_3repE0EEENS1_38merge_mergepath_config_static_selectorELNS0_4arch9wavefront6targetE1EEEvSO_,"axG",@progbits,_ZN7rocprim17ROCPRIM_400000_NS6detail17trampoline_kernelINS0_14default_configENS1_38merge_sort_block_merge_config_selectorIjN6thrust23THRUST_200600_302600_NS5tupleIffNS6_9null_typeES8_S8_S8_S8_S8_S8_S8_EEEEZZNS1_27merge_sort_block_merge_implIS3_NS6_6detail15normal_iteratorINS6_10device_ptrIjEEEENSD_INSE_IS9_EEEEjNS1_19radix_merge_compareILb0ELb0EjNS0_19identity_decomposerEEEEE10hipError_tT0_T1_T2_jT3_P12ihipStream_tbPNSt15iterator_traitsISN_E10value_typeEPNST_ISO_E10value_typeEPSP_NS1_7vsmem_tEENKUlT_SN_SO_SP_E_clIPjSG_PS9_SI_EESM_S12_SN_SO_SP_EUlS12_E0_NS1_11comp_targetILNS1_3genE2ELNS1_11target_archE906ELNS1_3gpuE6ELNS1_3repE0EEENS1_38merge_mergepath_config_static_selectorELNS0_4arch9wavefront6targetE1EEEvSO_,comdat
	.protected	_ZN7rocprim17ROCPRIM_400000_NS6detail17trampoline_kernelINS0_14default_configENS1_38merge_sort_block_merge_config_selectorIjN6thrust23THRUST_200600_302600_NS5tupleIffNS6_9null_typeES8_S8_S8_S8_S8_S8_S8_EEEEZZNS1_27merge_sort_block_merge_implIS3_NS6_6detail15normal_iteratorINS6_10device_ptrIjEEEENSD_INSE_IS9_EEEEjNS1_19radix_merge_compareILb0ELb0EjNS0_19identity_decomposerEEEEE10hipError_tT0_T1_T2_jT3_P12ihipStream_tbPNSt15iterator_traitsISN_E10value_typeEPNST_ISO_E10value_typeEPSP_NS1_7vsmem_tEENKUlT_SN_SO_SP_E_clIPjSG_PS9_SI_EESM_S12_SN_SO_SP_EUlS12_E0_NS1_11comp_targetILNS1_3genE2ELNS1_11target_archE906ELNS1_3gpuE6ELNS1_3repE0EEENS1_38merge_mergepath_config_static_selectorELNS0_4arch9wavefront6targetE1EEEvSO_ ; -- Begin function _ZN7rocprim17ROCPRIM_400000_NS6detail17trampoline_kernelINS0_14default_configENS1_38merge_sort_block_merge_config_selectorIjN6thrust23THRUST_200600_302600_NS5tupleIffNS6_9null_typeES8_S8_S8_S8_S8_S8_S8_EEEEZZNS1_27merge_sort_block_merge_implIS3_NS6_6detail15normal_iteratorINS6_10device_ptrIjEEEENSD_INSE_IS9_EEEEjNS1_19radix_merge_compareILb0ELb0EjNS0_19identity_decomposerEEEEE10hipError_tT0_T1_T2_jT3_P12ihipStream_tbPNSt15iterator_traitsISN_E10value_typeEPNST_ISO_E10value_typeEPSP_NS1_7vsmem_tEENKUlT_SN_SO_SP_E_clIPjSG_PS9_SI_EESM_S12_SN_SO_SP_EUlS12_E0_NS1_11comp_targetILNS1_3genE2ELNS1_11target_archE906ELNS1_3gpuE6ELNS1_3repE0EEENS1_38merge_mergepath_config_static_selectorELNS0_4arch9wavefront6targetE1EEEvSO_
	.globl	_ZN7rocprim17ROCPRIM_400000_NS6detail17trampoline_kernelINS0_14default_configENS1_38merge_sort_block_merge_config_selectorIjN6thrust23THRUST_200600_302600_NS5tupleIffNS6_9null_typeES8_S8_S8_S8_S8_S8_S8_EEEEZZNS1_27merge_sort_block_merge_implIS3_NS6_6detail15normal_iteratorINS6_10device_ptrIjEEEENSD_INSE_IS9_EEEEjNS1_19radix_merge_compareILb0ELb0EjNS0_19identity_decomposerEEEEE10hipError_tT0_T1_T2_jT3_P12ihipStream_tbPNSt15iterator_traitsISN_E10value_typeEPNST_ISO_E10value_typeEPSP_NS1_7vsmem_tEENKUlT_SN_SO_SP_E_clIPjSG_PS9_SI_EESM_S12_SN_SO_SP_EUlS12_E0_NS1_11comp_targetILNS1_3genE2ELNS1_11target_archE906ELNS1_3gpuE6ELNS1_3repE0EEENS1_38merge_mergepath_config_static_selectorELNS0_4arch9wavefront6targetE1EEEvSO_
	.p2align	8
	.type	_ZN7rocprim17ROCPRIM_400000_NS6detail17trampoline_kernelINS0_14default_configENS1_38merge_sort_block_merge_config_selectorIjN6thrust23THRUST_200600_302600_NS5tupleIffNS6_9null_typeES8_S8_S8_S8_S8_S8_S8_EEEEZZNS1_27merge_sort_block_merge_implIS3_NS6_6detail15normal_iteratorINS6_10device_ptrIjEEEENSD_INSE_IS9_EEEEjNS1_19radix_merge_compareILb0ELb0EjNS0_19identity_decomposerEEEEE10hipError_tT0_T1_T2_jT3_P12ihipStream_tbPNSt15iterator_traitsISN_E10value_typeEPNST_ISO_E10value_typeEPSP_NS1_7vsmem_tEENKUlT_SN_SO_SP_E_clIPjSG_PS9_SI_EESM_S12_SN_SO_SP_EUlS12_E0_NS1_11comp_targetILNS1_3genE2ELNS1_11target_archE906ELNS1_3gpuE6ELNS1_3repE0EEENS1_38merge_mergepath_config_static_selectorELNS0_4arch9wavefront6targetE1EEEvSO_,@function
_ZN7rocprim17ROCPRIM_400000_NS6detail17trampoline_kernelINS0_14default_configENS1_38merge_sort_block_merge_config_selectorIjN6thrust23THRUST_200600_302600_NS5tupleIffNS6_9null_typeES8_S8_S8_S8_S8_S8_S8_EEEEZZNS1_27merge_sort_block_merge_implIS3_NS6_6detail15normal_iteratorINS6_10device_ptrIjEEEENSD_INSE_IS9_EEEEjNS1_19radix_merge_compareILb0ELb0EjNS0_19identity_decomposerEEEEE10hipError_tT0_T1_T2_jT3_P12ihipStream_tbPNSt15iterator_traitsISN_E10value_typeEPNST_ISO_E10value_typeEPSP_NS1_7vsmem_tEENKUlT_SN_SO_SP_E_clIPjSG_PS9_SI_EESM_S12_SN_SO_SP_EUlS12_E0_NS1_11comp_targetILNS1_3genE2ELNS1_11target_archE906ELNS1_3gpuE6ELNS1_3repE0EEENS1_38merge_mergepath_config_static_selectorELNS0_4arch9wavefront6targetE1EEEvSO_: ; @_ZN7rocprim17ROCPRIM_400000_NS6detail17trampoline_kernelINS0_14default_configENS1_38merge_sort_block_merge_config_selectorIjN6thrust23THRUST_200600_302600_NS5tupleIffNS6_9null_typeES8_S8_S8_S8_S8_S8_S8_EEEEZZNS1_27merge_sort_block_merge_implIS3_NS6_6detail15normal_iteratorINS6_10device_ptrIjEEEENSD_INSE_IS9_EEEEjNS1_19radix_merge_compareILb0ELb0EjNS0_19identity_decomposerEEEEE10hipError_tT0_T1_T2_jT3_P12ihipStream_tbPNSt15iterator_traitsISN_E10value_typeEPNST_ISO_E10value_typeEPSP_NS1_7vsmem_tEENKUlT_SN_SO_SP_E_clIPjSG_PS9_SI_EESM_S12_SN_SO_SP_EUlS12_E0_NS1_11comp_targetILNS1_3genE2ELNS1_11target_archE906ELNS1_3gpuE6ELNS1_3repE0EEENS1_38merge_mergepath_config_static_selectorELNS0_4arch9wavefront6targetE1EEEvSO_
; %bb.0:
	.section	.rodata,"a",@progbits
	.p2align	6, 0x0
	.amdhsa_kernel _ZN7rocprim17ROCPRIM_400000_NS6detail17trampoline_kernelINS0_14default_configENS1_38merge_sort_block_merge_config_selectorIjN6thrust23THRUST_200600_302600_NS5tupleIffNS6_9null_typeES8_S8_S8_S8_S8_S8_S8_EEEEZZNS1_27merge_sort_block_merge_implIS3_NS6_6detail15normal_iteratorINS6_10device_ptrIjEEEENSD_INSE_IS9_EEEEjNS1_19radix_merge_compareILb0ELb0EjNS0_19identity_decomposerEEEEE10hipError_tT0_T1_T2_jT3_P12ihipStream_tbPNSt15iterator_traitsISN_E10value_typeEPNST_ISO_E10value_typeEPSP_NS1_7vsmem_tEENKUlT_SN_SO_SP_E_clIPjSG_PS9_SI_EESM_S12_SN_SO_SP_EUlS12_E0_NS1_11comp_targetILNS1_3genE2ELNS1_11target_archE906ELNS1_3gpuE6ELNS1_3repE0EEENS1_38merge_mergepath_config_static_selectorELNS0_4arch9wavefront6targetE1EEEvSO_
		.amdhsa_group_segment_fixed_size 0
		.amdhsa_private_segment_fixed_size 0
		.amdhsa_kernarg_size 64
		.amdhsa_user_sgpr_count 6
		.amdhsa_user_sgpr_private_segment_buffer 1
		.amdhsa_user_sgpr_dispatch_ptr 0
		.amdhsa_user_sgpr_queue_ptr 0
		.amdhsa_user_sgpr_kernarg_segment_ptr 1
		.amdhsa_user_sgpr_dispatch_id 0
		.amdhsa_user_sgpr_flat_scratch_init 0
		.amdhsa_user_sgpr_kernarg_preload_length 0
		.amdhsa_user_sgpr_kernarg_preload_offset 0
		.amdhsa_user_sgpr_private_segment_size 0
		.amdhsa_uses_dynamic_stack 0
		.amdhsa_system_sgpr_private_segment_wavefront_offset 0
		.amdhsa_system_sgpr_workgroup_id_x 1
		.amdhsa_system_sgpr_workgroup_id_y 0
		.amdhsa_system_sgpr_workgroup_id_z 0
		.amdhsa_system_sgpr_workgroup_info 0
		.amdhsa_system_vgpr_workitem_id 0
		.amdhsa_next_free_vgpr 1
		.amdhsa_next_free_sgpr 0
		.amdhsa_accum_offset 4
		.amdhsa_reserve_vcc 0
		.amdhsa_reserve_flat_scratch 0
		.amdhsa_float_round_mode_32 0
		.amdhsa_float_round_mode_16_64 0
		.amdhsa_float_denorm_mode_32 3
		.amdhsa_float_denorm_mode_16_64 3
		.amdhsa_dx10_clamp 1
		.amdhsa_ieee_mode 1
		.amdhsa_fp16_overflow 0
		.amdhsa_tg_split 0
		.amdhsa_exception_fp_ieee_invalid_op 0
		.amdhsa_exception_fp_denorm_src 0
		.amdhsa_exception_fp_ieee_div_zero 0
		.amdhsa_exception_fp_ieee_overflow 0
		.amdhsa_exception_fp_ieee_underflow 0
		.amdhsa_exception_fp_ieee_inexact 0
		.amdhsa_exception_int_div_zero 0
	.end_amdhsa_kernel
	.section	.text._ZN7rocprim17ROCPRIM_400000_NS6detail17trampoline_kernelINS0_14default_configENS1_38merge_sort_block_merge_config_selectorIjN6thrust23THRUST_200600_302600_NS5tupleIffNS6_9null_typeES8_S8_S8_S8_S8_S8_S8_EEEEZZNS1_27merge_sort_block_merge_implIS3_NS6_6detail15normal_iteratorINS6_10device_ptrIjEEEENSD_INSE_IS9_EEEEjNS1_19radix_merge_compareILb0ELb0EjNS0_19identity_decomposerEEEEE10hipError_tT0_T1_T2_jT3_P12ihipStream_tbPNSt15iterator_traitsISN_E10value_typeEPNST_ISO_E10value_typeEPSP_NS1_7vsmem_tEENKUlT_SN_SO_SP_E_clIPjSG_PS9_SI_EESM_S12_SN_SO_SP_EUlS12_E0_NS1_11comp_targetILNS1_3genE2ELNS1_11target_archE906ELNS1_3gpuE6ELNS1_3repE0EEENS1_38merge_mergepath_config_static_selectorELNS0_4arch9wavefront6targetE1EEEvSO_,"axG",@progbits,_ZN7rocprim17ROCPRIM_400000_NS6detail17trampoline_kernelINS0_14default_configENS1_38merge_sort_block_merge_config_selectorIjN6thrust23THRUST_200600_302600_NS5tupleIffNS6_9null_typeES8_S8_S8_S8_S8_S8_S8_EEEEZZNS1_27merge_sort_block_merge_implIS3_NS6_6detail15normal_iteratorINS6_10device_ptrIjEEEENSD_INSE_IS9_EEEEjNS1_19radix_merge_compareILb0ELb0EjNS0_19identity_decomposerEEEEE10hipError_tT0_T1_T2_jT3_P12ihipStream_tbPNSt15iterator_traitsISN_E10value_typeEPNST_ISO_E10value_typeEPSP_NS1_7vsmem_tEENKUlT_SN_SO_SP_E_clIPjSG_PS9_SI_EESM_S12_SN_SO_SP_EUlS12_E0_NS1_11comp_targetILNS1_3genE2ELNS1_11target_archE906ELNS1_3gpuE6ELNS1_3repE0EEENS1_38merge_mergepath_config_static_selectorELNS0_4arch9wavefront6targetE1EEEvSO_,comdat
.Lfunc_end38:
	.size	_ZN7rocprim17ROCPRIM_400000_NS6detail17trampoline_kernelINS0_14default_configENS1_38merge_sort_block_merge_config_selectorIjN6thrust23THRUST_200600_302600_NS5tupleIffNS6_9null_typeES8_S8_S8_S8_S8_S8_S8_EEEEZZNS1_27merge_sort_block_merge_implIS3_NS6_6detail15normal_iteratorINS6_10device_ptrIjEEEENSD_INSE_IS9_EEEEjNS1_19radix_merge_compareILb0ELb0EjNS0_19identity_decomposerEEEEE10hipError_tT0_T1_T2_jT3_P12ihipStream_tbPNSt15iterator_traitsISN_E10value_typeEPNST_ISO_E10value_typeEPSP_NS1_7vsmem_tEENKUlT_SN_SO_SP_E_clIPjSG_PS9_SI_EESM_S12_SN_SO_SP_EUlS12_E0_NS1_11comp_targetILNS1_3genE2ELNS1_11target_archE906ELNS1_3gpuE6ELNS1_3repE0EEENS1_38merge_mergepath_config_static_selectorELNS0_4arch9wavefront6targetE1EEEvSO_, .Lfunc_end38-_ZN7rocprim17ROCPRIM_400000_NS6detail17trampoline_kernelINS0_14default_configENS1_38merge_sort_block_merge_config_selectorIjN6thrust23THRUST_200600_302600_NS5tupleIffNS6_9null_typeES8_S8_S8_S8_S8_S8_S8_EEEEZZNS1_27merge_sort_block_merge_implIS3_NS6_6detail15normal_iteratorINS6_10device_ptrIjEEEENSD_INSE_IS9_EEEEjNS1_19radix_merge_compareILb0ELb0EjNS0_19identity_decomposerEEEEE10hipError_tT0_T1_T2_jT3_P12ihipStream_tbPNSt15iterator_traitsISN_E10value_typeEPNST_ISO_E10value_typeEPSP_NS1_7vsmem_tEENKUlT_SN_SO_SP_E_clIPjSG_PS9_SI_EESM_S12_SN_SO_SP_EUlS12_E0_NS1_11comp_targetILNS1_3genE2ELNS1_11target_archE906ELNS1_3gpuE6ELNS1_3repE0EEENS1_38merge_mergepath_config_static_selectorELNS0_4arch9wavefront6targetE1EEEvSO_
                                        ; -- End function
	.section	.AMDGPU.csdata,"",@progbits
; Kernel info:
; codeLenInByte = 0
; NumSgprs: 4
; NumVgprs: 0
; NumAgprs: 0
; TotalNumVgprs: 0
; ScratchSize: 0
; MemoryBound: 0
; FloatMode: 240
; IeeeMode: 1
; LDSByteSize: 0 bytes/workgroup (compile time only)
; SGPRBlocks: 0
; VGPRBlocks: 0
; NumSGPRsForWavesPerEU: 4
; NumVGPRsForWavesPerEU: 1
; AccumOffset: 4
; Occupancy: 8
; WaveLimiterHint : 0
; COMPUTE_PGM_RSRC2:SCRATCH_EN: 0
; COMPUTE_PGM_RSRC2:USER_SGPR: 6
; COMPUTE_PGM_RSRC2:TRAP_HANDLER: 0
; COMPUTE_PGM_RSRC2:TGID_X_EN: 1
; COMPUTE_PGM_RSRC2:TGID_Y_EN: 0
; COMPUTE_PGM_RSRC2:TGID_Z_EN: 0
; COMPUTE_PGM_RSRC2:TIDIG_COMP_CNT: 0
; COMPUTE_PGM_RSRC3_GFX90A:ACCUM_OFFSET: 0
; COMPUTE_PGM_RSRC3_GFX90A:TG_SPLIT: 0
	.section	.text._ZN7rocprim17ROCPRIM_400000_NS6detail17trampoline_kernelINS0_14default_configENS1_38merge_sort_block_merge_config_selectorIjN6thrust23THRUST_200600_302600_NS5tupleIffNS6_9null_typeES8_S8_S8_S8_S8_S8_S8_EEEEZZNS1_27merge_sort_block_merge_implIS3_NS6_6detail15normal_iteratorINS6_10device_ptrIjEEEENSD_INSE_IS9_EEEEjNS1_19radix_merge_compareILb0ELb0EjNS0_19identity_decomposerEEEEE10hipError_tT0_T1_T2_jT3_P12ihipStream_tbPNSt15iterator_traitsISN_E10value_typeEPNST_ISO_E10value_typeEPSP_NS1_7vsmem_tEENKUlT_SN_SO_SP_E_clIPjSG_PS9_SI_EESM_S12_SN_SO_SP_EUlS12_E0_NS1_11comp_targetILNS1_3genE9ELNS1_11target_archE1100ELNS1_3gpuE3ELNS1_3repE0EEENS1_38merge_mergepath_config_static_selectorELNS0_4arch9wavefront6targetE1EEEvSO_,"axG",@progbits,_ZN7rocprim17ROCPRIM_400000_NS6detail17trampoline_kernelINS0_14default_configENS1_38merge_sort_block_merge_config_selectorIjN6thrust23THRUST_200600_302600_NS5tupleIffNS6_9null_typeES8_S8_S8_S8_S8_S8_S8_EEEEZZNS1_27merge_sort_block_merge_implIS3_NS6_6detail15normal_iteratorINS6_10device_ptrIjEEEENSD_INSE_IS9_EEEEjNS1_19radix_merge_compareILb0ELb0EjNS0_19identity_decomposerEEEEE10hipError_tT0_T1_T2_jT3_P12ihipStream_tbPNSt15iterator_traitsISN_E10value_typeEPNST_ISO_E10value_typeEPSP_NS1_7vsmem_tEENKUlT_SN_SO_SP_E_clIPjSG_PS9_SI_EESM_S12_SN_SO_SP_EUlS12_E0_NS1_11comp_targetILNS1_3genE9ELNS1_11target_archE1100ELNS1_3gpuE3ELNS1_3repE0EEENS1_38merge_mergepath_config_static_selectorELNS0_4arch9wavefront6targetE1EEEvSO_,comdat
	.protected	_ZN7rocprim17ROCPRIM_400000_NS6detail17trampoline_kernelINS0_14default_configENS1_38merge_sort_block_merge_config_selectorIjN6thrust23THRUST_200600_302600_NS5tupleIffNS6_9null_typeES8_S8_S8_S8_S8_S8_S8_EEEEZZNS1_27merge_sort_block_merge_implIS3_NS6_6detail15normal_iteratorINS6_10device_ptrIjEEEENSD_INSE_IS9_EEEEjNS1_19radix_merge_compareILb0ELb0EjNS0_19identity_decomposerEEEEE10hipError_tT0_T1_T2_jT3_P12ihipStream_tbPNSt15iterator_traitsISN_E10value_typeEPNST_ISO_E10value_typeEPSP_NS1_7vsmem_tEENKUlT_SN_SO_SP_E_clIPjSG_PS9_SI_EESM_S12_SN_SO_SP_EUlS12_E0_NS1_11comp_targetILNS1_3genE9ELNS1_11target_archE1100ELNS1_3gpuE3ELNS1_3repE0EEENS1_38merge_mergepath_config_static_selectorELNS0_4arch9wavefront6targetE1EEEvSO_ ; -- Begin function _ZN7rocprim17ROCPRIM_400000_NS6detail17trampoline_kernelINS0_14default_configENS1_38merge_sort_block_merge_config_selectorIjN6thrust23THRUST_200600_302600_NS5tupleIffNS6_9null_typeES8_S8_S8_S8_S8_S8_S8_EEEEZZNS1_27merge_sort_block_merge_implIS3_NS6_6detail15normal_iteratorINS6_10device_ptrIjEEEENSD_INSE_IS9_EEEEjNS1_19radix_merge_compareILb0ELb0EjNS0_19identity_decomposerEEEEE10hipError_tT0_T1_T2_jT3_P12ihipStream_tbPNSt15iterator_traitsISN_E10value_typeEPNST_ISO_E10value_typeEPSP_NS1_7vsmem_tEENKUlT_SN_SO_SP_E_clIPjSG_PS9_SI_EESM_S12_SN_SO_SP_EUlS12_E0_NS1_11comp_targetILNS1_3genE9ELNS1_11target_archE1100ELNS1_3gpuE3ELNS1_3repE0EEENS1_38merge_mergepath_config_static_selectorELNS0_4arch9wavefront6targetE1EEEvSO_
	.globl	_ZN7rocprim17ROCPRIM_400000_NS6detail17trampoline_kernelINS0_14default_configENS1_38merge_sort_block_merge_config_selectorIjN6thrust23THRUST_200600_302600_NS5tupleIffNS6_9null_typeES8_S8_S8_S8_S8_S8_S8_EEEEZZNS1_27merge_sort_block_merge_implIS3_NS6_6detail15normal_iteratorINS6_10device_ptrIjEEEENSD_INSE_IS9_EEEEjNS1_19radix_merge_compareILb0ELb0EjNS0_19identity_decomposerEEEEE10hipError_tT0_T1_T2_jT3_P12ihipStream_tbPNSt15iterator_traitsISN_E10value_typeEPNST_ISO_E10value_typeEPSP_NS1_7vsmem_tEENKUlT_SN_SO_SP_E_clIPjSG_PS9_SI_EESM_S12_SN_SO_SP_EUlS12_E0_NS1_11comp_targetILNS1_3genE9ELNS1_11target_archE1100ELNS1_3gpuE3ELNS1_3repE0EEENS1_38merge_mergepath_config_static_selectorELNS0_4arch9wavefront6targetE1EEEvSO_
	.p2align	8
	.type	_ZN7rocprim17ROCPRIM_400000_NS6detail17trampoline_kernelINS0_14default_configENS1_38merge_sort_block_merge_config_selectorIjN6thrust23THRUST_200600_302600_NS5tupleIffNS6_9null_typeES8_S8_S8_S8_S8_S8_S8_EEEEZZNS1_27merge_sort_block_merge_implIS3_NS6_6detail15normal_iteratorINS6_10device_ptrIjEEEENSD_INSE_IS9_EEEEjNS1_19radix_merge_compareILb0ELb0EjNS0_19identity_decomposerEEEEE10hipError_tT0_T1_T2_jT3_P12ihipStream_tbPNSt15iterator_traitsISN_E10value_typeEPNST_ISO_E10value_typeEPSP_NS1_7vsmem_tEENKUlT_SN_SO_SP_E_clIPjSG_PS9_SI_EESM_S12_SN_SO_SP_EUlS12_E0_NS1_11comp_targetILNS1_3genE9ELNS1_11target_archE1100ELNS1_3gpuE3ELNS1_3repE0EEENS1_38merge_mergepath_config_static_selectorELNS0_4arch9wavefront6targetE1EEEvSO_,@function
_ZN7rocprim17ROCPRIM_400000_NS6detail17trampoline_kernelINS0_14default_configENS1_38merge_sort_block_merge_config_selectorIjN6thrust23THRUST_200600_302600_NS5tupleIffNS6_9null_typeES8_S8_S8_S8_S8_S8_S8_EEEEZZNS1_27merge_sort_block_merge_implIS3_NS6_6detail15normal_iteratorINS6_10device_ptrIjEEEENSD_INSE_IS9_EEEEjNS1_19radix_merge_compareILb0ELb0EjNS0_19identity_decomposerEEEEE10hipError_tT0_T1_T2_jT3_P12ihipStream_tbPNSt15iterator_traitsISN_E10value_typeEPNST_ISO_E10value_typeEPSP_NS1_7vsmem_tEENKUlT_SN_SO_SP_E_clIPjSG_PS9_SI_EESM_S12_SN_SO_SP_EUlS12_E0_NS1_11comp_targetILNS1_3genE9ELNS1_11target_archE1100ELNS1_3gpuE3ELNS1_3repE0EEENS1_38merge_mergepath_config_static_selectorELNS0_4arch9wavefront6targetE1EEEvSO_: ; @_ZN7rocprim17ROCPRIM_400000_NS6detail17trampoline_kernelINS0_14default_configENS1_38merge_sort_block_merge_config_selectorIjN6thrust23THRUST_200600_302600_NS5tupleIffNS6_9null_typeES8_S8_S8_S8_S8_S8_S8_EEEEZZNS1_27merge_sort_block_merge_implIS3_NS6_6detail15normal_iteratorINS6_10device_ptrIjEEEENSD_INSE_IS9_EEEEjNS1_19radix_merge_compareILb0ELb0EjNS0_19identity_decomposerEEEEE10hipError_tT0_T1_T2_jT3_P12ihipStream_tbPNSt15iterator_traitsISN_E10value_typeEPNST_ISO_E10value_typeEPSP_NS1_7vsmem_tEENKUlT_SN_SO_SP_E_clIPjSG_PS9_SI_EESM_S12_SN_SO_SP_EUlS12_E0_NS1_11comp_targetILNS1_3genE9ELNS1_11target_archE1100ELNS1_3gpuE3ELNS1_3repE0EEENS1_38merge_mergepath_config_static_selectorELNS0_4arch9wavefront6targetE1EEEvSO_
; %bb.0:
	.section	.rodata,"a",@progbits
	.p2align	6, 0x0
	.amdhsa_kernel _ZN7rocprim17ROCPRIM_400000_NS6detail17trampoline_kernelINS0_14default_configENS1_38merge_sort_block_merge_config_selectorIjN6thrust23THRUST_200600_302600_NS5tupleIffNS6_9null_typeES8_S8_S8_S8_S8_S8_S8_EEEEZZNS1_27merge_sort_block_merge_implIS3_NS6_6detail15normal_iteratorINS6_10device_ptrIjEEEENSD_INSE_IS9_EEEEjNS1_19radix_merge_compareILb0ELb0EjNS0_19identity_decomposerEEEEE10hipError_tT0_T1_T2_jT3_P12ihipStream_tbPNSt15iterator_traitsISN_E10value_typeEPNST_ISO_E10value_typeEPSP_NS1_7vsmem_tEENKUlT_SN_SO_SP_E_clIPjSG_PS9_SI_EESM_S12_SN_SO_SP_EUlS12_E0_NS1_11comp_targetILNS1_3genE9ELNS1_11target_archE1100ELNS1_3gpuE3ELNS1_3repE0EEENS1_38merge_mergepath_config_static_selectorELNS0_4arch9wavefront6targetE1EEEvSO_
		.amdhsa_group_segment_fixed_size 0
		.amdhsa_private_segment_fixed_size 0
		.amdhsa_kernarg_size 64
		.amdhsa_user_sgpr_count 6
		.amdhsa_user_sgpr_private_segment_buffer 1
		.amdhsa_user_sgpr_dispatch_ptr 0
		.amdhsa_user_sgpr_queue_ptr 0
		.amdhsa_user_sgpr_kernarg_segment_ptr 1
		.amdhsa_user_sgpr_dispatch_id 0
		.amdhsa_user_sgpr_flat_scratch_init 0
		.amdhsa_user_sgpr_kernarg_preload_length 0
		.amdhsa_user_sgpr_kernarg_preload_offset 0
		.amdhsa_user_sgpr_private_segment_size 0
		.amdhsa_uses_dynamic_stack 0
		.amdhsa_system_sgpr_private_segment_wavefront_offset 0
		.amdhsa_system_sgpr_workgroup_id_x 1
		.amdhsa_system_sgpr_workgroup_id_y 0
		.amdhsa_system_sgpr_workgroup_id_z 0
		.amdhsa_system_sgpr_workgroup_info 0
		.amdhsa_system_vgpr_workitem_id 0
		.amdhsa_next_free_vgpr 1
		.amdhsa_next_free_sgpr 0
		.amdhsa_accum_offset 4
		.amdhsa_reserve_vcc 0
		.amdhsa_reserve_flat_scratch 0
		.amdhsa_float_round_mode_32 0
		.amdhsa_float_round_mode_16_64 0
		.amdhsa_float_denorm_mode_32 3
		.amdhsa_float_denorm_mode_16_64 3
		.amdhsa_dx10_clamp 1
		.amdhsa_ieee_mode 1
		.amdhsa_fp16_overflow 0
		.amdhsa_tg_split 0
		.amdhsa_exception_fp_ieee_invalid_op 0
		.amdhsa_exception_fp_denorm_src 0
		.amdhsa_exception_fp_ieee_div_zero 0
		.amdhsa_exception_fp_ieee_overflow 0
		.amdhsa_exception_fp_ieee_underflow 0
		.amdhsa_exception_fp_ieee_inexact 0
		.amdhsa_exception_int_div_zero 0
	.end_amdhsa_kernel
	.section	.text._ZN7rocprim17ROCPRIM_400000_NS6detail17trampoline_kernelINS0_14default_configENS1_38merge_sort_block_merge_config_selectorIjN6thrust23THRUST_200600_302600_NS5tupleIffNS6_9null_typeES8_S8_S8_S8_S8_S8_S8_EEEEZZNS1_27merge_sort_block_merge_implIS3_NS6_6detail15normal_iteratorINS6_10device_ptrIjEEEENSD_INSE_IS9_EEEEjNS1_19radix_merge_compareILb0ELb0EjNS0_19identity_decomposerEEEEE10hipError_tT0_T1_T2_jT3_P12ihipStream_tbPNSt15iterator_traitsISN_E10value_typeEPNST_ISO_E10value_typeEPSP_NS1_7vsmem_tEENKUlT_SN_SO_SP_E_clIPjSG_PS9_SI_EESM_S12_SN_SO_SP_EUlS12_E0_NS1_11comp_targetILNS1_3genE9ELNS1_11target_archE1100ELNS1_3gpuE3ELNS1_3repE0EEENS1_38merge_mergepath_config_static_selectorELNS0_4arch9wavefront6targetE1EEEvSO_,"axG",@progbits,_ZN7rocprim17ROCPRIM_400000_NS6detail17trampoline_kernelINS0_14default_configENS1_38merge_sort_block_merge_config_selectorIjN6thrust23THRUST_200600_302600_NS5tupleIffNS6_9null_typeES8_S8_S8_S8_S8_S8_S8_EEEEZZNS1_27merge_sort_block_merge_implIS3_NS6_6detail15normal_iteratorINS6_10device_ptrIjEEEENSD_INSE_IS9_EEEEjNS1_19radix_merge_compareILb0ELb0EjNS0_19identity_decomposerEEEEE10hipError_tT0_T1_T2_jT3_P12ihipStream_tbPNSt15iterator_traitsISN_E10value_typeEPNST_ISO_E10value_typeEPSP_NS1_7vsmem_tEENKUlT_SN_SO_SP_E_clIPjSG_PS9_SI_EESM_S12_SN_SO_SP_EUlS12_E0_NS1_11comp_targetILNS1_3genE9ELNS1_11target_archE1100ELNS1_3gpuE3ELNS1_3repE0EEENS1_38merge_mergepath_config_static_selectorELNS0_4arch9wavefront6targetE1EEEvSO_,comdat
.Lfunc_end39:
	.size	_ZN7rocprim17ROCPRIM_400000_NS6detail17trampoline_kernelINS0_14default_configENS1_38merge_sort_block_merge_config_selectorIjN6thrust23THRUST_200600_302600_NS5tupleIffNS6_9null_typeES8_S8_S8_S8_S8_S8_S8_EEEEZZNS1_27merge_sort_block_merge_implIS3_NS6_6detail15normal_iteratorINS6_10device_ptrIjEEEENSD_INSE_IS9_EEEEjNS1_19radix_merge_compareILb0ELb0EjNS0_19identity_decomposerEEEEE10hipError_tT0_T1_T2_jT3_P12ihipStream_tbPNSt15iterator_traitsISN_E10value_typeEPNST_ISO_E10value_typeEPSP_NS1_7vsmem_tEENKUlT_SN_SO_SP_E_clIPjSG_PS9_SI_EESM_S12_SN_SO_SP_EUlS12_E0_NS1_11comp_targetILNS1_3genE9ELNS1_11target_archE1100ELNS1_3gpuE3ELNS1_3repE0EEENS1_38merge_mergepath_config_static_selectorELNS0_4arch9wavefront6targetE1EEEvSO_, .Lfunc_end39-_ZN7rocprim17ROCPRIM_400000_NS6detail17trampoline_kernelINS0_14default_configENS1_38merge_sort_block_merge_config_selectorIjN6thrust23THRUST_200600_302600_NS5tupleIffNS6_9null_typeES8_S8_S8_S8_S8_S8_S8_EEEEZZNS1_27merge_sort_block_merge_implIS3_NS6_6detail15normal_iteratorINS6_10device_ptrIjEEEENSD_INSE_IS9_EEEEjNS1_19radix_merge_compareILb0ELb0EjNS0_19identity_decomposerEEEEE10hipError_tT0_T1_T2_jT3_P12ihipStream_tbPNSt15iterator_traitsISN_E10value_typeEPNST_ISO_E10value_typeEPSP_NS1_7vsmem_tEENKUlT_SN_SO_SP_E_clIPjSG_PS9_SI_EESM_S12_SN_SO_SP_EUlS12_E0_NS1_11comp_targetILNS1_3genE9ELNS1_11target_archE1100ELNS1_3gpuE3ELNS1_3repE0EEENS1_38merge_mergepath_config_static_selectorELNS0_4arch9wavefront6targetE1EEEvSO_
                                        ; -- End function
	.section	.AMDGPU.csdata,"",@progbits
; Kernel info:
; codeLenInByte = 0
; NumSgprs: 4
; NumVgprs: 0
; NumAgprs: 0
; TotalNumVgprs: 0
; ScratchSize: 0
; MemoryBound: 0
; FloatMode: 240
; IeeeMode: 1
; LDSByteSize: 0 bytes/workgroup (compile time only)
; SGPRBlocks: 0
; VGPRBlocks: 0
; NumSGPRsForWavesPerEU: 4
; NumVGPRsForWavesPerEU: 1
; AccumOffset: 4
; Occupancy: 8
; WaveLimiterHint : 0
; COMPUTE_PGM_RSRC2:SCRATCH_EN: 0
; COMPUTE_PGM_RSRC2:USER_SGPR: 6
; COMPUTE_PGM_RSRC2:TRAP_HANDLER: 0
; COMPUTE_PGM_RSRC2:TGID_X_EN: 1
; COMPUTE_PGM_RSRC2:TGID_Y_EN: 0
; COMPUTE_PGM_RSRC2:TGID_Z_EN: 0
; COMPUTE_PGM_RSRC2:TIDIG_COMP_CNT: 0
; COMPUTE_PGM_RSRC3_GFX90A:ACCUM_OFFSET: 0
; COMPUTE_PGM_RSRC3_GFX90A:TG_SPLIT: 0
	.section	.text._ZN7rocprim17ROCPRIM_400000_NS6detail17trampoline_kernelINS0_14default_configENS1_38merge_sort_block_merge_config_selectorIjN6thrust23THRUST_200600_302600_NS5tupleIffNS6_9null_typeES8_S8_S8_S8_S8_S8_S8_EEEEZZNS1_27merge_sort_block_merge_implIS3_NS6_6detail15normal_iteratorINS6_10device_ptrIjEEEENSD_INSE_IS9_EEEEjNS1_19radix_merge_compareILb0ELb0EjNS0_19identity_decomposerEEEEE10hipError_tT0_T1_T2_jT3_P12ihipStream_tbPNSt15iterator_traitsISN_E10value_typeEPNST_ISO_E10value_typeEPSP_NS1_7vsmem_tEENKUlT_SN_SO_SP_E_clIPjSG_PS9_SI_EESM_S12_SN_SO_SP_EUlS12_E0_NS1_11comp_targetILNS1_3genE8ELNS1_11target_archE1030ELNS1_3gpuE2ELNS1_3repE0EEENS1_38merge_mergepath_config_static_selectorELNS0_4arch9wavefront6targetE1EEEvSO_,"axG",@progbits,_ZN7rocprim17ROCPRIM_400000_NS6detail17trampoline_kernelINS0_14default_configENS1_38merge_sort_block_merge_config_selectorIjN6thrust23THRUST_200600_302600_NS5tupleIffNS6_9null_typeES8_S8_S8_S8_S8_S8_S8_EEEEZZNS1_27merge_sort_block_merge_implIS3_NS6_6detail15normal_iteratorINS6_10device_ptrIjEEEENSD_INSE_IS9_EEEEjNS1_19radix_merge_compareILb0ELb0EjNS0_19identity_decomposerEEEEE10hipError_tT0_T1_T2_jT3_P12ihipStream_tbPNSt15iterator_traitsISN_E10value_typeEPNST_ISO_E10value_typeEPSP_NS1_7vsmem_tEENKUlT_SN_SO_SP_E_clIPjSG_PS9_SI_EESM_S12_SN_SO_SP_EUlS12_E0_NS1_11comp_targetILNS1_3genE8ELNS1_11target_archE1030ELNS1_3gpuE2ELNS1_3repE0EEENS1_38merge_mergepath_config_static_selectorELNS0_4arch9wavefront6targetE1EEEvSO_,comdat
	.protected	_ZN7rocprim17ROCPRIM_400000_NS6detail17trampoline_kernelINS0_14default_configENS1_38merge_sort_block_merge_config_selectorIjN6thrust23THRUST_200600_302600_NS5tupleIffNS6_9null_typeES8_S8_S8_S8_S8_S8_S8_EEEEZZNS1_27merge_sort_block_merge_implIS3_NS6_6detail15normal_iteratorINS6_10device_ptrIjEEEENSD_INSE_IS9_EEEEjNS1_19radix_merge_compareILb0ELb0EjNS0_19identity_decomposerEEEEE10hipError_tT0_T1_T2_jT3_P12ihipStream_tbPNSt15iterator_traitsISN_E10value_typeEPNST_ISO_E10value_typeEPSP_NS1_7vsmem_tEENKUlT_SN_SO_SP_E_clIPjSG_PS9_SI_EESM_S12_SN_SO_SP_EUlS12_E0_NS1_11comp_targetILNS1_3genE8ELNS1_11target_archE1030ELNS1_3gpuE2ELNS1_3repE0EEENS1_38merge_mergepath_config_static_selectorELNS0_4arch9wavefront6targetE1EEEvSO_ ; -- Begin function _ZN7rocprim17ROCPRIM_400000_NS6detail17trampoline_kernelINS0_14default_configENS1_38merge_sort_block_merge_config_selectorIjN6thrust23THRUST_200600_302600_NS5tupleIffNS6_9null_typeES8_S8_S8_S8_S8_S8_S8_EEEEZZNS1_27merge_sort_block_merge_implIS3_NS6_6detail15normal_iteratorINS6_10device_ptrIjEEEENSD_INSE_IS9_EEEEjNS1_19radix_merge_compareILb0ELb0EjNS0_19identity_decomposerEEEEE10hipError_tT0_T1_T2_jT3_P12ihipStream_tbPNSt15iterator_traitsISN_E10value_typeEPNST_ISO_E10value_typeEPSP_NS1_7vsmem_tEENKUlT_SN_SO_SP_E_clIPjSG_PS9_SI_EESM_S12_SN_SO_SP_EUlS12_E0_NS1_11comp_targetILNS1_3genE8ELNS1_11target_archE1030ELNS1_3gpuE2ELNS1_3repE0EEENS1_38merge_mergepath_config_static_selectorELNS0_4arch9wavefront6targetE1EEEvSO_
	.globl	_ZN7rocprim17ROCPRIM_400000_NS6detail17trampoline_kernelINS0_14default_configENS1_38merge_sort_block_merge_config_selectorIjN6thrust23THRUST_200600_302600_NS5tupleIffNS6_9null_typeES8_S8_S8_S8_S8_S8_S8_EEEEZZNS1_27merge_sort_block_merge_implIS3_NS6_6detail15normal_iteratorINS6_10device_ptrIjEEEENSD_INSE_IS9_EEEEjNS1_19radix_merge_compareILb0ELb0EjNS0_19identity_decomposerEEEEE10hipError_tT0_T1_T2_jT3_P12ihipStream_tbPNSt15iterator_traitsISN_E10value_typeEPNST_ISO_E10value_typeEPSP_NS1_7vsmem_tEENKUlT_SN_SO_SP_E_clIPjSG_PS9_SI_EESM_S12_SN_SO_SP_EUlS12_E0_NS1_11comp_targetILNS1_3genE8ELNS1_11target_archE1030ELNS1_3gpuE2ELNS1_3repE0EEENS1_38merge_mergepath_config_static_selectorELNS0_4arch9wavefront6targetE1EEEvSO_
	.p2align	8
	.type	_ZN7rocprim17ROCPRIM_400000_NS6detail17trampoline_kernelINS0_14default_configENS1_38merge_sort_block_merge_config_selectorIjN6thrust23THRUST_200600_302600_NS5tupleIffNS6_9null_typeES8_S8_S8_S8_S8_S8_S8_EEEEZZNS1_27merge_sort_block_merge_implIS3_NS6_6detail15normal_iteratorINS6_10device_ptrIjEEEENSD_INSE_IS9_EEEEjNS1_19radix_merge_compareILb0ELb0EjNS0_19identity_decomposerEEEEE10hipError_tT0_T1_T2_jT3_P12ihipStream_tbPNSt15iterator_traitsISN_E10value_typeEPNST_ISO_E10value_typeEPSP_NS1_7vsmem_tEENKUlT_SN_SO_SP_E_clIPjSG_PS9_SI_EESM_S12_SN_SO_SP_EUlS12_E0_NS1_11comp_targetILNS1_3genE8ELNS1_11target_archE1030ELNS1_3gpuE2ELNS1_3repE0EEENS1_38merge_mergepath_config_static_selectorELNS0_4arch9wavefront6targetE1EEEvSO_,@function
_ZN7rocprim17ROCPRIM_400000_NS6detail17trampoline_kernelINS0_14default_configENS1_38merge_sort_block_merge_config_selectorIjN6thrust23THRUST_200600_302600_NS5tupleIffNS6_9null_typeES8_S8_S8_S8_S8_S8_S8_EEEEZZNS1_27merge_sort_block_merge_implIS3_NS6_6detail15normal_iteratorINS6_10device_ptrIjEEEENSD_INSE_IS9_EEEEjNS1_19radix_merge_compareILb0ELb0EjNS0_19identity_decomposerEEEEE10hipError_tT0_T1_T2_jT3_P12ihipStream_tbPNSt15iterator_traitsISN_E10value_typeEPNST_ISO_E10value_typeEPSP_NS1_7vsmem_tEENKUlT_SN_SO_SP_E_clIPjSG_PS9_SI_EESM_S12_SN_SO_SP_EUlS12_E0_NS1_11comp_targetILNS1_3genE8ELNS1_11target_archE1030ELNS1_3gpuE2ELNS1_3repE0EEENS1_38merge_mergepath_config_static_selectorELNS0_4arch9wavefront6targetE1EEEvSO_: ; @_ZN7rocprim17ROCPRIM_400000_NS6detail17trampoline_kernelINS0_14default_configENS1_38merge_sort_block_merge_config_selectorIjN6thrust23THRUST_200600_302600_NS5tupleIffNS6_9null_typeES8_S8_S8_S8_S8_S8_S8_EEEEZZNS1_27merge_sort_block_merge_implIS3_NS6_6detail15normal_iteratorINS6_10device_ptrIjEEEENSD_INSE_IS9_EEEEjNS1_19radix_merge_compareILb0ELb0EjNS0_19identity_decomposerEEEEE10hipError_tT0_T1_T2_jT3_P12ihipStream_tbPNSt15iterator_traitsISN_E10value_typeEPNST_ISO_E10value_typeEPSP_NS1_7vsmem_tEENKUlT_SN_SO_SP_E_clIPjSG_PS9_SI_EESM_S12_SN_SO_SP_EUlS12_E0_NS1_11comp_targetILNS1_3genE8ELNS1_11target_archE1030ELNS1_3gpuE2ELNS1_3repE0EEENS1_38merge_mergepath_config_static_selectorELNS0_4arch9wavefront6targetE1EEEvSO_
; %bb.0:
	.section	.rodata,"a",@progbits
	.p2align	6, 0x0
	.amdhsa_kernel _ZN7rocprim17ROCPRIM_400000_NS6detail17trampoline_kernelINS0_14default_configENS1_38merge_sort_block_merge_config_selectorIjN6thrust23THRUST_200600_302600_NS5tupleIffNS6_9null_typeES8_S8_S8_S8_S8_S8_S8_EEEEZZNS1_27merge_sort_block_merge_implIS3_NS6_6detail15normal_iteratorINS6_10device_ptrIjEEEENSD_INSE_IS9_EEEEjNS1_19radix_merge_compareILb0ELb0EjNS0_19identity_decomposerEEEEE10hipError_tT0_T1_T2_jT3_P12ihipStream_tbPNSt15iterator_traitsISN_E10value_typeEPNST_ISO_E10value_typeEPSP_NS1_7vsmem_tEENKUlT_SN_SO_SP_E_clIPjSG_PS9_SI_EESM_S12_SN_SO_SP_EUlS12_E0_NS1_11comp_targetILNS1_3genE8ELNS1_11target_archE1030ELNS1_3gpuE2ELNS1_3repE0EEENS1_38merge_mergepath_config_static_selectorELNS0_4arch9wavefront6targetE1EEEvSO_
		.amdhsa_group_segment_fixed_size 0
		.amdhsa_private_segment_fixed_size 0
		.amdhsa_kernarg_size 64
		.amdhsa_user_sgpr_count 6
		.amdhsa_user_sgpr_private_segment_buffer 1
		.amdhsa_user_sgpr_dispatch_ptr 0
		.amdhsa_user_sgpr_queue_ptr 0
		.amdhsa_user_sgpr_kernarg_segment_ptr 1
		.amdhsa_user_sgpr_dispatch_id 0
		.amdhsa_user_sgpr_flat_scratch_init 0
		.amdhsa_user_sgpr_kernarg_preload_length 0
		.amdhsa_user_sgpr_kernarg_preload_offset 0
		.amdhsa_user_sgpr_private_segment_size 0
		.amdhsa_uses_dynamic_stack 0
		.amdhsa_system_sgpr_private_segment_wavefront_offset 0
		.amdhsa_system_sgpr_workgroup_id_x 1
		.amdhsa_system_sgpr_workgroup_id_y 0
		.amdhsa_system_sgpr_workgroup_id_z 0
		.amdhsa_system_sgpr_workgroup_info 0
		.amdhsa_system_vgpr_workitem_id 0
		.amdhsa_next_free_vgpr 1
		.amdhsa_next_free_sgpr 0
		.amdhsa_accum_offset 4
		.amdhsa_reserve_vcc 0
		.amdhsa_reserve_flat_scratch 0
		.amdhsa_float_round_mode_32 0
		.amdhsa_float_round_mode_16_64 0
		.amdhsa_float_denorm_mode_32 3
		.amdhsa_float_denorm_mode_16_64 3
		.amdhsa_dx10_clamp 1
		.amdhsa_ieee_mode 1
		.amdhsa_fp16_overflow 0
		.amdhsa_tg_split 0
		.amdhsa_exception_fp_ieee_invalid_op 0
		.amdhsa_exception_fp_denorm_src 0
		.amdhsa_exception_fp_ieee_div_zero 0
		.amdhsa_exception_fp_ieee_overflow 0
		.amdhsa_exception_fp_ieee_underflow 0
		.amdhsa_exception_fp_ieee_inexact 0
		.amdhsa_exception_int_div_zero 0
	.end_amdhsa_kernel
	.section	.text._ZN7rocprim17ROCPRIM_400000_NS6detail17trampoline_kernelINS0_14default_configENS1_38merge_sort_block_merge_config_selectorIjN6thrust23THRUST_200600_302600_NS5tupleIffNS6_9null_typeES8_S8_S8_S8_S8_S8_S8_EEEEZZNS1_27merge_sort_block_merge_implIS3_NS6_6detail15normal_iteratorINS6_10device_ptrIjEEEENSD_INSE_IS9_EEEEjNS1_19radix_merge_compareILb0ELb0EjNS0_19identity_decomposerEEEEE10hipError_tT0_T1_T2_jT3_P12ihipStream_tbPNSt15iterator_traitsISN_E10value_typeEPNST_ISO_E10value_typeEPSP_NS1_7vsmem_tEENKUlT_SN_SO_SP_E_clIPjSG_PS9_SI_EESM_S12_SN_SO_SP_EUlS12_E0_NS1_11comp_targetILNS1_3genE8ELNS1_11target_archE1030ELNS1_3gpuE2ELNS1_3repE0EEENS1_38merge_mergepath_config_static_selectorELNS0_4arch9wavefront6targetE1EEEvSO_,"axG",@progbits,_ZN7rocprim17ROCPRIM_400000_NS6detail17trampoline_kernelINS0_14default_configENS1_38merge_sort_block_merge_config_selectorIjN6thrust23THRUST_200600_302600_NS5tupleIffNS6_9null_typeES8_S8_S8_S8_S8_S8_S8_EEEEZZNS1_27merge_sort_block_merge_implIS3_NS6_6detail15normal_iteratorINS6_10device_ptrIjEEEENSD_INSE_IS9_EEEEjNS1_19radix_merge_compareILb0ELb0EjNS0_19identity_decomposerEEEEE10hipError_tT0_T1_T2_jT3_P12ihipStream_tbPNSt15iterator_traitsISN_E10value_typeEPNST_ISO_E10value_typeEPSP_NS1_7vsmem_tEENKUlT_SN_SO_SP_E_clIPjSG_PS9_SI_EESM_S12_SN_SO_SP_EUlS12_E0_NS1_11comp_targetILNS1_3genE8ELNS1_11target_archE1030ELNS1_3gpuE2ELNS1_3repE0EEENS1_38merge_mergepath_config_static_selectorELNS0_4arch9wavefront6targetE1EEEvSO_,comdat
.Lfunc_end40:
	.size	_ZN7rocprim17ROCPRIM_400000_NS6detail17trampoline_kernelINS0_14default_configENS1_38merge_sort_block_merge_config_selectorIjN6thrust23THRUST_200600_302600_NS5tupleIffNS6_9null_typeES8_S8_S8_S8_S8_S8_S8_EEEEZZNS1_27merge_sort_block_merge_implIS3_NS6_6detail15normal_iteratorINS6_10device_ptrIjEEEENSD_INSE_IS9_EEEEjNS1_19radix_merge_compareILb0ELb0EjNS0_19identity_decomposerEEEEE10hipError_tT0_T1_T2_jT3_P12ihipStream_tbPNSt15iterator_traitsISN_E10value_typeEPNST_ISO_E10value_typeEPSP_NS1_7vsmem_tEENKUlT_SN_SO_SP_E_clIPjSG_PS9_SI_EESM_S12_SN_SO_SP_EUlS12_E0_NS1_11comp_targetILNS1_3genE8ELNS1_11target_archE1030ELNS1_3gpuE2ELNS1_3repE0EEENS1_38merge_mergepath_config_static_selectorELNS0_4arch9wavefront6targetE1EEEvSO_, .Lfunc_end40-_ZN7rocprim17ROCPRIM_400000_NS6detail17trampoline_kernelINS0_14default_configENS1_38merge_sort_block_merge_config_selectorIjN6thrust23THRUST_200600_302600_NS5tupleIffNS6_9null_typeES8_S8_S8_S8_S8_S8_S8_EEEEZZNS1_27merge_sort_block_merge_implIS3_NS6_6detail15normal_iteratorINS6_10device_ptrIjEEEENSD_INSE_IS9_EEEEjNS1_19radix_merge_compareILb0ELb0EjNS0_19identity_decomposerEEEEE10hipError_tT0_T1_T2_jT3_P12ihipStream_tbPNSt15iterator_traitsISN_E10value_typeEPNST_ISO_E10value_typeEPSP_NS1_7vsmem_tEENKUlT_SN_SO_SP_E_clIPjSG_PS9_SI_EESM_S12_SN_SO_SP_EUlS12_E0_NS1_11comp_targetILNS1_3genE8ELNS1_11target_archE1030ELNS1_3gpuE2ELNS1_3repE0EEENS1_38merge_mergepath_config_static_selectorELNS0_4arch9wavefront6targetE1EEEvSO_
                                        ; -- End function
	.section	.AMDGPU.csdata,"",@progbits
; Kernel info:
; codeLenInByte = 0
; NumSgprs: 4
; NumVgprs: 0
; NumAgprs: 0
; TotalNumVgprs: 0
; ScratchSize: 0
; MemoryBound: 0
; FloatMode: 240
; IeeeMode: 1
; LDSByteSize: 0 bytes/workgroup (compile time only)
; SGPRBlocks: 0
; VGPRBlocks: 0
; NumSGPRsForWavesPerEU: 4
; NumVGPRsForWavesPerEU: 1
; AccumOffset: 4
; Occupancy: 8
; WaveLimiterHint : 0
; COMPUTE_PGM_RSRC2:SCRATCH_EN: 0
; COMPUTE_PGM_RSRC2:USER_SGPR: 6
; COMPUTE_PGM_RSRC2:TRAP_HANDLER: 0
; COMPUTE_PGM_RSRC2:TGID_X_EN: 1
; COMPUTE_PGM_RSRC2:TGID_Y_EN: 0
; COMPUTE_PGM_RSRC2:TGID_Z_EN: 0
; COMPUTE_PGM_RSRC2:TIDIG_COMP_CNT: 0
; COMPUTE_PGM_RSRC3_GFX90A:ACCUM_OFFSET: 0
; COMPUTE_PGM_RSRC3_GFX90A:TG_SPLIT: 0
	.section	.text._ZN7rocprim17ROCPRIM_400000_NS6detail17trampoline_kernelINS0_14default_configENS1_38merge_sort_block_merge_config_selectorIjN6thrust23THRUST_200600_302600_NS5tupleIffNS6_9null_typeES8_S8_S8_S8_S8_S8_S8_EEEEZZNS1_27merge_sort_block_merge_implIS3_NS6_6detail15normal_iteratorINS6_10device_ptrIjEEEENSD_INSE_IS9_EEEEjNS1_19radix_merge_compareILb0ELb0EjNS0_19identity_decomposerEEEEE10hipError_tT0_T1_T2_jT3_P12ihipStream_tbPNSt15iterator_traitsISN_E10value_typeEPNST_ISO_E10value_typeEPSP_NS1_7vsmem_tEENKUlT_SN_SO_SP_E_clIPjSG_PS9_SI_EESM_S12_SN_SO_SP_EUlS12_E1_NS1_11comp_targetILNS1_3genE0ELNS1_11target_archE4294967295ELNS1_3gpuE0ELNS1_3repE0EEENS1_36merge_oddeven_config_static_selectorELNS0_4arch9wavefront6targetE1EEEvSO_,"axG",@progbits,_ZN7rocprim17ROCPRIM_400000_NS6detail17trampoline_kernelINS0_14default_configENS1_38merge_sort_block_merge_config_selectorIjN6thrust23THRUST_200600_302600_NS5tupleIffNS6_9null_typeES8_S8_S8_S8_S8_S8_S8_EEEEZZNS1_27merge_sort_block_merge_implIS3_NS6_6detail15normal_iteratorINS6_10device_ptrIjEEEENSD_INSE_IS9_EEEEjNS1_19radix_merge_compareILb0ELb0EjNS0_19identity_decomposerEEEEE10hipError_tT0_T1_T2_jT3_P12ihipStream_tbPNSt15iterator_traitsISN_E10value_typeEPNST_ISO_E10value_typeEPSP_NS1_7vsmem_tEENKUlT_SN_SO_SP_E_clIPjSG_PS9_SI_EESM_S12_SN_SO_SP_EUlS12_E1_NS1_11comp_targetILNS1_3genE0ELNS1_11target_archE4294967295ELNS1_3gpuE0ELNS1_3repE0EEENS1_36merge_oddeven_config_static_selectorELNS0_4arch9wavefront6targetE1EEEvSO_,comdat
	.protected	_ZN7rocprim17ROCPRIM_400000_NS6detail17trampoline_kernelINS0_14default_configENS1_38merge_sort_block_merge_config_selectorIjN6thrust23THRUST_200600_302600_NS5tupleIffNS6_9null_typeES8_S8_S8_S8_S8_S8_S8_EEEEZZNS1_27merge_sort_block_merge_implIS3_NS6_6detail15normal_iteratorINS6_10device_ptrIjEEEENSD_INSE_IS9_EEEEjNS1_19radix_merge_compareILb0ELb0EjNS0_19identity_decomposerEEEEE10hipError_tT0_T1_T2_jT3_P12ihipStream_tbPNSt15iterator_traitsISN_E10value_typeEPNST_ISO_E10value_typeEPSP_NS1_7vsmem_tEENKUlT_SN_SO_SP_E_clIPjSG_PS9_SI_EESM_S12_SN_SO_SP_EUlS12_E1_NS1_11comp_targetILNS1_3genE0ELNS1_11target_archE4294967295ELNS1_3gpuE0ELNS1_3repE0EEENS1_36merge_oddeven_config_static_selectorELNS0_4arch9wavefront6targetE1EEEvSO_ ; -- Begin function _ZN7rocprim17ROCPRIM_400000_NS6detail17trampoline_kernelINS0_14default_configENS1_38merge_sort_block_merge_config_selectorIjN6thrust23THRUST_200600_302600_NS5tupleIffNS6_9null_typeES8_S8_S8_S8_S8_S8_S8_EEEEZZNS1_27merge_sort_block_merge_implIS3_NS6_6detail15normal_iteratorINS6_10device_ptrIjEEEENSD_INSE_IS9_EEEEjNS1_19radix_merge_compareILb0ELb0EjNS0_19identity_decomposerEEEEE10hipError_tT0_T1_T2_jT3_P12ihipStream_tbPNSt15iterator_traitsISN_E10value_typeEPNST_ISO_E10value_typeEPSP_NS1_7vsmem_tEENKUlT_SN_SO_SP_E_clIPjSG_PS9_SI_EESM_S12_SN_SO_SP_EUlS12_E1_NS1_11comp_targetILNS1_3genE0ELNS1_11target_archE4294967295ELNS1_3gpuE0ELNS1_3repE0EEENS1_36merge_oddeven_config_static_selectorELNS0_4arch9wavefront6targetE1EEEvSO_
	.globl	_ZN7rocprim17ROCPRIM_400000_NS6detail17trampoline_kernelINS0_14default_configENS1_38merge_sort_block_merge_config_selectorIjN6thrust23THRUST_200600_302600_NS5tupleIffNS6_9null_typeES8_S8_S8_S8_S8_S8_S8_EEEEZZNS1_27merge_sort_block_merge_implIS3_NS6_6detail15normal_iteratorINS6_10device_ptrIjEEEENSD_INSE_IS9_EEEEjNS1_19radix_merge_compareILb0ELb0EjNS0_19identity_decomposerEEEEE10hipError_tT0_T1_T2_jT3_P12ihipStream_tbPNSt15iterator_traitsISN_E10value_typeEPNST_ISO_E10value_typeEPSP_NS1_7vsmem_tEENKUlT_SN_SO_SP_E_clIPjSG_PS9_SI_EESM_S12_SN_SO_SP_EUlS12_E1_NS1_11comp_targetILNS1_3genE0ELNS1_11target_archE4294967295ELNS1_3gpuE0ELNS1_3repE0EEENS1_36merge_oddeven_config_static_selectorELNS0_4arch9wavefront6targetE1EEEvSO_
	.p2align	8
	.type	_ZN7rocprim17ROCPRIM_400000_NS6detail17trampoline_kernelINS0_14default_configENS1_38merge_sort_block_merge_config_selectorIjN6thrust23THRUST_200600_302600_NS5tupleIffNS6_9null_typeES8_S8_S8_S8_S8_S8_S8_EEEEZZNS1_27merge_sort_block_merge_implIS3_NS6_6detail15normal_iteratorINS6_10device_ptrIjEEEENSD_INSE_IS9_EEEEjNS1_19radix_merge_compareILb0ELb0EjNS0_19identity_decomposerEEEEE10hipError_tT0_T1_T2_jT3_P12ihipStream_tbPNSt15iterator_traitsISN_E10value_typeEPNST_ISO_E10value_typeEPSP_NS1_7vsmem_tEENKUlT_SN_SO_SP_E_clIPjSG_PS9_SI_EESM_S12_SN_SO_SP_EUlS12_E1_NS1_11comp_targetILNS1_3genE0ELNS1_11target_archE4294967295ELNS1_3gpuE0ELNS1_3repE0EEENS1_36merge_oddeven_config_static_selectorELNS0_4arch9wavefront6targetE1EEEvSO_,@function
_ZN7rocprim17ROCPRIM_400000_NS6detail17trampoline_kernelINS0_14default_configENS1_38merge_sort_block_merge_config_selectorIjN6thrust23THRUST_200600_302600_NS5tupleIffNS6_9null_typeES8_S8_S8_S8_S8_S8_S8_EEEEZZNS1_27merge_sort_block_merge_implIS3_NS6_6detail15normal_iteratorINS6_10device_ptrIjEEEENSD_INSE_IS9_EEEEjNS1_19radix_merge_compareILb0ELb0EjNS0_19identity_decomposerEEEEE10hipError_tT0_T1_T2_jT3_P12ihipStream_tbPNSt15iterator_traitsISN_E10value_typeEPNST_ISO_E10value_typeEPSP_NS1_7vsmem_tEENKUlT_SN_SO_SP_E_clIPjSG_PS9_SI_EESM_S12_SN_SO_SP_EUlS12_E1_NS1_11comp_targetILNS1_3genE0ELNS1_11target_archE4294967295ELNS1_3gpuE0ELNS1_3repE0EEENS1_36merge_oddeven_config_static_selectorELNS0_4arch9wavefront6targetE1EEEvSO_: ; @_ZN7rocprim17ROCPRIM_400000_NS6detail17trampoline_kernelINS0_14default_configENS1_38merge_sort_block_merge_config_selectorIjN6thrust23THRUST_200600_302600_NS5tupleIffNS6_9null_typeES8_S8_S8_S8_S8_S8_S8_EEEEZZNS1_27merge_sort_block_merge_implIS3_NS6_6detail15normal_iteratorINS6_10device_ptrIjEEEENSD_INSE_IS9_EEEEjNS1_19radix_merge_compareILb0ELb0EjNS0_19identity_decomposerEEEEE10hipError_tT0_T1_T2_jT3_P12ihipStream_tbPNSt15iterator_traitsISN_E10value_typeEPNST_ISO_E10value_typeEPSP_NS1_7vsmem_tEENKUlT_SN_SO_SP_E_clIPjSG_PS9_SI_EESM_S12_SN_SO_SP_EUlS12_E1_NS1_11comp_targetILNS1_3genE0ELNS1_11target_archE4294967295ELNS1_3gpuE0ELNS1_3repE0EEENS1_36merge_oddeven_config_static_selectorELNS0_4arch9wavefront6targetE1EEEvSO_
; %bb.0:
	.section	.rodata,"a",@progbits
	.p2align	6, 0x0
	.amdhsa_kernel _ZN7rocprim17ROCPRIM_400000_NS6detail17trampoline_kernelINS0_14default_configENS1_38merge_sort_block_merge_config_selectorIjN6thrust23THRUST_200600_302600_NS5tupleIffNS6_9null_typeES8_S8_S8_S8_S8_S8_S8_EEEEZZNS1_27merge_sort_block_merge_implIS3_NS6_6detail15normal_iteratorINS6_10device_ptrIjEEEENSD_INSE_IS9_EEEEjNS1_19radix_merge_compareILb0ELb0EjNS0_19identity_decomposerEEEEE10hipError_tT0_T1_T2_jT3_P12ihipStream_tbPNSt15iterator_traitsISN_E10value_typeEPNST_ISO_E10value_typeEPSP_NS1_7vsmem_tEENKUlT_SN_SO_SP_E_clIPjSG_PS9_SI_EESM_S12_SN_SO_SP_EUlS12_E1_NS1_11comp_targetILNS1_3genE0ELNS1_11target_archE4294967295ELNS1_3gpuE0ELNS1_3repE0EEENS1_36merge_oddeven_config_static_selectorELNS0_4arch9wavefront6targetE1EEEvSO_
		.amdhsa_group_segment_fixed_size 0
		.amdhsa_private_segment_fixed_size 0
		.amdhsa_kernarg_size 48
		.amdhsa_user_sgpr_count 6
		.amdhsa_user_sgpr_private_segment_buffer 1
		.amdhsa_user_sgpr_dispatch_ptr 0
		.amdhsa_user_sgpr_queue_ptr 0
		.amdhsa_user_sgpr_kernarg_segment_ptr 1
		.amdhsa_user_sgpr_dispatch_id 0
		.amdhsa_user_sgpr_flat_scratch_init 0
		.amdhsa_user_sgpr_kernarg_preload_length 0
		.amdhsa_user_sgpr_kernarg_preload_offset 0
		.amdhsa_user_sgpr_private_segment_size 0
		.amdhsa_uses_dynamic_stack 0
		.amdhsa_system_sgpr_private_segment_wavefront_offset 0
		.amdhsa_system_sgpr_workgroup_id_x 1
		.amdhsa_system_sgpr_workgroup_id_y 0
		.amdhsa_system_sgpr_workgroup_id_z 0
		.amdhsa_system_sgpr_workgroup_info 0
		.amdhsa_system_vgpr_workitem_id 0
		.amdhsa_next_free_vgpr 1
		.amdhsa_next_free_sgpr 0
		.amdhsa_accum_offset 4
		.amdhsa_reserve_vcc 0
		.amdhsa_reserve_flat_scratch 0
		.amdhsa_float_round_mode_32 0
		.amdhsa_float_round_mode_16_64 0
		.amdhsa_float_denorm_mode_32 3
		.amdhsa_float_denorm_mode_16_64 3
		.amdhsa_dx10_clamp 1
		.amdhsa_ieee_mode 1
		.amdhsa_fp16_overflow 0
		.amdhsa_tg_split 0
		.amdhsa_exception_fp_ieee_invalid_op 0
		.amdhsa_exception_fp_denorm_src 0
		.amdhsa_exception_fp_ieee_div_zero 0
		.amdhsa_exception_fp_ieee_overflow 0
		.amdhsa_exception_fp_ieee_underflow 0
		.amdhsa_exception_fp_ieee_inexact 0
		.amdhsa_exception_int_div_zero 0
	.end_amdhsa_kernel
	.section	.text._ZN7rocprim17ROCPRIM_400000_NS6detail17trampoline_kernelINS0_14default_configENS1_38merge_sort_block_merge_config_selectorIjN6thrust23THRUST_200600_302600_NS5tupleIffNS6_9null_typeES8_S8_S8_S8_S8_S8_S8_EEEEZZNS1_27merge_sort_block_merge_implIS3_NS6_6detail15normal_iteratorINS6_10device_ptrIjEEEENSD_INSE_IS9_EEEEjNS1_19radix_merge_compareILb0ELb0EjNS0_19identity_decomposerEEEEE10hipError_tT0_T1_T2_jT3_P12ihipStream_tbPNSt15iterator_traitsISN_E10value_typeEPNST_ISO_E10value_typeEPSP_NS1_7vsmem_tEENKUlT_SN_SO_SP_E_clIPjSG_PS9_SI_EESM_S12_SN_SO_SP_EUlS12_E1_NS1_11comp_targetILNS1_3genE0ELNS1_11target_archE4294967295ELNS1_3gpuE0ELNS1_3repE0EEENS1_36merge_oddeven_config_static_selectorELNS0_4arch9wavefront6targetE1EEEvSO_,"axG",@progbits,_ZN7rocprim17ROCPRIM_400000_NS6detail17trampoline_kernelINS0_14default_configENS1_38merge_sort_block_merge_config_selectorIjN6thrust23THRUST_200600_302600_NS5tupleIffNS6_9null_typeES8_S8_S8_S8_S8_S8_S8_EEEEZZNS1_27merge_sort_block_merge_implIS3_NS6_6detail15normal_iteratorINS6_10device_ptrIjEEEENSD_INSE_IS9_EEEEjNS1_19radix_merge_compareILb0ELb0EjNS0_19identity_decomposerEEEEE10hipError_tT0_T1_T2_jT3_P12ihipStream_tbPNSt15iterator_traitsISN_E10value_typeEPNST_ISO_E10value_typeEPSP_NS1_7vsmem_tEENKUlT_SN_SO_SP_E_clIPjSG_PS9_SI_EESM_S12_SN_SO_SP_EUlS12_E1_NS1_11comp_targetILNS1_3genE0ELNS1_11target_archE4294967295ELNS1_3gpuE0ELNS1_3repE0EEENS1_36merge_oddeven_config_static_selectorELNS0_4arch9wavefront6targetE1EEEvSO_,comdat
.Lfunc_end41:
	.size	_ZN7rocprim17ROCPRIM_400000_NS6detail17trampoline_kernelINS0_14default_configENS1_38merge_sort_block_merge_config_selectorIjN6thrust23THRUST_200600_302600_NS5tupleIffNS6_9null_typeES8_S8_S8_S8_S8_S8_S8_EEEEZZNS1_27merge_sort_block_merge_implIS3_NS6_6detail15normal_iteratorINS6_10device_ptrIjEEEENSD_INSE_IS9_EEEEjNS1_19radix_merge_compareILb0ELb0EjNS0_19identity_decomposerEEEEE10hipError_tT0_T1_T2_jT3_P12ihipStream_tbPNSt15iterator_traitsISN_E10value_typeEPNST_ISO_E10value_typeEPSP_NS1_7vsmem_tEENKUlT_SN_SO_SP_E_clIPjSG_PS9_SI_EESM_S12_SN_SO_SP_EUlS12_E1_NS1_11comp_targetILNS1_3genE0ELNS1_11target_archE4294967295ELNS1_3gpuE0ELNS1_3repE0EEENS1_36merge_oddeven_config_static_selectorELNS0_4arch9wavefront6targetE1EEEvSO_, .Lfunc_end41-_ZN7rocprim17ROCPRIM_400000_NS6detail17trampoline_kernelINS0_14default_configENS1_38merge_sort_block_merge_config_selectorIjN6thrust23THRUST_200600_302600_NS5tupleIffNS6_9null_typeES8_S8_S8_S8_S8_S8_S8_EEEEZZNS1_27merge_sort_block_merge_implIS3_NS6_6detail15normal_iteratorINS6_10device_ptrIjEEEENSD_INSE_IS9_EEEEjNS1_19radix_merge_compareILb0ELb0EjNS0_19identity_decomposerEEEEE10hipError_tT0_T1_T2_jT3_P12ihipStream_tbPNSt15iterator_traitsISN_E10value_typeEPNST_ISO_E10value_typeEPSP_NS1_7vsmem_tEENKUlT_SN_SO_SP_E_clIPjSG_PS9_SI_EESM_S12_SN_SO_SP_EUlS12_E1_NS1_11comp_targetILNS1_3genE0ELNS1_11target_archE4294967295ELNS1_3gpuE0ELNS1_3repE0EEENS1_36merge_oddeven_config_static_selectorELNS0_4arch9wavefront6targetE1EEEvSO_
                                        ; -- End function
	.section	.AMDGPU.csdata,"",@progbits
; Kernel info:
; codeLenInByte = 0
; NumSgprs: 4
; NumVgprs: 0
; NumAgprs: 0
; TotalNumVgprs: 0
; ScratchSize: 0
; MemoryBound: 0
; FloatMode: 240
; IeeeMode: 1
; LDSByteSize: 0 bytes/workgroup (compile time only)
; SGPRBlocks: 0
; VGPRBlocks: 0
; NumSGPRsForWavesPerEU: 4
; NumVGPRsForWavesPerEU: 1
; AccumOffset: 4
; Occupancy: 8
; WaveLimiterHint : 0
; COMPUTE_PGM_RSRC2:SCRATCH_EN: 0
; COMPUTE_PGM_RSRC2:USER_SGPR: 6
; COMPUTE_PGM_RSRC2:TRAP_HANDLER: 0
; COMPUTE_PGM_RSRC2:TGID_X_EN: 1
; COMPUTE_PGM_RSRC2:TGID_Y_EN: 0
; COMPUTE_PGM_RSRC2:TGID_Z_EN: 0
; COMPUTE_PGM_RSRC2:TIDIG_COMP_CNT: 0
; COMPUTE_PGM_RSRC3_GFX90A:ACCUM_OFFSET: 0
; COMPUTE_PGM_RSRC3_GFX90A:TG_SPLIT: 0
	.section	.text._ZN7rocprim17ROCPRIM_400000_NS6detail17trampoline_kernelINS0_14default_configENS1_38merge_sort_block_merge_config_selectorIjN6thrust23THRUST_200600_302600_NS5tupleIffNS6_9null_typeES8_S8_S8_S8_S8_S8_S8_EEEEZZNS1_27merge_sort_block_merge_implIS3_NS6_6detail15normal_iteratorINS6_10device_ptrIjEEEENSD_INSE_IS9_EEEEjNS1_19radix_merge_compareILb0ELb0EjNS0_19identity_decomposerEEEEE10hipError_tT0_T1_T2_jT3_P12ihipStream_tbPNSt15iterator_traitsISN_E10value_typeEPNST_ISO_E10value_typeEPSP_NS1_7vsmem_tEENKUlT_SN_SO_SP_E_clIPjSG_PS9_SI_EESM_S12_SN_SO_SP_EUlS12_E1_NS1_11comp_targetILNS1_3genE10ELNS1_11target_archE1201ELNS1_3gpuE5ELNS1_3repE0EEENS1_36merge_oddeven_config_static_selectorELNS0_4arch9wavefront6targetE1EEEvSO_,"axG",@progbits,_ZN7rocprim17ROCPRIM_400000_NS6detail17trampoline_kernelINS0_14default_configENS1_38merge_sort_block_merge_config_selectorIjN6thrust23THRUST_200600_302600_NS5tupleIffNS6_9null_typeES8_S8_S8_S8_S8_S8_S8_EEEEZZNS1_27merge_sort_block_merge_implIS3_NS6_6detail15normal_iteratorINS6_10device_ptrIjEEEENSD_INSE_IS9_EEEEjNS1_19radix_merge_compareILb0ELb0EjNS0_19identity_decomposerEEEEE10hipError_tT0_T1_T2_jT3_P12ihipStream_tbPNSt15iterator_traitsISN_E10value_typeEPNST_ISO_E10value_typeEPSP_NS1_7vsmem_tEENKUlT_SN_SO_SP_E_clIPjSG_PS9_SI_EESM_S12_SN_SO_SP_EUlS12_E1_NS1_11comp_targetILNS1_3genE10ELNS1_11target_archE1201ELNS1_3gpuE5ELNS1_3repE0EEENS1_36merge_oddeven_config_static_selectorELNS0_4arch9wavefront6targetE1EEEvSO_,comdat
	.protected	_ZN7rocprim17ROCPRIM_400000_NS6detail17trampoline_kernelINS0_14default_configENS1_38merge_sort_block_merge_config_selectorIjN6thrust23THRUST_200600_302600_NS5tupleIffNS6_9null_typeES8_S8_S8_S8_S8_S8_S8_EEEEZZNS1_27merge_sort_block_merge_implIS3_NS6_6detail15normal_iteratorINS6_10device_ptrIjEEEENSD_INSE_IS9_EEEEjNS1_19radix_merge_compareILb0ELb0EjNS0_19identity_decomposerEEEEE10hipError_tT0_T1_T2_jT3_P12ihipStream_tbPNSt15iterator_traitsISN_E10value_typeEPNST_ISO_E10value_typeEPSP_NS1_7vsmem_tEENKUlT_SN_SO_SP_E_clIPjSG_PS9_SI_EESM_S12_SN_SO_SP_EUlS12_E1_NS1_11comp_targetILNS1_3genE10ELNS1_11target_archE1201ELNS1_3gpuE5ELNS1_3repE0EEENS1_36merge_oddeven_config_static_selectorELNS0_4arch9wavefront6targetE1EEEvSO_ ; -- Begin function _ZN7rocprim17ROCPRIM_400000_NS6detail17trampoline_kernelINS0_14default_configENS1_38merge_sort_block_merge_config_selectorIjN6thrust23THRUST_200600_302600_NS5tupleIffNS6_9null_typeES8_S8_S8_S8_S8_S8_S8_EEEEZZNS1_27merge_sort_block_merge_implIS3_NS6_6detail15normal_iteratorINS6_10device_ptrIjEEEENSD_INSE_IS9_EEEEjNS1_19radix_merge_compareILb0ELb0EjNS0_19identity_decomposerEEEEE10hipError_tT0_T1_T2_jT3_P12ihipStream_tbPNSt15iterator_traitsISN_E10value_typeEPNST_ISO_E10value_typeEPSP_NS1_7vsmem_tEENKUlT_SN_SO_SP_E_clIPjSG_PS9_SI_EESM_S12_SN_SO_SP_EUlS12_E1_NS1_11comp_targetILNS1_3genE10ELNS1_11target_archE1201ELNS1_3gpuE5ELNS1_3repE0EEENS1_36merge_oddeven_config_static_selectorELNS0_4arch9wavefront6targetE1EEEvSO_
	.globl	_ZN7rocprim17ROCPRIM_400000_NS6detail17trampoline_kernelINS0_14default_configENS1_38merge_sort_block_merge_config_selectorIjN6thrust23THRUST_200600_302600_NS5tupleIffNS6_9null_typeES8_S8_S8_S8_S8_S8_S8_EEEEZZNS1_27merge_sort_block_merge_implIS3_NS6_6detail15normal_iteratorINS6_10device_ptrIjEEEENSD_INSE_IS9_EEEEjNS1_19radix_merge_compareILb0ELb0EjNS0_19identity_decomposerEEEEE10hipError_tT0_T1_T2_jT3_P12ihipStream_tbPNSt15iterator_traitsISN_E10value_typeEPNST_ISO_E10value_typeEPSP_NS1_7vsmem_tEENKUlT_SN_SO_SP_E_clIPjSG_PS9_SI_EESM_S12_SN_SO_SP_EUlS12_E1_NS1_11comp_targetILNS1_3genE10ELNS1_11target_archE1201ELNS1_3gpuE5ELNS1_3repE0EEENS1_36merge_oddeven_config_static_selectorELNS0_4arch9wavefront6targetE1EEEvSO_
	.p2align	8
	.type	_ZN7rocprim17ROCPRIM_400000_NS6detail17trampoline_kernelINS0_14default_configENS1_38merge_sort_block_merge_config_selectorIjN6thrust23THRUST_200600_302600_NS5tupleIffNS6_9null_typeES8_S8_S8_S8_S8_S8_S8_EEEEZZNS1_27merge_sort_block_merge_implIS3_NS6_6detail15normal_iteratorINS6_10device_ptrIjEEEENSD_INSE_IS9_EEEEjNS1_19radix_merge_compareILb0ELb0EjNS0_19identity_decomposerEEEEE10hipError_tT0_T1_T2_jT3_P12ihipStream_tbPNSt15iterator_traitsISN_E10value_typeEPNST_ISO_E10value_typeEPSP_NS1_7vsmem_tEENKUlT_SN_SO_SP_E_clIPjSG_PS9_SI_EESM_S12_SN_SO_SP_EUlS12_E1_NS1_11comp_targetILNS1_3genE10ELNS1_11target_archE1201ELNS1_3gpuE5ELNS1_3repE0EEENS1_36merge_oddeven_config_static_selectorELNS0_4arch9wavefront6targetE1EEEvSO_,@function
_ZN7rocprim17ROCPRIM_400000_NS6detail17trampoline_kernelINS0_14default_configENS1_38merge_sort_block_merge_config_selectorIjN6thrust23THRUST_200600_302600_NS5tupleIffNS6_9null_typeES8_S8_S8_S8_S8_S8_S8_EEEEZZNS1_27merge_sort_block_merge_implIS3_NS6_6detail15normal_iteratorINS6_10device_ptrIjEEEENSD_INSE_IS9_EEEEjNS1_19radix_merge_compareILb0ELb0EjNS0_19identity_decomposerEEEEE10hipError_tT0_T1_T2_jT3_P12ihipStream_tbPNSt15iterator_traitsISN_E10value_typeEPNST_ISO_E10value_typeEPSP_NS1_7vsmem_tEENKUlT_SN_SO_SP_E_clIPjSG_PS9_SI_EESM_S12_SN_SO_SP_EUlS12_E1_NS1_11comp_targetILNS1_3genE10ELNS1_11target_archE1201ELNS1_3gpuE5ELNS1_3repE0EEENS1_36merge_oddeven_config_static_selectorELNS0_4arch9wavefront6targetE1EEEvSO_: ; @_ZN7rocprim17ROCPRIM_400000_NS6detail17trampoline_kernelINS0_14default_configENS1_38merge_sort_block_merge_config_selectorIjN6thrust23THRUST_200600_302600_NS5tupleIffNS6_9null_typeES8_S8_S8_S8_S8_S8_S8_EEEEZZNS1_27merge_sort_block_merge_implIS3_NS6_6detail15normal_iteratorINS6_10device_ptrIjEEEENSD_INSE_IS9_EEEEjNS1_19radix_merge_compareILb0ELb0EjNS0_19identity_decomposerEEEEE10hipError_tT0_T1_T2_jT3_P12ihipStream_tbPNSt15iterator_traitsISN_E10value_typeEPNST_ISO_E10value_typeEPSP_NS1_7vsmem_tEENKUlT_SN_SO_SP_E_clIPjSG_PS9_SI_EESM_S12_SN_SO_SP_EUlS12_E1_NS1_11comp_targetILNS1_3genE10ELNS1_11target_archE1201ELNS1_3gpuE5ELNS1_3repE0EEENS1_36merge_oddeven_config_static_selectorELNS0_4arch9wavefront6targetE1EEEvSO_
; %bb.0:
	.section	.rodata,"a",@progbits
	.p2align	6, 0x0
	.amdhsa_kernel _ZN7rocprim17ROCPRIM_400000_NS6detail17trampoline_kernelINS0_14default_configENS1_38merge_sort_block_merge_config_selectorIjN6thrust23THRUST_200600_302600_NS5tupleIffNS6_9null_typeES8_S8_S8_S8_S8_S8_S8_EEEEZZNS1_27merge_sort_block_merge_implIS3_NS6_6detail15normal_iteratorINS6_10device_ptrIjEEEENSD_INSE_IS9_EEEEjNS1_19radix_merge_compareILb0ELb0EjNS0_19identity_decomposerEEEEE10hipError_tT0_T1_T2_jT3_P12ihipStream_tbPNSt15iterator_traitsISN_E10value_typeEPNST_ISO_E10value_typeEPSP_NS1_7vsmem_tEENKUlT_SN_SO_SP_E_clIPjSG_PS9_SI_EESM_S12_SN_SO_SP_EUlS12_E1_NS1_11comp_targetILNS1_3genE10ELNS1_11target_archE1201ELNS1_3gpuE5ELNS1_3repE0EEENS1_36merge_oddeven_config_static_selectorELNS0_4arch9wavefront6targetE1EEEvSO_
		.amdhsa_group_segment_fixed_size 0
		.amdhsa_private_segment_fixed_size 0
		.amdhsa_kernarg_size 48
		.amdhsa_user_sgpr_count 6
		.amdhsa_user_sgpr_private_segment_buffer 1
		.amdhsa_user_sgpr_dispatch_ptr 0
		.amdhsa_user_sgpr_queue_ptr 0
		.amdhsa_user_sgpr_kernarg_segment_ptr 1
		.amdhsa_user_sgpr_dispatch_id 0
		.amdhsa_user_sgpr_flat_scratch_init 0
		.amdhsa_user_sgpr_kernarg_preload_length 0
		.amdhsa_user_sgpr_kernarg_preload_offset 0
		.amdhsa_user_sgpr_private_segment_size 0
		.amdhsa_uses_dynamic_stack 0
		.amdhsa_system_sgpr_private_segment_wavefront_offset 0
		.amdhsa_system_sgpr_workgroup_id_x 1
		.amdhsa_system_sgpr_workgroup_id_y 0
		.amdhsa_system_sgpr_workgroup_id_z 0
		.amdhsa_system_sgpr_workgroup_info 0
		.amdhsa_system_vgpr_workitem_id 0
		.amdhsa_next_free_vgpr 1
		.amdhsa_next_free_sgpr 0
		.amdhsa_accum_offset 4
		.amdhsa_reserve_vcc 0
		.amdhsa_reserve_flat_scratch 0
		.amdhsa_float_round_mode_32 0
		.amdhsa_float_round_mode_16_64 0
		.amdhsa_float_denorm_mode_32 3
		.amdhsa_float_denorm_mode_16_64 3
		.amdhsa_dx10_clamp 1
		.amdhsa_ieee_mode 1
		.amdhsa_fp16_overflow 0
		.amdhsa_tg_split 0
		.amdhsa_exception_fp_ieee_invalid_op 0
		.amdhsa_exception_fp_denorm_src 0
		.amdhsa_exception_fp_ieee_div_zero 0
		.amdhsa_exception_fp_ieee_overflow 0
		.amdhsa_exception_fp_ieee_underflow 0
		.amdhsa_exception_fp_ieee_inexact 0
		.amdhsa_exception_int_div_zero 0
	.end_amdhsa_kernel
	.section	.text._ZN7rocprim17ROCPRIM_400000_NS6detail17trampoline_kernelINS0_14default_configENS1_38merge_sort_block_merge_config_selectorIjN6thrust23THRUST_200600_302600_NS5tupleIffNS6_9null_typeES8_S8_S8_S8_S8_S8_S8_EEEEZZNS1_27merge_sort_block_merge_implIS3_NS6_6detail15normal_iteratorINS6_10device_ptrIjEEEENSD_INSE_IS9_EEEEjNS1_19radix_merge_compareILb0ELb0EjNS0_19identity_decomposerEEEEE10hipError_tT0_T1_T2_jT3_P12ihipStream_tbPNSt15iterator_traitsISN_E10value_typeEPNST_ISO_E10value_typeEPSP_NS1_7vsmem_tEENKUlT_SN_SO_SP_E_clIPjSG_PS9_SI_EESM_S12_SN_SO_SP_EUlS12_E1_NS1_11comp_targetILNS1_3genE10ELNS1_11target_archE1201ELNS1_3gpuE5ELNS1_3repE0EEENS1_36merge_oddeven_config_static_selectorELNS0_4arch9wavefront6targetE1EEEvSO_,"axG",@progbits,_ZN7rocprim17ROCPRIM_400000_NS6detail17trampoline_kernelINS0_14default_configENS1_38merge_sort_block_merge_config_selectorIjN6thrust23THRUST_200600_302600_NS5tupleIffNS6_9null_typeES8_S8_S8_S8_S8_S8_S8_EEEEZZNS1_27merge_sort_block_merge_implIS3_NS6_6detail15normal_iteratorINS6_10device_ptrIjEEEENSD_INSE_IS9_EEEEjNS1_19radix_merge_compareILb0ELb0EjNS0_19identity_decomposerEEEEE10hipError_tT0_T1_T2_jT3_P12ihipStream_tbPNSt15iterator_traitsISN_E10value_typeEPNST_ISO_E10value_typeEPSP_NS1_7vsmem_tEENKUlT_SN_SO_SP_E_clIPjSG_PS9_SI_EESM_S12_SN_SO_SP_EUlS12_E1_NS1_11comp_targetILNS1_3genE10ELNS1_11target_archE1201ELNS1_3gpuE5ELNS1_3repE0EEENS1_36merge_oddeven_config_static_selectorELNS0_4arch9wavefront6targetE1EEEvSO_,comdat
.Lfunc_end42:
	.size	_ZN7rocprim17ROCPRIM_400000_NS6detail17trampoline_kernelINS0_14default_configENS1_38merge_sort_block_merge_config_selectorIjN6thrust23THRUST_200600_302600_NS5tupleIffNS6_9null_typeES8_S8_S8_S8_S8_S8_S8_EEEEZZNS1_27merge_sort_block_merge_implIS3_NS6_6detail15normal_iteratorINS6_10device_ptrIjEEEENSD_INSE_IS9_EEEEjNS1_19radix_merge_compareILb0ELb0EjNS0_19identity_decomposerEEEEE10hipError_tT0_T1_T2_jT3_P12ihipStream_tbPNSt15iterator_traitsISN_E10value_typeEPNST_ISO_E10value_typeEPSP_NS1_7vsmem_tEENKUlT_SN_SO_SP_E_clIPjSG_PS9_SI_EESM_S12_SN_SO_SP_EUlS12_E1_NS1_11comp_targetILNS1_3genE10ELNS1_11target_archE1201ELNS1_3gpuE5ELNS1_3repE0EEENS1_36merge_oddeven_config_static_selectorELNS0_4arch9wavefront6targetE1EEEvSO_, .Lfunc_end42-_ZN7rocprim17ROCPRIM_400000_NS6detail17trampoline_kernelINS0_14default_configENS1_38merge_sort_block_merge_config_selectorIjN6thrust23THRUST_200600_302600_NS5tupleIffNS6_9null_typeES8_S8_S8_S8_S8_S8_S8_EEEEZZNS1_27merge_sort_block_merge_implIS3_NS6_6detail15normal_iteratorINS6_10device_ptrIjEEEENSD_INSE_IS9_EEEEjNS1_19radix_merge_compareILb0ELb0EjNS0_19identity_decomposerEEEEE10hipError_tT0_T1_T2_jT3_P12ihipStream_tbPNSt15iterator_traitsISN_E10value_typeEPNST_ISO_E10value_typeEPSP_NS1_7vsmem_tEENKUlT_SN_SO_SP_E_clIPjSG_PS9_SI_EESM_S12_SN_SO_SP_EUlS12_E1_NS1_11comp_targetILNS1_3genE10ELNS1_11target_archE1201ELNS1_3gpuE5ELNS1_3repE0EEENS1_36merge_oddeven_config_static_selectorELNS0_4arch9wavefront6targetE1EEEvSO_
                                        ; -- End function
	.section	.AMDGPU.csdata,"",@progbits
; Kernel info:
; codeLenInByte = 0
; NumSgprs: 4
; NumVgprs: 0
; NumAgprs: 0
; TotalNumVgprs: 0
; ScratchSize: 0
; MemoryBound: 0
; FloatMode: 240
; IeeeMode: 1
; LDSByteSize: 0 bytes/workgroup (compile time only)
; SGPRBlocks: 0
; VGPRBlocks: 0
; NumSGPRsForWavesPerEU: 4
; NumVGPRsForWavesPerEU: 1
; AccumOffset: 4
; Occupancy: 8
; WaveLimiterHint : 0
; COMPUTE_PGM_RSRC2:SCRATCH_EN: 0
; COMPUTE_PGM_RSRC2:USER_SGPR: 6
; COMPUTE_PGM_RSRC2:TRAP_HANDLER: 0
; COMPUTE_PGM_RSRC2:TGID_X_EN: 1
; COMPUTE_PGM_RSRC2:TGID_Y_EN: 0
; COMPUTE_PGM_RSRC2:TGID_Z_EN: 0
; COMPUTE_PGM_RSRC2:TIDIG_COMP_CNT: 0
; COMPUTE_PGM_RSRC3_GFX90A:ACCUM_OFFSET: 0
; COMPUTE_PGM_RSRC3_GFX90A:TG_SPLIT: 0
	.section	.text._ZN7rocprim17ROCPRIM_400000_NS6detail17trampoline_kernelINS0_14default_configENS1_38merge_sort_block_merge_config_selectorIjN6thrust23THRUST_200600_302600_NS5tupleIffNS6_9null_typeES8_S8_S8_S8_S8_S8_S8_EEEEZZNS1_27merge_sort_block_merge_implIS3_NS6_6detail15normal_iteratorINS6_10device_ptrIjEEEENSD_INSE_IS9_EEEEjNS1_19radix_merge_compareILb0ELb0EjNS0_19identity_decomposerEEEEE10hipError_tT0_T1_T2_jT3_P12ihipStream_tbPNSt15iterator_traitsISN_E10value_typeEPNST_ISO_E10value_typeEPSP_NS1_7vsmem_tEENKUlT_SN_SO_SP_E_clIPjSG_PS9_SI_EESM_S12_SN_SO_SP_EUlS12_E1_NS1_11comp_targetILNS1_3genE5ELNS1_11target_archE942ELNS1_3gpuE9ELNS1_3repE0EEENS1_36merge_oddeven_config_static_selectorELNS0_4arch9wavefront6targetE1EEEvSO_,"axG",@progbits,_ZN7rocprim17ROCPRIM_400000_NS6detail17trampoline_kernelINS0_14default_configENS1_38merge_sort_block_merge_config_selectorIjN6thrust23THRUST_200600_302600_NS5tupleIffNS6_9null_typeES8_S8_S8_S8_S8_S8_S8_EEEEZZNS1_27merge_sort_block_merge_implIS3_NS6_6detail15normal_iteratorINS6_10device_ptrIjEEEENSD_INSE_IS9_EEEEjNS1_19radix_merge_compareILb0ELb0EjNS0_19identity_decomposerEEEEE10hipError_tT0_T1_T2_jT3_P12ihipStream_tbPNSt15iterator_traitsISN_E10value_typeEPNST_ISO_E10value_typeEPSP_NS1_7vsmem_tEENKUlT_SN_SO_SP_E_clIPjSG_PS9_SI_EESM_S12_SN_SO_SP_EUlS12_E1_NS1_11comp_targetILNS1_3genE5ELNS1_11target_archE942ELNS1_3gpuE9ELNS1_3repE0EEENS1_36merge_oddeven_config_static_selectorELNS0_4arch9wavefront6targetE1EEEvSO_,comdat
	.protected	_ZN7rocprim17ROCPRIM_400000_NS6detail17trampoline_kernelINS0_14default_configENS1_38merge_sort_block_merge_config_selectorIjN6thrust23THRUST_200600_302600_NS5tupleIffNS6_9null_typeES8_S8_S8_S8_S8_S8_S8_EEEEZZNS1_27merge_sort_block_merge_implIS3_NS6_6detail15normal_iteratorINS6_10device_ptrIjEEEENSD_INSE_IS9_EEEEjNS1_19radix_merge_compareILb0ELb0EjNS0_19identity_decomposerEEEEE10hipError_tT0_T1_T2_jT3_P12ihipStream_tbPNSt15iterator_traitsISN_E10value_typeEPNST_ISO_E10value_typeEPSP_NS1_7vsmem_tEENKUlT_SN_SO_SP_E_clIPjSG_PS9_SI_EESM_S12_SN_SO_SP_EUlS12_E1_NS1_11comp_targetILNS1_3genE5ELNS1_11target_archE942ELNS1_3gpuE9ELNS1_3repE0EEENS1_36merge_oddeven_config_static_selectorELNS0_4arch9wavefront6targetE1EEEvSO_ ; -- Begin function _ZN7rocprim17ROCPRIM_400000_NS6detail17trampoline_kernelINS0_14default_configENS1_38merge_sort_block_merge_config_selectorIjN6thrust23THRUST_200600_302600_NS5tupleIffNS6_9null_typeES8_S8_S8_S8_S8_S8_S8_EEEEZZNS1_27merge_sort_block_merge_implIS3_NS6_6detail15normal_iteratorINS6_10device_ptrIjEEEENSD_INSE_IS9_EEEEjNS1_19radix_merge_compareILb0ELb0EjNS0_19identity_decomposerEEEEE10hipError_tT0_T1_T2_jT3_P12ihipStream_tbPNSt15iterator_traitsISN_E10value_typeEPNST_ISO_E10value_typeEPSP_NS1_7vsmem_tEENKUlT_SN_SO_SP_E_clIPjSG_PS9_SI_EESM_S12_SN_SO_SP_EUlS12_E1_NS1_11comp_targetILNS1_3genE5ELNS1_11target_archE942ELNS1_3gpuE9ELNS1_3repE0EEENS1_36merge_oddeven_config_static_selectorELNS0_4arch9wavefront6targetE1EEEvSO_
	.globl	_ZN7rocprim17ROCPRIM_400000_NS6detail17trampoline_kernelINS0_14default_configENS1_38merge_sort_block_merge_config_selectorIjN6thrust23THRUST_200600_302600_NS5tupleIffNS6_9null_typeES8_S8_S8_S8_S8_S8_S8_EEEEZZNS1_27merge_sort_block_merge_implIS3_NS6_6detail15normal_iteratorINS6_10device_ptrIjEEEENSD_INSE_IS9_EEEEjNS1_19radix_merge_compareILb0ELb0EjNS0_19identity_decomposerEEEEE10hipError_tT0_T1_T2_jT3_P12ihipStream_tbPNSt15iterator_traitsISN_E10value_typeEPNST_ISO_E10value_typeEPSP_NS1_7vsmem_tEENKUlT_SN_SO_SP_E_clIPjSG_PS9_SI_EESM_S12_SN_SO_SP_EUlS12_E1_NS1_11comp_targetILNS1_3genE5ELNS1_11target_archE942ELNS1_3gpuE9ELNS1_3repE0EEENS1_36merge_oddeven_config_static_selectorELNS0_4arch9wavefront6targetE1EEEvSO_
	.p2align	8
	.type	_ZN7rocprim17ROCPRIM_400000_NS6detail17trampoline_kernelINS0_14default_configENS1_38merge_sort_block_merge_config_selectorIjN6thrust23THRUST_200600_302600_NS5tupleIffNS6_9null_typeES8_S8_S8_S8_S8_S8_S8_EEEEZZNS1_27merge_sort_block_merge_implIS3_NS6_6detail15normal_iteratorINS6_10device_ptrIjEEEENSD_INSE_IS9_EEEEjNS1_19radix_merge_compareILb0ELb0EjNS0_19identity_decomposerEEEEE10hipError_tT0_T1_T2_jT3_P12ihipStream_tbPNSt15iterator_traitsISN_E10value_typeEPNST_ISO_E10value_typeEPSP_NS1_7vsmem_tEENKUlT_SN_SO_SP_E_clIPjSG_PS9_SI_EESM_S12_SN_SO_SP_EUlS12_E1_NS1_11comp_targetILNS1_3genE5ELNS1_11target_archE942ELNS1_3gpuE9ELNS1_3repE0EEENS1_36merge_oddeven_config_static_selectorELNS0_4arch9wavefront6targetE1EEEvSO_,@function
_ZN7rocprim17ROCPRIM_400000_NS6detail17trampoline_kernelINS0_14default_configENS1_38merge_sort_block_merge_config_selectorIjN6thrust23THRUST_200600_302600_NS5tupleIffNS6_9null_typeES8_S8_S8_S8_S8_S8_S8_EEEEZZNS1_27merge_sort_block_merge_implIS3_NS6_6detail15normal_iteratorINS6_10device_ptrIjEEEENSD_INSE_IS9_EEEEjNS1_19radix_merge_compareILb0ELb0EjNS0_19identity_decomposerEEEEE10hipError_tT0_T1_T2_jT3_P12ihipStream_tbPNSt15iterator_traitsISN_E10value_typeEPNST_ISO_E10value_typeEPSP_NS1_7vsmem_tEENKUlT_SN_SO_SP_E_clIPjSG_PS9_SI_EESM_S12_SN_SO_SP_EUlS12_E1_NS1_11comp_targetILNS1_3genE5ELNS1_11target_archE942ELNS1_3gpuE9ELNS1_3repE0EEENS1_36merge_oddeven_config_static_selectorELNS0_4arch9wavefront6targetE1EEEvSO_: ; @_ZN7rocprim17ROCPRIM_400000_NS6detail17trampoline_kernelINS0_14default_configENS1_38merge_sort_block_merge_config_selectorIjN6thrust23THRUST_200600_302600_NS5tupleIffNS6_9null_typeES8_S8_S8_S8_S8_S8_S8_EEEEZZNS1_27merge_sort_block_merge_implIS3_NS6_6detail15normal_iteratorINS6_10device_ptrIjEEEENSD_INSE_IS9_EEEEjNS1_19radix_merge_compareILb0ELb0EjNS0_19identity_decomposerEEEEE10hipError_tT0_T1_T2_jT3_P12ihipStream_tbPNSt15iterator_traitsISN_E10value_typeEPNST_ISO_E10value_typeEPSP_NS1_7vsmem_tEENKUlT_SN_SO_SP_E_clIPjSG_PS9_SI_EESM_S12_SN_SO_SP_EUlS12_E1_NS1_11comp_targetILNS1_3genE5ELNS1_11target_archE942ELNS1_3gpuE9ELNS1_3repE0EEENS1_36merge_oddeven_config_static_selectorELNS0_4arch9wavefront6targetE1EEEvSO_
; %bb.0:
	.section	.rodata,"a",@progbits
	.p2align	6, 0x0
	.amdhsa_kernel _ZN7rocprim17ROCPRIM_400000_NS6detail17trampoline_kernelINS0_14default_configENS1_38merge_sort_block_merge_config_selectorIjN6thrust23THRUST_200600_302600_NS5tupleIffNS6_9null_typeES8_S8_S8_S8_S8_S8_S8_EEEEZZNS1_27merge_sort_block_merge_implIS3_NS6_6detail15normal_iteratorINS6_10device_ptrIjEEEENSD_INSE_IS9_EEEEjNS1_19radix_merge_compareILb0ELb0EjNS0_19identity_decomposerEEEEE10hipError_tT0_T1_T2_jT3_P12ihipStream_tbPNSt15iterator_traitsISN_E10value_typeEPNST_ISO_E10value_typeEPSP_NS1_7vsmem_tEENKUlT_SN_SO_SP_E_clIPjSG_PS9_SI_EESM_S12_SN_SO_SP_EUlS12_E1_NS1_11comp_targetILNS1_3genE5ELNS1_11target_archE942ELNS1_3gpuE9ELNS1_3repE0EEENS1_36merge_oddeven_config_static_selectorELNS0_4arch9wavefront6targetE1EEEvSO_
		.amdhsa_group_segment_fixed_size 0
		.amdhsa_private_segment_fixed_size 0
		.amdhsa_kernarg_size 48
		.amdhsa_user_sgpr_count 6
		.amdhsa_user_sgpr_private_segment_buffer 1
		.amdhsa_user_sgpr_dispatch_ptr 0
		.amdhsa_user_sgpr_queue_ptr 0
		.amdhsa_user_sgpr_kernarg_segment_ptr 1
		.amdhsa_user_sgpr_dispatch_id 0
		.amdhsa_user_sgpr_flat_scratch_init 0
		.amdhsa_user_sgpr_kernarg_preload_length 0
		.amdhsa_user_sgpr_kernarg_preload_offset 0
		.amdhsa_user_sgpr_private_segment_size 0
		.amdhsa_uses_dynamic_stack 0
		.amdhsa_system_sgpr_private_segment_wavefront_offset 0
		.amdhsa_system_sgpr_workgroup_id_x 1
		.amdhsa_system_sgpr_workgroup_id_y 0
		.amdhsa_system_sgpr_workgroup_id_z 0
		.amdhsa_system_sgpr_workgroup_info 0
		.amdhsa_system_vgpr_workitem_id 0
		.amdhsa_next_free_vgpr 1
		.amdhsa_next_free_sgpr 0
		.amdhsa_accum_offset 4
		.amdhsa_reserve_vcc 0
		.amdhsa_reserve_flat_scratch 0
		.amdhsa_float_round_mode_32 0
		.amdhsa_float_round_mode_16_64 0
		.amdhsa_float_denorm_mode_32 3
		.amdhsa_float_denorm_mode_16_64 3
		.amdhsa_dx10_clamp 1
		.amdhsa_ieee_mode 1
		.amdhsa_fp16_overflow 0
		.amdhsa_tg_split 0
		.amdhsa_exception_fp_ieee_invalid_op 0
		.amdhsa_exception_fp_denorm_src 0
		.amdhsa_exception_fp_ieee_div_zero 0
		.amdhsa_exception_fp_ieee_overflow 0
		.amdhsa_exception_fp_ieee_underflow 0
		.amdhsa_exception_fp_ieee_inexact 0
		.amdhsa_exception_int_div_zero 0
	.end_amdhsa_kernel
	.section	.text._ZN7rocprim17ROCPRIM_400000_NS6detail17trampoline_kernelINS0_14default_configENS1_38merge_sort_block_merge_config_selectorIjN6thrust23THRUST_200600_302600_NS5tupleIffNS6_9null_typeES8_S8_S8_S8_S8_S8_S8_EEEEZZNS1_27merge_sort_block_merge_implIS3_NS6_6detail15normal_iteratorINS6_10device_ptrIjEEEENSD_INSE_IS9_EEEEjNS1_19radix_merge_compareILb0ELb0EjNS0_19identity_decomposerEEEEE10hipError_tT0_T1_T2_jT3_P12ihipStream_tbPNSt15iterator_traitsISN_E10value_typeEPNST_ISO_E10value_typeEPSP_NS1_7vsmem_tEENKUlT_SN_SO_SP_E_clIPjSG_PS9_SI_EESM_S12_SN_SO_SP_EUlS12_E1_NS1_11comp_targetILNS1_3genE5ELNS1_11target_archE942ELNS1_3gpuE9ELNS1_3repE0EEENS1_36merge_oddeven_config_static_selectorELNS0_4arch9wavefront6targetE1EEEvSO_,"axG",@progbits,_ZN7rocprim17ROCPRIM_400000_NS6detail17trampoline_kernelINS0_14default_configENS1_38merge_sort_block_merge_config_selectorIjN6thrust23THRUST_200600_302600_NS5tupleIffNS6_9null_typeES8_S8_S8_S8_S8_S8_S8_EEEEZZNS1_27merge_sort_block_merge_implIS3_NS6_6detail15normal_iteratorINS6_10device_ptrIjEEEENSD_INSE_IS9_EEEEjNS1_19radix_merge_compareILb0ELb0EjNS0_19identity_decomposerEEEEE10hipError_tT0_T1_T2_jT3_P12ihipStream_tbPNSt15iterator_traitsISN_E10value_typeEPNST_ISO_E10value_typeEPSP_NS1_7vsmem_tEENKUlT_SN_SO_SP_E_clIPjSG_PS9_SI_EESM_S12_SN_SO_SP_EUlS12_E1_NS1_11comp_targetILNS1_3genE5ELNS1_11target_archE942ELNS1_3gpuE9ELNS1_3repE0EEENS1_36merge_oddeven_config_static_selectorELNS0_4arch9wavefront6targetE1EEEvSO_,comdat
.Lfunc_end43:
	.size	_ZN7rocprim17ROCPRIM_400000_NS6detail17trampoline_kernelINS0_14default_configENS1_38merge_sort_block_merge_config_selectorIjN6thrust23THRUST_200600_302600_NS5tupleIffNS6_9null_typeES8_S8_S8_S8_S8_S8_S8_EEEEZZNS1_27merge_sort_block_merge_implIS3_NS6_6detail15normal_iteratorINS6_10device_ptrIjEEEENSD_INSE_IS9_EEEEjNS1_19radix_merge_compareILb0ELb0EjNS0_19identity_decomposerEEEEE10hipError_tT0_T1_T2_jT3_P12ihipStream_tbPNSt15iterator_traitsISN_E10value_typeEPNST_ISO_E10value_typeEPSP_NS1_7vsmem_tEENKUlT_SN_SO_SP_E_clIPjSG_PS9_SI_EESM_S12_SN_SO_SP_EUlS12_E1_NS1_11comp_targetILNS1_3genE5ELNS1_11target_archE942ELNS1_3gpuE9ELNS1_3repE0EEENS1_36merge_oddeven_config_static_selectorELNS0_4arch9wavefront6targetE1EEEvSO_, .Lfunc_end43-_ZN7rocprim17ROCPRIM_400000_NS6detail17trampoline_kernelINS0_14default_configENS1_38merge_sort_block_merge_config_selectorIjN6thrust23THRUST_200600_302600_NS5tupleIffNS6_9null_typeES8_S8_S8_S8_S8_S8_S8_EEEEZZNS1_27merge_sort_block_merge_implIS3_NS6_6detail15normal_iteratorINS6_10device_ptrIjEEEENSD_INSE_IS9_EEEEjNS1_19radix_merge_compareILb0ELb0EjNS0_19identity_decomposerEEEEE10hipError_tT0_T1_T2_jT3_P12ihipStream_tbPNSt15iterator_traitsISN_E10value_typeEPNST_ISO_E10value_typeEPSP_NS1_7vsmem_tEENKUlT_SN_SO_SP_E_clIPjSG_PS9_SI_EESM_S12_SN_SO_SP_EUlS12_E1_NS1_11comp_targetILNS1_3genE5ELNS1_11target_archE942ELNS1_3gpuE9ELNS1_3repE0EEENS1_36merge_oddeven_config_static_selectorELNS0_4arch9wavefront6targetE1EEEvSO_
                                        ; -- End function
	.section	.AMDGPU.csdata,"",@progbits
; Kernel info:
; codeLenInByte = 0
; NumSgprs: 4
; NumVgprs: 0
; NumAgprs: 0
; TotalNumVgprs: 0
; ScratchSize: 0
; MemoryBound: 0
; FloatMode: 240
; IeeeMode: 1
; LDSByteSize: 0 bytes/workgroup (compile time only)
; SGPRBlocks: 0
; VGPRBlocks: 0
; NumSGPRsForWavesPerEU: 4
; NumVGPRsForWavesPerEU: 1
; AccumOffset: 4
; Occupancy: 8
; WaveLimiterHint : 0
; COMPUTE_PGM_RSRC2:SCRATCH_EN: 0
; COMPUTE_PGM_RSRC2:USER_SGPR: 6
; COMPUTE_PGM_RSRC2:TRAP_HANDLER: 0
; COMPUTE_PGM_RSRC2:TGID_X_EN: 1
; COMPUTE_PGM_RSRC2:TGID_Y_EN: 0
; COMPUTE_PGM_RSRC2:TGID_Z_EN: 0
; COMPUTE_PGM_RSRC2:TIDIG_COMP_CNT: 0
; COMPUTE_PGM_RSRC3_GFX90A:ACCUM_OFFSET: 0
; COMPUTE_PGM_RSRC3_GFX90A:TG_SPLIT: 0
	.section	.text._ZN7rocprim17ROCPRIM_400000_NS6detail17trampoline_kernelINS0_14default_configENS1_38merge_sort_block_merge_config_selectorIjN6thrust23THRUST_200600_302600_NS5tupleIffNS6_9null_typeES8_S8_S8_S8_S8_S8_S8_EEEEZZNS1_27merge_sort_block_merge_implIS3_NS6_6detail15normal_iteratorINS6_10device_ptrIjEEEENSD_INSE_IS9_EEEEjNS1_19radix_merge_compareILb0ELb0EjNS0_19identity_decomposerEEEEE10hipError_tT0_T1_T2_jT3_P12ihipStream_tbPNSt15iterator_traitsISN_E10value_typeEPNST_ISO_E10value_typeEPSP_NS1_7vsmem_tEENKUlT_SN_SO_SP_E_clIPjSG_PS9_SI_EESM_S12_SN_SO_SP_EUlS12_E1_NS1_11comp_targetILNS1_3genE4ELNS1_11target_archE910ELNS1_3gpuE8ELNS1_3repE0EEENS1_36merge_oddeven_config_static_selectorELNS0_4arch9wavefront6targetE1EEEvSO_,"axG",@progbits,_ZN7rocprim17ROCPRIM_400000_NS6detail17trampoline_kernelINS0_14default_configENS1_38merge_sort_block_merge_config_selectorIjN6thrust23THRUST_200600_302600_NS5tupleIffNS6_9null_typeES8_S8_S8_S8_S8_S8_S8_EEEEZZNS1_27merge_sort_block_merge_implIS3_NS6_6detail15normal_iteratorINS6_10device_ptrIjEEEENSD_INSE_IS9_EEEEjNS1_19radix_merge_compareILb0ELb0EjNS0_19identity_decomposerEEEEE10hipError_tT0_T1_T2_jT3_P12ihipStream_tbPNSt15iterator_traitsISN_E10value_typeEPNST_ISO_E10value_typeEPSP_NS1_7vsmem_tEENKUlT_SN_SO_SP_E_clIPjSG_PS9_SI_EESM_S12_SN_SO_SP_EUlS12_E1_NS1_11comp_targetILNS1_3genE4ELNS1_11target_archE910ELNS1_3gpuE8ELNS1_3repE0EEENS1_36merge_oddeven_config_static_selectorELNS0_4arch9wavefront6targetE1EEEvSO_,comdat
	.protected	_ZN7rocprim17ROCPRIM_400000_NS6detail17trampoline_kernelINS0_14default_configENS1_38merge_sort_block_merge_config_selectorIjN6thrust23THRUST_200600_302600_NS5tupleIffNS6_9null_typeES8_S8_S8_S8_S8_S8_S8_EEEEZZNS1_27merge_sort_block_merge_implIS3_NS6_6detail15normal_iteratorINS6_10device_ptrIjEEEENSD_INSE_IS9_EEEEjNS1_19radix_merge_compareILb0ELb0EjNS0_19identity_decomposerEEEEE10hipError_tT0_T1_T2_jT3_P12ihipStream_tbPNSt15iterator_traitsISN_E10value_typeEPNST_ISO_E10value_typeEPSP_NS1_7vsmem_tEENKUlT_SN_SO_SP_E_clIPjSG_PS9_SI_EESM_S12_SN_SO_SP_EUlS12_E1_NS1_11comp_targetILNS1_3genE4ELNS1_11target_archE910ELNS1_3gpuE8ELNS1_3repE0EEENS1_36merge_oddeven_config_static_selectorELNS0_4arch9wavefront6targetE1EEEvSO_ ; -- Begin function _ZN7rocprim17ROCPRIM_400000_NS6detail17trampoline_kernelINS0_14default_configENS1_38merge_sort_block_merge_config_selectorIjN6thrust23THRUST_200600_302600_NS5tupleIffNS6_9null_typeES8_S8_S8_S8_S8_S8_S8_EEEEZZNS1_27merge_sort_block_merge_implIS3_NS6_6detail15normal_iteratorINS6_10device_ptrIjEEEENSD_INSE_IS9_EEEEjNS1_19radix_merge_compareILb0ELb0EjNS0_19identity_decomposerEEEEE10hipError_tT0_T1_T2_jT3_P12ihipStream_tbPNSt15iterator_traitsISN_E10value_typeEPNST_ISO_E10value_typeEPSP_NS1_7vsmem_tEENKUlT_SN_SO_SP_E_clIPjSG_PS9_SI_EESM_S12_SN_SO_SP_EUlS12_E1_NS1_11comp_targetILNS1_3genE4ELNS1_11target_archE910ELNS1_3gpuE8ELNS1_3repE0EEENS1_36merge_oddeven_config_static_selectorELNS0_4arch9wavefront6targetE1EEEvSO_
	.globl	_ZN7rocprim17ROCPRIM_400000_NS6detail17trampoline_kernelINS0_14default_configENS1_38merge_sort_block_merge_config_selectorIjN6thrust23THRUST_200600_302600_NS5tupleIffNS6_9null_typeES8_S8_S8_S8_S8_S8_S8_EEEEZZNS1_27merge_sort_block_merge_implIS3_NS6_6detail15normal_iteratorINS6_10device_ptrIjEEEENSD_INSE_IS9_EEEEjNS1_19radix_merge_compareILb0ELb0EjNS0_19identity_decomposerEEEEE10hipError_tT0_T1_T2_jT3_P12ihipStream_tbPNSt15iterator_traitsISN_E10value_typeEPNST_ISO_E10value_typeEPSP_NS1_7vsmem_tEENKUlT_SN_SO_SP_E_clIPjSG_PS9_SI_EESM_S12_SN_SO_SP_EUlS12_E1_NS1_11comp_targetILNS1_3genE4ELNS1_11target_archE910ELNS1_3gpuE8ELNS1_3repE0EEENS1_36merge_oddeven_config_static_selectorELNS0_4arch9wavefront6targetE1EEEvSO_
	.p2align	8
	.type	_ZN7rocprim17ROCPRIM_400000_NS6detail17trampoline_kernelINS0_14default_configENS1_38merge_sort_block_merge_config_selectorIjN6thrust23THRUST_200600_302600_NS5tupleIffNS6_9null_typeES8_S8_S8_S8_S8_S8_S8_EEEEZZNS1_27merge_sort_block_merge_implIS3_NS6_6detail15normal_iteratorINS6_10device_ptrIjEEEENSD_INSE_IS9_EEEEjNS1_19radix_merge_compareILb0ELb0EjNS0_19identity_decomposerEEEEE10hipError_tT0_T1_T2_jT3_P12ihipStream_tbPNSt15iterator_traitsISN_E10value_typeEPNST_ISO_E10value_typeEPSP_NS1_7vsmem_tEENKUlT_SN_SO_SP_E_clIPjSG_PS9_SI_EESM_S12_SN_SO_SP_EUlS12_E1_NS1_11comp_targetILNS1_3genE4ELNS1_11target_archE910ELNS1_3gpuE8ELNS1_3repE0EEENS1_36merge_oddeven_config_static_selectorELNS0_4arch9wavefront6targetE1EEEvSO_,@function
_ZN7rocprim17ROCPRIM_400000_NS6detail17trampoline_kernelINS0_14default_configENS1_38merge_sort_block_merge_config_selectorIjN6thrust23THRUST_200600_302600_NS5tupleIffNS6_9null_typeES8_S8_S8_S8_S8_S8_S8_EEEEZZNS1_27merge_sort_block_merge_implIS3_NS6_6detail15normal_iteratorINS6_10device_ptrIjEEEENSD_INSE_IS9_EEEEjNS1_19radix_merge_compareILb0ELb0EjNS0_19identity_decomposerEEEEE10hipError_tT0_T1_T2_jT3_P12ihipStream_tbPNSt15iterator_traitsISN_E10value_typeEPNST_ISO_E10value_typeEPSP_NS1_7vsmem_tEENKUlT_SN_SO_SP_E_clIPjSG_PS9_SI_EESM_S12_SN_SO_SP_EUlS12_E1_NS1_11comp_targetILNS1_3genE4ELNS1_11target_archE910ELNS1_3gpuE8ELNS1_3repE0EEENS1_36merge_oddeven_config_static_selectorELNS0_4arch9wavefront6targetE1EEEvSO_: ; @_ZN7rocprim17ROCPRIM_400000_NS6detail17trampoline_kernelINS0_14default_configENS1_38merge_sort_block_merge_config_selectorIjN6thrust23THRUST_200600_302600_NS5tupleIffNS6_9null_typeES8_S8_S8_S8_S8_S8_S8_EEEEZZNS1_27merge_sort_block_merge_implIS3_NS6_6detail15normal_iteratorINS6_10device_ptrIjEEEENSD_INSE_IS9_EEEEjNS1_19radix_merge_compareILb0ELb0EjNS0_19identity_decomposerEEEEE10hipError_tT0_T1_T2_jT3_P12ihipStream_tbPNSt15iterator_traitsISN_E10value_typeEPNST_ISO_E10value_typeEPSP_NS1_7vsmem_tEENKUlT_SN_SO_SP_E_clIPjSG_PS9_SI_EESM_S12_SN_SO_SP_EUlS12_E1_NS1_11comp_targetILNS1_3genE4ELNS1_11target_archE910ELNS1_3gpuE8ELNS1_3repE0EEENS1_36merge_oddeven_config_static_selectorELNS0_4arch9wavefront6targetE1EEEvSO_
; %bb.0:
	s_load_dword s18, s[4:5], 0x20
	s_lshl_b32 s16, s6, 8
	s_waitcnt lgkmcnt(0)
	s_lshr_b32 s0, s18, 8
	s_cmp_lg_u32 s6, s0
	s_cselect_b64 s[14:15], -1, 0
	s_cmp_eq_u32 s6, s0
	s_cselect_b64 s[12:13], -1, 0
	s_sub_i32 s0, s18, s16
	v_cmp_gt_u32_e64 s[2:3], s0, v0
	s_or_b64 s[0:1], s[14:15], s[2:3]
	s_and_saveexec_b64 s[8:9], s[0:1]
	s_cbranch_execz .LBB44_20
; %bb.1:
	s_load_dwordx4 s[8:11], s[4:5], 0x0
	s_load_dwordx2 s[0:1], s[4:5], 0x10
	s_mov_b32 s17, 0
	s_lshl_b64 s[20:21], s[16:17], 2
	v_lshlrev_b32_e32 v1, 2, v0
	s_waitcnt lgkmcnt(0)
	s_add_u32 s20, s8, s20
	s_addc_u32 s21, s9, s21
	s_lshl_b64 s[22:23], s[16:17], 3
	s_add_u32 s0, s0, s22
	s_addc_u32 s1, s1, s23
	v_lshlrev_b32_e32 v5, 3, v0
	global_load_dword v4, v1, s[20:21]
	global_load_dwordx2 v[2:3], v5, s[0:1]
	s_load_dword s19, s[4:5], 0x24
	v_add_u32_e32 v0, s16, v0
	s_waitcnt lgkmcnt(0)
	s_lshr_b32 s0, s19, 8
	s_sub_i32 s1, 0, s0
	s_and_b32 s1, s6, s1
	s_and_b32 s0, s1, s0
	s_lshl_b32 s20, s1, 8
	s_sub_i32 s17, 0, s19
	s_cmp_eq_u32 s0, 0
	s_cselect_b64 s[0:1], -1, 0
	s_and_b64 s[6:7], s[0:1], exec
	s_cselect_b32 s17, s19, s17
	s_add_i32 s17, s17, s20
	s_cmp_lt_u32 s17, s18
	s_cbranch_scc1 .LBB44_3
; %bb.2:
	v_cmp_gt_u32_e32 vcc, s18, v0
	s_or_b64 s[6:7], vcc, s[14:15]
	s_and_b64 s[6:7], s[6:7], exec
	s_cbranch_execz .LBB44_4
	s_branch .LBB44_18
.LBB44_3:
	s_mov_b64 s[6:7], 0
.LBB44_4:
	s_min_u32 s14, s17, s18
	s_min_u32 s16, s20, s14
	s_add_i32 s20, s20, s14
	s_add_i32 s15, s14, s19
	v_subrev_u32_e32 v0, s20, v0
	s_min_u32 s15, s15, s18
	v_add_u32_e32 v5, s16, v0
	s_and_b64 vcc, exec, s[12:13]
	s_cbranch_vccz .LBB44_12
; %bb.5:
                                        ; implicit-def: $vgpr0
	s_and_saveexec_b64 s[12:13], s[2:3]
	s_cbranch_execz .LBB44_11
; %bb.6:
	s_cmp_ge_u32 s17, s15
	v_mov_b32_e32 v6, s14
	s_cbranch_scc1 .LBB44_10
; %bb.7:
	s_mov_b64 s[2:3], 0
	v_mov_b32_e32 v7, s15
	v_mov_b32_e32 v6, s14
	;; [unrolled: 1-line block ×4, first 2 shown]
.LBB44_8:                               ; =>This Inner Loop Header: Depth=1
	v_add_u32_e32 v0, v6, v7
	v_lshrrev_b32_e32 v0, 1, v0
	v_lshlrev_b64 v[10:11], 2, v[0:1]
	v_add_co_u32_e32 v10, vcc, s8, v10
	v_addc_co_u32_e32 v11, vcc, v8, v11, vcc
	global_load_dword v9, v[10:11], off
	v_add_u32_e32 v10, 1, v0
	s_waitcnt vmcnt(0)
	v_cmp_gt_u32_e32 vcc, v4, v9
	v_cndmask_b32_e64 v11, 0, 1, vcc
	v_cmp_le_u32_e32 vcc, v9, v4
	v_cndmask_b32_e64 v9, 0, 1, vcc
	v_cndmask_b32_e64 v9, v9, v11, s[0:1]
	v_and_b32_e32 v9, 1, v9
	v_cmp_eq_u32_e32 vcc, 1, v9
	v_cndmask_b32_e32 v7, v0, v7, vcc
	v_cndmask_b32_e32 v6, v6, v10, vcc
	v_cmp_ge_u32_e32 vcc, v6, v7
	s_or_b64 s[2:3], vcc, s[2:3]
	s_andn2_b64 exec, exec, s[2:3]
	s_cbranch_execnz .LBB44_8
; %bb.9:
	s_or_b64 exec, exec, s[2:3]
.LBB44_10:
	v_add_u32_e32 v0, v6, v5
	s_or_b64 s[6:7], s[6:7], exec
.LBB44_11:
	s_or_b64 exec, exec, s[12:13]
	s_branch .LBB44_18
.LBB44_12:
                                        ; implicit-def: $vgpr0
	s_cbranch_execz .LBB44_18
; %bb.13:
	s_cmp_ge_u32 s17, s15
	v_mov_b32_e32 v6, s14
	s_cbranch_scc1 .LBB44_17
; %bb.14:
	s_mov_b64 s[2:3], 0
	v_mov_b32_e32 v7, s15
	v_mov_b32_e32 v6, s14
	;; [unrolled: 1-line block ×4, first 2 shown]
.LBB44_15:                              ; =>This Inner Loop Header: Depth=1
	v_add_u32_e32 v0, v6, v7
	v_lshrrev_b32_e32 v0, 1, v0
	v_lshlrev_b64 v[10:11], 2, v[0:1]
	v_add_co_u32_e32 v10, vcc, s8, v10
	v_addc_co_u32_e32 v11, vcc, v8, v11, vcc
	global_load_dword v9, v[10:11], off
	v_add_u32_e32 v10, 1, v0
	s_waitcnt vmcnt(0)
	v_cmp_gt_u32_e32 vcc, v4, v9
	v_cndmask_b32_e64 v11, 0, 1, vcc
	v_cmp_le_u32_e32 vcc, v9, v4
	v_cndmask_b32_e64 v9, 0, 1, vcc
	v_cndmask_b32_e64 v9, v9, v11, s[0:1]
	v_and_b32_e32 v9, 1, v9
	v_cmp_eq_u32_e32 vcc, 1, v9
	v_cndmask_b32_e32 v7, v0, v7, vcc
	v_cndmask_b32_e32 v6, v6, v10, vcc
	v_cmp_ge_u32_e32 vcc, v6, v7
	s_or_b64 s[2:3], vcc, s[2:3]
	s_andn2_b64 exec, exec, s[2:3]
	s_cbranch_execnz .LBB44_15
; %bb.16:
	s_or_b64 exec, exec, s[2:3]
.LBB44_17:
	v_add_u32_e32 v0, v6, v5
	s_mov_b64 s[6:7], -1
.LBB44_18:
	s_and_b64 exec, exec, s[6:7]
	s_cbranch_execz .LBB44_20
; %bb.19:
	s_load_dwordx2 s[0:1], s[4:5], 0x18
	v_mov_b32_e32 v1, 0
	v_lshlrev_b64 v[6:7], 2, v[0:1]
	v_mov_b32_e32 v5, s11
	v_add_co_u32_e32 v6, vcc, s10, v6
	v_addc_co_u32_e32 v7, vcc, v5, v7, vcc
	v_lshlrev_b64 v[0:1], 3, v[0:1]
	s_waitcnt vmcnt(1)
	global_store_dword v[6:7], v4, off
	s_waitcnt lgkmcnt(0)
	v_mov_b32_e32 v4, s1
	v_add_co_u32_e32 v0, vcc, s0, v0
	v_addc_co_u32_e32 v1, vcc, v4, v1, vcc
	s_waitcnt vmcnt(1)
	global_store_dwordx2 v[0:1], v[2:3], off
.LBB44_20:
	s_endpgm
	.section	.rodata,"a",@progbits
	.p2align	6, 0x0
	.amdhsa_kernel _ZN7rocprim17ROCPRIM_400000_NS6detail17trampoline_kernelINS0_14default_configENS1_38merge_sort_block_merge_config_selectorIjN6thrust23THRUST_200600_302600_NS5tupleIffNS6_9null_typeES8_S8_S8_S8_S8_S8_S8_EEEEZZNS1_27merge_sort_block_merge_implIS3_NS6_6detail15normal_iteratorINS6_10device_ptrIjEEEENSD_INSE_IS9_EEEEjNS1_19radix_merge_compareILb0ELb0EjNS0_19identity_decomposerEEEEE10hipError_tT0_T1_T2_jT3_P12ihipStream_tbPNSt15iterator_traitsISN_E10value_typeEPNST_ISO_E10value_typeEPSP_NS1_7vsmem_tEENKUlT_SN_SO_SP_E_clIPjSG_PS9_SI_EESM_S12_SN_SO_SP_EUlS12_E1_NS1_11comp_targetILNS1_3genE4ELNS1_11target_archE910ELNS1_3gpuE8ELNS1_3repE0EEENS1_36merge_oddeven_config_static_selectorELNS0_4arch9wavefront6targetE1EEEvSO_
		.amdhsa_group_segment_fixed_size 0
		.amdhsa_private_segment_fixed_size 0
		.amdhsa_kernarg_size 48
		.amdhsa_user_sgpr_count 6
		.amdhsa_user_sgpr_private_segment_buffer 1
		.amdhsa_user_sgpr_dispatch_ptr 0
		.amdhsa_user_sgpr_queue_ptr 0
		.amdhsa_user_sgpr_kernarg_segment_ptr 1
		.amdhsa_user_sgpr_dispatch_id 0
		.amdhsa_user_sgpr_flat_scratch_init 0
		.amdhsa_user_sgpr_kernarg_preload_length 0
		.amdhsa_user_sgpr_kernarg_preload_offset 0
		.amdhsa_user_sgpr_private_segment_size 0
		.amdhsa_uses_dynamic_stack 0
		.amdhsa_system_sgpr_private_segment_wavefront_offset 0
		.amdhsa_system_sgpr_workgroup_id_x 1
		.amdhsa_system_sgpr_workgroup_id_y 0
		.amdhsa_system_sgpr_workgroup_id_z 0
		.amdhsa_system_sgpr_workgroup_info 0
		.amdhsa_system_vgpr_workitem_id 0
		.amdhsa_next_free_vgpr 12
		.amdhsa_next_free_sgpr 24
		.amdhsa_accum_offset 12
		.amdhsa_reserve_vcc 1
		.amdhsa_reserve_flat_scratch 0
		.amdhsa_float_round_mode_32 0
		.amdhsa_float_round_mode_16_64 0
		.amdhsa_float_denorm_mode_32 3
		.amdhsa_float_denorm_mode_16_64 3
		.amdhsa_dx10_clamp 1
		.amdhsa_ieee_mode 1
		.amdhsa_fp16_overflow 0
		.amdhsa_tg_split 0
		.amdhsa_exception_fp_ieee_invalid_op 0
		.amdhsa_exception_fp_denorm_src 0
		.amdhsa_exception_fp_ieee_div_zero 0
		.amdhsa_exception_fp_ieee_overflow 0
		.amdhsa_exception_fp_ieee_underflow 0
		.amdhsa_exception_fp_ieee_inexact 0
		.amdhsa_exception_int_div_zero 0
	.end_amdhsa_kernel
	.section	.text._ZN7rocprim17ROCPRIM_400000_NS6detail17trampoline_kernelINS0_14default_configENS1_38merge_sort_block_merge_config_selectorIjN6thrust23THRUST_200600_302600_NS5tupleIffNS6_9null_typeES8_S8_S8_S8_S8_S8_S8_EEEEZZNS1_27merge_sort_block_merge_implIS3_NS6_6detail15normal_iteratorINS6_10device_ptrIjEEEENSD_INSE_IS9_EEEEjNS1_19radix_merge_compareILb0ELb0EjNS0_19identity_decomposerEEEEE10hipError_tT0_T1_T2_jT3_P12ihipStream_tbPNSt15iterator_traitsISN_E10value_typeEPNST_ISO_E10value_typeEPSP_NS1_7vsmem_tEENKUlT_SN_SO_SP_E_clIPjSG_PS9_SI_EESM_S12_SN_SO_SP_EUlS12_E1_NS1_11comp_targetILNS1_3genE4ELNS1_11target_archE910ELNS1_3gpuE8ELNS1_3repE0EEENS1_36merge_oddeven_config_static_selectorELNS0_4arch9wavefront6targetE1EEEvSO_,"axG",@progbits,_ZN7rocprim17ROCPRIM_400000_NS6detail17trampoline_kernelINS0_14default_configENS1_38merge_sort_block_merge_config_selectorIjN6thrust23THRUST_200600_302600_NS5tupleIffNS6_9null_typeES8_S8_S8_S8_S8_S8_S8_EEEEZZNS1_27merge_sort_block_merge_implIS3_NS6_6detail15normal_iteratorINS6_10device_ptrIjEEEENSD_INSE_IS9_EEEEjNS1_19radix_merge_compareILb0ELb0EjNS0_19identity_decomposerEEEEE10hipError_tT0_T1_T2_jT3_P12ihipStream_tbPNSt15iterator_traitsISN_E10value_typeEPNST_ISO_E10value_typeEPSP_NS1_7vsmem_tEENKUlT_SN_SO_SP_E_clIPjSG_PS9_SI_EESM_S12_SN_SO_SP_EUlS12_E1_NS1_11comp_targetILNS1_3genE4ELNS1_11target_archE910ELNS1_3gpuE8ELNS1_3repE0EEENS1_36merge_oddeven_config_static_selectorELNS0_4arch9wavefront6targetE1EEEvSO_,comdat
.Lfunc_end44:
	.size	_ZN7rocprim17ROCPRIM_400000_NS6detail17trampoline_kernelINS0_14default_configENS1_38merge_sort_block_merge_config_selectorIjN6thrust23THRUST_200600_302600_NS5tupleIffNS6_9null_typeES8_S8_S8_S8_S8_S8_S8_EEEEZZNS1_27merge_sort_block_merge_implIS3_NS6_6detail15normal_iteratorINS6_10device_ptrIjEEEENSD_INSE_IS9_EEEEjNS1_19radix_merge_compareILb0ELb0EjNS0_19identity_decomposerEEEEE10hipError_tT0_T1_T2_jT3_P12ihipStream_tbPNSt15iterator_traitsISN_E10value_typeEPNST_ISO_E10value_typeEPSP_NS1_7vsmem_tEENKUlT_SN_SO_SP_E_clIPjSG_PS9_SI_EESM_S12_SN_SO_SP_EUlS12_E1_NS1_11comp_targetILNS1_3genE4ELNS1_11target_archE910ELNS1_3gpuE8ELNS1_3repE0EEENS1_36merge_oddeven_config_static_selectorELNS0_4arch9wavefront6targetE1EEEvSO_, .Lfunc_end44-_ZN7rocprim17ROCPRIM_400000_NS6detail17trampoline_kernelINS0_14default_configENS1_38merge_sort_block_merge_config_selectorIjN6thrust23THRUST_200600_302600_NS5tupleIffNS6_9null_typeES8_S8_S8_S8_S8_S8_S8_EEEEZZNS1_27merge_sort_block_merge_implIS3_NS6_6detail15normal_iteratorINS6_10device_ptrIjEEEENSD_INSE_IS9_EEEEjNS1_19radix_merge_compareILb0ELb0EjNS0_19identity_decomposerEEEEE10hipError_tT0_T1_T2_jT3_P12ihipStream_tbPNSt15iterator_traitsISN_E10value_typeEPNST_ISO_E10value_typeEPSP_NS1_7vsmem_tEENKUlT_SN_SO_SP_E_clIPjSG_PS9_SI_EESM_S12_SN_SO_SP_EUlS12_E1_NS1_11comp_targetILNS1_3genE4ELNS1_11target_archE910ELNS1_3gpuE8ELNS1_3repE0EEENS1_36merge_oddeven_config_static_selectorELNS0_4arch9wavefront6targetE1EEEvSO_
                                        ; -- End function
	.section	.AMDGPU.csdata,"",@progbits
; Kernel info:
; codeLenInByte = 668
; NumSgprs: 28
; NumVgprs: 12
; NumAgprs: 0
; TotalNumVgprs: 12
; ScratchSize: 0
; MemoryBound: 0
; FloatMode: 240
; IeeeMode: 1
; LDSByteSize: 0 bytes/workgroup (compile time only)
; SGPRBlocks: 3
; VGPRBlocks: 1
; NumSGPRsForWavesPerEU: 28
; NumVGPRsForWavesPerEU: 12
; AccumOffset: 12
; Occupancy: 8
; WaveLimiterHint : 0
; COMPUTE_PGM_RSRC2:SCRATCH_EN: 0
; COMPUTE_PGM_RSRC2:USER_SGPR: 6
; COMPUTE_PGM_RSRC2:TRAP_HANDLER: 0
; COMPUTE_PGM_RSRC2:TGID_X_EN: 1
; COMPUTE_PGM_RSRC2:TGID_Y_EN: 0
; COMPUTE_PGM_RSRC2:TGID_Z_EN: 0
; COMPUTE_PGM_RSRC2:TIDIG_COMP_CNT: 0
; COMPUTE_PGM_RSRC3_GFX90A:ACCUM_OFFSET: 2
; COMPUTE_PGM_RSRC3_GFX90A:TG_SPLIT: 0
	.section	.text._ZN7rocprim17ROCPRIM_400000_NS6detail17trampoline_kernelINS0_14default_configENS1_38merge_sort_block_merge_config_selectorIjN6thrust23THRUST_200600_302600_NS5tupleIffNS6_9null_typeES8_S8_S8_S8_S8_S8_S8_EEEEZZNS1_27merge_sort_block_merge_implIS3_NS6_6detail15normal_iteratorINS6_10device_ptrIjEEEENSD_INSE_IS9_EEEEjNS1_19radix_merge_compareILb0ELb0EjNS0_19identity_decomposerEEEEE10hipError_tT0_T1_T2_jT3_P12ihipStream_tbPNSt15iterator_traitsISN_E10value_typeEPNST_ISO_E10value_typeEPSP_NS1_7vsmem_tEENKUlT_SN_SO_SP_E_clIPjSG_PS9_SI_EESM_S12_SN_SO_SP_EUlS12_E1_NS1_11comp_targetILNS1_3genE3ELNS1_11target_archE908ELNS1_3gpuE7ELNS1_3repE0EEENS1_36merge_oddeven_config_static_selectorELNS0_4arch9wavefront6targetE1EEEvSO_,"axG",@progbits,_ZN7rocprim17ROCPRIM_400000_NS6detail17trampoline_kernelINS0_14default_configENS1_38merge_sort_block_merge_config_selectorIjN6thrust23THRUST_200600_302600_NS5tupleIffNS6_9null_typeES8_S8_S8_S8_S8_S8_S8_EEEEZZNS1_27merge_sort_block_merge_implIS3_NS6_6detail15normal_iteratorINS6_10device_ptrIjEEEENSD_INSE_IS9_EEEEjNS1_19radix_merge_compareILb0ELb0EjNS0_19identity_decomposerEEEEE10hipError_tT0_T1_T2_jT3_P12ihipStream_tbPNSt15iterator_traitsISN_E10value_typeEPNST_ISO_E10value_typeEPSP_NS1_7vsmem_tEENKUlT_SN_SO_SP_E_clIPjSG_PS9_SI_EESM_S12_SN_SO_SP_EUlS12_E1_NS1_11comp_targetILNS1_3genE3ELNS1_11target_archE908ELNS1_3gpuE7ELNS1_3repE0EEENS1_36merge_oddeven_config_static_selectorELNS0_4arch9wavefront6targetE1EEEvSO_,comdat
	.protected	_ZN7rocprim17ROCPRIM_400000_NS6detail17trampoline_kernelINS0_14default_configENS1_38merge_sort_block_merge_config_selectorIjN6thrust23THRUST_200600_302600_NS5tupleIffNS6_9null_typeES8_S8_S8_S8_S8_S8_S8_EEEEZZNS1_27merge_sort_block_merge_implIS3_NS6_6detail15normal_iteratorINS6_10device_ptrIjEEEENSD_INSE_IS9_EEEEjNS1_19radix_merge_compareILb0ELb0EjNS0_19identity_decomposerEEEEE10hipError_tT0_T1_T2_jT3_P12ihipStream_tbPNSt15iterator_traitsISN_E10value_typeEPNST_ISO_E10value_typeEPSP_NS1_7vsmem_tEENKUlT_SN_SO_SP_E_clIPjSG_PS9_SI_EESM_S12_SN_SO_SP_EUlS12_E1_NS1_11comp_targetILNS1_3genE3ELNS1_11target_archE908ELNS1_3gpuE7ELNS1_3repE0EEENS1_36merge_oddeven_config_static_selectorELNS0_4arch9wavefront6targetE1EEEvSO_ ; -- Begin function _ZN7rocprim17ROCPRIM_400000_NS6detail17trampoline_kernelINS0_14default_configENS1_38merge_sort_block_merge_config_selectorIjN6thrust23THRUST_200600_302600_NS5tupleIffNS6_9null_typeES8_S8_S8_S8_S8_S8_S8_EEEEZZNS1_27merge_sort_block_merge_implIS3_NS6_6detail15normal_iteratorINS6_10device_ptrIjEEEENSD_INSE_IS9_EEEEjNS1_19radix_merge_compareILb0ELb0EjNS0_19identity_decomposerEEEEE10hipError_tT0_T1_T2_jT3_P12ihipStream_tbPNSt15iterator_traitsISN_E10value_typeEPNST_ISO_E10value_typeEPSP_NS1_7vsmem_tEENKUlT_SN_SO_SP_E_clIPjSG_PS9_SI_EESM_S12_SN_SO_SP_EUlS12_E1_NS1_11comp_targetILNS1_3genE3ELNS1_11target_archE908ELNS1_3gpuE7ELNS1_3repE0EEENS1_36merge_oddeven_config_static_selectorELNS0_4arch9wavefront6targetE1EEEvSO_
	.globl	_ZN7rocprim17ROCPRIM_400000_NS6detail17trampoline_kernelINS0_14default_configENS1_38merge_sort_block_merge_config_selectorIjN6thrust23THRUST_200600_302600_NS5tupleIffNS6_9null_typeES8_S8_S8_S8_S8_S8_S8_EEEEZZNS1_27merge_sort_block_merge_implIS3_NS6_6detail15normal_iteratorINS6_10device_ptrIjEEEENSD_INSE_IS9_EEEEjNS1_19radix_merge_compareILb0ELb0EjNS0_19identity_decomposerEEEEE10hipError_tT0_T1_T2_jT3_P12ihipStream_tbPNSt15iterator_traitsISN_E10value_typeEPNST_ISO_E10value_typeEPSP_NS1_7vsmem_tEENKUlT_SN_SO_SP_E_clIPjSG_PS9_SI_EESM_S12_SN_SO_SP_EUlS12_E1_NS1_11comp_targetILNS1_3genE3ELNS1_11target_archE908ELNS1_3gpuE7ELNS1_3repE0EEENS1_36merge_oddeven_config_static_selectorELNS0_4arch9wavefront6targetE1EEEvSO_
	.p2align	8
	.type	_ZN7rocprim17ROCPRIM_400000_NS6detail17trampoline_kernelINS0_14default_configENS1_38merge_sort_block_merge_config_selectorIjN6thrust23THRUST_200600_302600_NS5tupleIffNS6_9null_typeES8_S8_S8_S8_S8_S8_S8_EEEEZZNS1_27merge_sort_block_merge_implIS3_NS6_6detail15normal_iteratorINS6_10device_ptrIjEEEENSD_INSE_IS9_EEEEjNS1_19radix_merge_compareILb0ELb0EjNS0_19identity_decomposerEEEEE10hipError_tT0_T1_T2_jT3_P12ihipStream_tbPNSt15iterator_traitsISN_E10value_typeEPNST_ISO_E10value_typeEPSP_NS1_7vsmem_tEENKUlT_SN_SO_SP_E_clIPjSG_PS9_SI_EESM_S12_SN_SO_SP_EUlS12_E1_NS1_11comp_targetILNS1_3genE3ELNS1_11target_archE908ELNS1_3gpuE7ELNS1_3repE0EEENS1_36merge_oddeven_config_static_selectorELNS0_4arch9wavefront6targetE1EEEvSO_,@function
_ZN7rocprim17ROCPRIM_400000_NS6detail17trampoline_kernelINS0_14default_configENS1_38merge_sort_block_merge_config_selectorIjN6thrust23THRUST_200600_302600_NS5tupleIffNS6_9null_typeES8_S8_S8_S8_S8_S8_S8_EEEEZZNS1_27merge_sort_block_merge_implIS3_NS6_6detail15normal_iteratorINS6_10device_ptrIjEEEENSD_INSE_IS9_EEEEjNS1_19radix_merge_compareILb0ELb0EjNS0_19identity_decomposerEEEEE10hipError_tT0_T1_T2_jT3_P12ihipStream_tbPNSt15iterator_traitsISN_E10value_typeEPNST_ISO_E10value_typeEPSP_NS1_7vsmem_tEENKUlT_SN_SO_SP_E_clIPjSG_PS9_SI_EESM_S12_SN_SO_SP_EUlS12_E1_NS1_11comp_targetILNS1_3genE3ELNS1_11target_archE908ELNS1_3gpuE7ELNS1_3repE0EEENS1_36merge_oddeven_config_static_selectorELNS0_4arch9wavefront6targetE1EEEvSO_: ; @_ZN7rocprim17ROCPRIM_400000_NS6detail17trampoline_kernelINS0_14default_configENS1_38merge_sort_block_merge_config_selectorIjN6thrust23THRUST_200600_302600_NS5tupleIffNS6_9null_typeES8_S8_S8_S8_S8_S8_S8_EEEEZZNS1_27merge_sort_block_merge_implIS3_NS6_6detail15normal_iteratorINS6_10device_ptrIjEEEENSD_INSE_IS9_EEEEjNS1_19radix_merge_compareILb0ELb0EjNS0_19identity_decomposerEEEEE10hipError_tT0_T1_T2_jT3_P12ihipStream_tbPNSt15iterator_traitsISN_E10value_typeEPNST_ISO_E10value_typeEPSP_NS1_7vsmem_tEENKUlT_SN_SO_SP_E_clIPjSG_PS9_SI_EESM_S12_SN_SO_SP_EUlS12_E1_NS1_11comp_targetILNS1_3genE3ELNS1_11target_archE908ELNS1_3gpuE7ELNS1_3repE0EEENS1_36merge_oddeven_config_static_selectorELNS0_4arch9wavefront6targetE1EEEvSO_
; %bb.0:
	.section	.rodata,"a",@progbits
	.p2align	6, 0x0
	.amdhsa_kernel _ZN7rocprim17ROCPRIM_400000_NS6detail17trampoline_kernelINS0_14default_configENS1_38merge_sort_block_merge_config_selectorIjN6thrust23THRUST_200600_302600_NS5tupleIffNS6_9null_typeES8_S8_S8_S8_S8_S8_S8_EEEEZZNS1_27merge_sort_block_merge_implIS3_NS6_6detail15normal_iteratorINS6_10device_ptrIjEEEENSD_INSE_IS9_EEEEjNS1_19radix_merge_compareILb0ELb0EjNS0_19identity_decomposerEEEEE10hipError_tT0_T1_T2_jT3_P12ihipStream_tbPNSt15iterator_traitsISN_E10value_typeEPNST_ISO_E10value_typeEPSP_NS1_7vsmem_tEENKUlT_SN_SO_SP_E_clIPjSG_PS9_SI_EESM_S12_SN_SO_SP_EUlS12_E1_NS1_11comp_targetILNS1_3genE3ELNS1_11target_archE908ELNS1_3gpuE7ELNS1_3repE0EEENS1_36merge_oddeven_config_static_selectorELNS0_4arch9wavefront6targetE1EEEvSO_
		.amdhsa_group_segment_fixed_size 0
		.amdhsa_private_segment_fixed_size 0
		.amdhsa_kernarg_size 48
		.amdhsa_user_sgpr_count 6
		.amdhsa_user_sgpr_private_segment_buffer 1
		.amdhsa_user_sgpr_dispatch_ptr 0
		.amdhsa_user_sgpr_queue_ptr 0
		.amdhsa_user_sgpr_kernarg_segment_ptr 1
		.amdhsa_user_sgpr_dispatch_id 0
		.amdhsa_user_sgpr_flat_scratch_init 0
		.amdhsa_user_sgpr_kernarg_preload_length 0
		.amdhsa_user_sgpr_kernarg_preload_offset 0
		.amdhsa_user_sgpr_private_segment_size 0
		.amdhsa_uses_dynamic_stack 0
		.amdhsa_system_sgpr_private_segment_wavefront_offset 0
		.amdhsa_system_sgpr_workgroup_id_x 1
		.amdhsa_system_sgpr_workgroup_id_y 0
		.amdhsa_system_sgpr_workgroup_id_z 0
		.amdhsa_system_sgpr_workgroup_info 0
		.amdhsa_system_vgpr_workitem_id 0
		.amdhsa_next_free_vgpr 1
		.amdhsa_next_free_sgpr 0
		.amdhsa_accum_offset 4
		.amdhsa_reserve_vcc 0
		.amdhsa_reserve_flat_scratch 0
		.amdhsa_float_round_mode_32 0
		.amdhsa_float_round_mode_16_64 0
		.amdhsa_float_denorm_mode_32 3
		.amdhsa_float_denorm_mode_16_64 3
		.amdhsa_dx10_clamp 1
		.amdhsa_ieee_mode 1
		.amdhsa_fp16_overflow 0
		.amdhsa_tg_split 0
		.amdhsa_exception_fp_ieee_invalid_op 0
		.amdhsa_exception_fp_denorm_src 0
		.amdhsa_exception_fp_ieee_div_zero 0
		.amdhsa_exception_fp_ieee_overflow 0
		.amdhsa_exception_fp_ieee_underflow 0
		.amdhsa_exception_fp_ieee_inexact 0
		.amdhsa_exception_int_div_zero 0
	.end_amdhsa_kernel
	.section	.text._ZN7rocprim17ROCPRIM_400000_NS6detail17trampoline_kernelINS0_14default_configENS1_38merge_sort_block_merge_config_selectorIjN6thrust23THRUST_200600_302600_NS5tupleIffNS6_9null_typeES8_S8_S8_S8_S8_S8_S8_EEEEZZNS1_27merge_sort_block_merge_implIS3_NS6_6detail15normal_iteratorINS6_10device_ptrIjEEEENSD_INSE_IS9_EEEEjNS1_19radix_merge_compareILb0ELb0EjNS0_19identity_decomposerEEEEE10hipError_tT0_T1_T2_jT3_P12ihipStream_tbPNSt15iterator_traitsISN_E10value_typeEPNST_ISO_E10value_typeEPSP_NS1_7vsmem_tEENKUlT_SN_SO_SP_E_clIPjSG_PS9_SI_EESM_S12_SN_SO_SP_EUlS12_E1_NS1_11comp_targetILNS1_3genE3ELNS1_11target_archE908ELNS1_3gpuE7ELNS1_3repE0EEENS1_36merge_oddeven_config_static_selectorELNS0_4arch9wavefront6targetE1EEEvSO_,"axG",@progbits,_ZN7rocprim17ROCPRIM_400000_NS6detail17trampoline_kernelINS0_14default_configENS1_38merge_sort_block_merge_config_selectorIjN6thrust23THRUST_200600_302600_NS5tupleIffNS6_9null_typeES8_S8_S8_S8_S8_S8_S8_EEEEZZNS1_27merge_sort_block_merge_implIS3_NS6_6detail15normal_iteratorINS6_10device_ptrIjEEEENSD_INSE_IS9_EEEEjNS1_19radix_merge_compareILb0ELb0EjNS0_19identity_decomposerEEEEE10hipError_tT0_T1_T2_jT3_P12ihipStream_tbPNSt15iterator_traitsISN_E10value_typeEPNST_ISO_E10value_typeEPSP_NS1_7vsmem_tEENKUlT_SN_SO_SP_E_clIPjSG_PS9_SI_EESM_S12_SN_SO_SP_EUlS12_E1_NS1_11comp_targetILNS1_3genE3ELNS1_11target_archE908ELNS1_3gpuE7ELNS1_3repE0EEENS1_36merge_oddeven_config_static_selectorELNS0_4arch9wavefront6targetE1EEEvSO_,comdat
.Lfunc_end45:
	.size	_ZN7rocprim17ROCPRIM_400000_NS6detail17trampoline_kernelINS0_14default_configENS1_38merge_sort_block_merge_config_selectorIjN6thrust23THRUST_200600_302600_NS5tupleIffNS6_9null_typeES8_S8_S8_S8_S8_S8_S8_EEEEZZNS1_27merge_sort_block_merge_implIS3_NS6_6detail15normal_iteratorINS6_10device_ptrIjEEEENSD_INSE_IS9_EEEEjNS1_19radix_merge_compareILb0ELb0EjNS0_19identity_decomposerEEEEE10hipError_tT0_T1_T2_jT3_P12ihipStream_tbPNSt15iterator_traitsISN_E10value_typeEPNST_ISO_E10value_typeEPSP_NS1_7vsmem_tEENKUlT_SN_SO_SP_E_clIPjSG_PS9_SI_EESM_S12_SN_SO_SP_EUlS12_E1_NS1_11comp_targetILNS1_3genE3ELNS1_11target_archE908ELNS1_3gpuE7ELNS1_3repE0EEENS1_36merge_oddeven_config_static_selectorELNS0_4arch9wavefront6targetE1EEEvSO_, .Lfunc_end45-_ZN7rocprim17ROCPRIM_400000_NS6detail17trampoline_kernelINS0_14default_configENS1_38merge_sort_block_merge_config_selectorIjN6thrust23THRUST_200600_302600_NS5tupleIffNS6_9null_typeES8_S8_S8_S8_S8_S8_S8_EEEEZZNS1_27merge_sort_block_merge_implIS3_NS6_6detail15normal_iteratorINS6_10device_ptrIjEEEENSD_INSE_IS9_EEEEjNS1_19radix_merge_compareILb0ELb0EjNS0_19identity_decomposerEEEEE10hipError_tT0_T1_T2_jT3_P12ihipStream_tbPNSt15iterator_traitsISN_E10value_typeEPNST_ISO_E10value_typeEPSP_NS1_7vsmem_tEENKUlT_SN_SO_SP_E_clIPjSG_PS9_SI_EESM_S12_SN_SO_SP_EUlS12_E1_NS1_11comp_targetILNS1_3genE3ELNS1_11target_archE908ELNS1_3gpuE7ELNS1_3repE0EEENS1_36merge_oddeven_config_static_selectorELNS0_4arch9wavefront6targetE1EEEvSO_
                                        ; -- End function
	.section	.AMDGPU.csdata,"",@progbits
; Kernel info:
; codeLenInByte = 0
; NumSgprs: 4
; NumVgprs: 0
; NumAgprs: 0
; TotalNumVgprs: 0
; ScratchSize: 0
; MemoryBound: 0
; FloatMode: 240
; IeeeMode: 1
; LDSByteSize: 0 bytes/workgroup (compile time only)
; SGPRBlocks: 0
; VGPRBlocks: 0
; NumSGPRsForWavesPerEU: 4
; NumVGPRsForWavesPerEU: 1
; AccumOffset: 4
; Occupancy: 8
; WaveLimiterHint : 0
; COMPUTE_PGM_RSRC2:SCRATCH_EN: 0
; COMPUTE_PGM_RSRC2:USER_SGPR: 6
; COMPUTE_PGM_RSRC2:TRAP_HANDLER: 0
; COMPUTE_PGM_RSRC2:TGID_X_EN: 1
; COMPUTE_PGM_RSRC2:TGID_Y_EN: 0
; COMPUTE_PGM_RSRC2:TGID_Z_EN: 0
; COMPUTE_PGM_RSRC2:TIDIG_COMP_CNT: 0
; COMPUTE_PGM_RSRC3_GFX90A:ACCUM_OFFSET: 0
; COMPUTE_PGM_RSRC3_GFX90A:TG_SPLIT: 0
	.section	.text._ZN7rocprim17ROCPRIM_400000_NS6detail17trampoline_kernelINS0_14default_configENS1_38merge_sort_block_merge_config_selectorIjN6thrust23THRUST_200600_302600_NS5tupleIffNS6_9null_typeES8_S8_S8_S8_S8_S8_S8_EEEEZZNS1_27merge_sort_block_merge_implIS3_NS6_6detail15normal_iteratorINS6_10device_ptrIjEEEENSD_INSE_IS9_EEEEjNS1_19radix_merge_compareILb0ELb0EjNS0_19identity_decomposerEEEEE10hipError_tT0_T1_T2_jT3_P12ihipStream_tbPNSt15iterator_traitsISN_E10value_typeEPNST_ISO_E10value_typeEPSP_NS1_7vsmem_tEENKUlT_SN_SO_SP_E_clIPjSG_PS9_SI_EESM_S12_SN_SO_SP_EUlS12_E1_NS1_11comp_targetILNS1_3genE2ELNS1_11target_archE906ELNS1_3gpuE6ELNS1_3repE0EEENS1_36merge_oddeven_config_static_selectorELNS0_4arch9wavefront6targetE1EEEvSO_,"axG",@progbits,_ZN7rocprim17ROCPRIM_400000_NS6detail17trampoline_kernelINS0_14default_configENS1_38merge_sort_block_merge_config_selectorIjN6thrust23THRUST_200600_302600_NS5tupleIffNS6_9null_typeES8_S8_S8_S8_S8_S8_S8_EEEEZZNS1_27merge_sort_block_merge_implIS3_NS6_6detail15normal_iteratorINS6_10device_ptrIjEEEENSD_INSE_IS9_EEEEjNS1_19radix_merge_compareILb0ELb0EjNS0_19identity_decomposerEEEEE10hipError_tT0_T1_T2_jT3_P12ihipStream_tbPNSt15iterator_traitsISN_E10value_typeEPNST_ISO_E10value_typeEPSP_NS1_7vsmem_tEENKUlT_SN_SO_SP_E_clIPjSG_PS9_SI_EESM_S12_SN_SO_SP_EUlS12_E1_NS1_11comp_targetILNS1_3genE2ELNS1_11target_archE906ELNS1_3gpuE6ELNS1_3repE0EEENS1_36merge_oddeven_config_static_selectorELNS0_4arch9wavefront6targetE1EEEvSO_,comdat
	.protected	_ZN7rocprim17ROCPRIM_400000_NS6detail17trampoline_kernelINS0_14default_configENS1_38merge_sort_block_merge_config_selectorIjN6thrust23THRUST_200600_302600_NS5tupleIffNS6_9null_typeES8_S8_S8_S8_S8_S8_S8_EEEEZZNS1_27merge_sort_block_merge_implIS3_NS6_6detail15normal_iteratorINS6_10device_ptrIjEEEENSD_INSE_IS9_EEEEjNS1_19radix_merge_compareILb0ELb0EjNS0_19identity_decomposerEEEEE10hipError_tT0_T1_T2_jT3_P12ihipStream_tbPNSt15iterator_traitsISN_E10value_typeEPNST_ISO_E10value_typeEPSP_NS1_7vsmem_tEENKUlT_SN_SO_SP_E_clIPjSG_PS9_SI_EESM_S12_SN_SO_SP_EUlS12_E1_NS1_11comp_targetILNS1_3genE2ELNS1_11target_archE906ELNS1_3gpuE6ELNS1_3repE0EEENS1_36merge_oddeven_config_static_selectorELNS0_4arch9wavefront6targetE1EEEvSO_ ; -- Begin function _ZN7rocprim17ROCPRIM_400000_NS6detail17trampoline_kernelINS0_14default_configENS1_38merge_sort_block_merge_config_selectorIjN6thrust23THRUST_200600_302600_NS5tupleIffNS6_9null_typeES8_S8_S8_S8_S8_S8_S8_EEEEZZNS1_27merge_sort_block_merge_implIS3_NS6_6detail15normal_iteratorINS6_10device_ptrIjEEEENSD_INSE_IS9_EEEEjNS1_19radix_merge_compareILb0ELb0EjNS0_19identity_decomposerEEEEE10hipError_tT0_T1_T2_jT3_P12ihipStream_tbPNSt15iterator_traitsISN_E10value_typeEPNST_ISO_E10value_typeEPSP_NS1_7vsmem_tEENKUlT_SN_SO_SP_E_clIPjSG_PS9_SI_EESM_S12_SN_SO_SP_EUlS12_E1_NS1_11comp_targetILNS1_3genE2ELNS1_11target_archE906ELNS1_3gpuE6ELNS1_3repE0EEENS1_36merge_oddeven_config_static_selectorELNS0_4arch9wavefront6targetE1EEEvSO_
	.globl	_ZN7rocprim17ROCPRIM_400000_NS6detail17trampoline_kernelINS0_14default_configENS1_38merge_sort_block_merge_config_selectorIjN6thrust23THRUST_200600_302600_NS5tupleIffNS6_9null_typeES8_S8_S8_S8_S8_S8_S8_EEEEZZNS1_27merge_sort_block_merge_implIS3_NS6_6detail15normal_iteratorINS6_10device_ptrIjEEEENSD_INSE_IS9_EEEEjNS1_19radix_merge_compareILb0ELb0EjNS0_19identity_decomposerEEEEE10hipError_tT0_T1_T2_jT3_P12ihipStream_tbPNSt15iterator_traitsISN_E10value_typeEPNST_ISO_E10value_typeEPSP_NS1_7vsmem_tEENKUlT_SN_SO_SP_E_clIPjSG_PS9_SI_EESM_S12_SN_SO_SP_EUlS12_E1_NS1_11comp_targetILNS1_3genE2ELNS1_11target_archE906ELNS1_3gpuE6ELNS1_3repE0EEENS1_36merge_oddeven_config_static_selectorELNS0_4arch9wavefront6targetE1EEEvSO_
	.p2align	8
	.type	_ZN7rocprim17ROCPRIM_400000_NS6detail17trampoline_kernelINS0_14default_configENS1_38merge_sort_block_merge_config_selectorIjN6thrust23THRUST_200600_302600_NS5tupleIffNS6_9null_typeES8_S8_S8_S8_S8_S8_S8_EEEEZZNS1_27merge_sort_block_merge_implIS3_NS6_6detail15normal_iteratorINS6_10device_ptrIjEEEENSD_INSE_IS9_EEEEjNS1_19radix_merge_compareILb0ELb0EjNS0_19identity_decomposerEEEEE10hipError_tT0_T1_T2_jT3_P12ihipStream_tbPNSt15iterator_traitsISN_E10value_typeEPNST_ISO_E10value_typeEPSP_NS1_7vsmem_tEENKUlT_SN_SO_SP_E_clIPjSG_PS9_SI_EESM_S12_SN_SO_SP_EUlS12_E1_NS1_11comp_targetILNS1_3genE2ELNS1_11target_archE906ELNS1_3gpuE6ELNS1_3repE0EEENS1_36merge_oddeven_config_static_selectorELNS0_4arch9wavefront6targetE1EEEvSO_,@function
_ZN7rocprim17ROCPRIM_400000_NS6detail17trampoline_kernelINS0_14default_configENS1_38merge_sort_block_merge_config_selectorIjN6thrust23THRUST_200600_302600_NS5tupleIffNS6_9null_typeES8_S8_S8_S8_S8_S8_S8_EEEEZZNS1_27merge_sort_block_merge_implIS3_NS6_6detail15normal_iteratorINS6_10device_ptrIjEEEENSD_INSE_IS9_EEEEjNS1_19radix_merge_compareILb0ELb0EjNS0_19identity_decomposerEEEEE10hipError_tT0_T1_T2_jT3_P12ihipStream_tbPNSt15iterator_traitsISN_E10value_typeEPNST_ISO_E10value_typeEPSP_NS1_7vsmem_tEENKUlT_SN_SO_SP_E_clIPjSG_PS9_SI_EESM_S12_SN_SO_SP_EUlS12_E1_NS1_11comp_targetILNS1_3genE2ELNS1_11target_archE906ELNS1_3gpuE6ELNS1_3repE0EEENS1_36merge_oddeven_config_static_selectorELNS0_4arch9wavefront6targetE1EEEvSO_: ; @_ZN7rocprim17ROCPRIM_400000_NS6detail17trampoline_kernelINS0_14default_configENS1_38merge_sort_block_merge_config_selectorIjN6thrust23THRUST_200600_302600_NS5tupleIffNS6_9null_typeES8_S8_S8_S8_S8_S8_S8_EEEEZZNS1_27merge_sort_block_merge_implIS3_NS6_6detail15normal_iteratorINS6_10device_ptrIjEEEENSD_INSE_IS9_EEEEjNS1_19radix_merge_compareILb0ELb0EjNS0_19identity_decomposerEEEEE10hipError_tT0_T1_T2_jT3_P12ihipStream_tbPNSt15iterator_traitsISN_E10value_typeEPNST_ISO_E10value_typeEPSP_NS1_7vsmem_tEENKUlT_SN_SO_SP_E_clIPjSG_PS9_SI_EESM_S12_SN_SO_SP_EUlS12_E1_NS1_11comp_targetILNS1_3genE2ELNS1_11target_archE906ELNS1_3gpuE6ELNS1_3repE0EEENS1_36merge_oddeven_config_static_selectorELNS0_4arch9wavefront6targetE1EEEvSO_
; %bb.0:
	.section	.rodata,"a",@progbits
	.p2align	6, 0x0
	.amdhsa_kernel _ZN7rocprim17ROCPRIM_400000_NS6detail17trampoline_kernelINS0_14default_configENS1_38merge_sort_block_merge_config_selectorIjN6thrust23THRUST_200600_302600_NS5tupleIffNS6_9null_typeES8_S8_S8_S8_S8_S8_S8_EEEEZZNS1_27merge_sort_block_merge_implIS3_NS6_6detail15normal_iteratorINS6_10device_ptrIjEEEENSD_INSE_IS9_EEEEjNS1_19radix_merge_compareILb0ELb0EjNS0_19identity_decomposerEEEEE10hipError_tT0_T1_T2_jT3_P12ihipStream_tbPNSt15iterator_traitsISN_E10value_typeEPNST_ISO_E10value_typeEPSP_NS1_7vsmem_tEENKUlT_SN_SO_SP_E_clIPjSG_PS9_SI_EESM_S12_SN_SO_SP_EUlS12_E1_NS1_11comp_targetILNS1_3genE2ELNS1_11target_archE906ELNS1_3gpuE6ELNS1_3repE0EEENS1_36merge_oddeven_config_static_selectorELNS0_4arch9wavefront6targetE1EEEvSO_
		.amdhsa_group_segment_fixed_size 0
		.amdhsa_private_segment_fixed_size 0
		.amdhsa_kernarg_size 48
		.amdhsa_user_sgpr_count 6
		.amdhsa_user_sgpr_private_segment_buffer 1
		.amdhsa_user_sgpr_dispatch_ptr 0
		.amdhsa_user_sgpr_queue_ptr 0
		.amdhsa_user_sgpr_kernarg_segment_ptr 1
		.amdhsa_user_sgpr_dispatch_id 0
		.amdhsa_user_sgpr_flat_scratch_init 0
		.amdhsa_user_sgpr_kernarg_preload_length 0
		.amdhsa_user_sgpr_kernarg_preload_offset 0
		.amdhsa_user_sgpr_private_segment_size 0
		.amdhsa_uses_dynamic_stack 0
		.amdhsa_system_sgpr_private_segment_wavefront_offset 0
		.amdhsa_system_sgpr_workgroup_id_x 1
		.amdhsa_system_sgpr_workgroup_id_y 0
		.amdhsa_system_sgpr_workgroup_id_z 0
		.amdhsa_system_sgpr_workgroup_info 0
		.amdhsa_system_vgpr_workitem_id 0
		.amdhsa_next_free_vgpr 1
		.amdhsa_next_free_sgpr 0
		.amdhsa_accum_offset 4
		.amdhsa_reserve_vcc 0
		.amdhsa_reserve_flat_scratch 0
		.amdhsa_float_round_mode_32 0
		.amdhsa_float_round_mode_16_64 0
		.amdhsa_float_denorm_mode_32 3
		.amdhsa_float_denorm_mode_16_64 3
		.amdhsa_dx10_clamp 1
		.amdhsa_ieee_mode 1
		.amdhsa_fp16_overflow 0
		.amdhsa_tg_split 0
		.amdhsa_exception_fp_ieee_invalid_op 0
		.amdhsa_exception_fp_denorm_src 0
		.amdhsa_exception_fp_ieee_div_zero 0
		.amdhsa_exception_fp_ieee_overflow 0
		.amdhsa_exception_fp_ieee_underflow 0
		.amdhsa_exception_fp_ieee_inexact 0
		.amdhsa_exception_int_div_zero 0
	.end_amdhsa_kernel
	.section	.text._ZN7rocprim17ROCPRIM_400000_NS6detail17trampoline_kernelINS0_14default_configENS1_38merge_sort_block_merge_config_selectorIjN6thrust23THRUST_200600_302600_NS5tupleIffNS6_9null_typeES8_S8_S8_S8_S8_S8_S8_EEEEZZNS1_27merge_sort_block_merge_implIS3_NS6_6detail15normal_iteratorINS6_10device_ptrIjEEEENSD_INSE_IS9_EEEEjNS1_19radix_merge_compareILb0ELb0EjNS0_19identity_decomposerEEEEE10hipError_tT0_T1_T2_jT3_P12ihipStream_tbPNSt15iterator_traitsISN_E10value_typeEPNST_ISO_E10value_typeEPSP_NS1_7vsmem_tEENKUlT_SN_SO_SP_E_clIPjSG_PS9_SI_EESM_S12_SN_SO_SP_EUlS12_E1_NS1_11comp_targetILNS1_3genE2ELNS1_11target_archE906ELNS1_3gpuE6ELNS1_3repE0EEENS1_36merge_oddeven_config_static_selectorELNS0_4arch9wavefront6targetE1EEEvSO_,"axG",@progbits,_ZN7rocprim17ROCPRIM_400000_NS6detail17trampoline_kernelINS0_14default_configENS1_38merge_sort_block_merge_config_selectorIjN6thrust23THRUST_200600_302600_NS5tupleIffNS6_9null_typeES8_S8_S8_S8_S8_S8_S8_EEEEZZNS1_27merge_sort_block_merge_implIS3_NS6_6detail15normal_iteratorINS6_10device_ptrIjEEEENSD_INSE_IS9_EEEEjNS1_19radix_merge_compareILb0ELb0EjNS0_19identity_decomposerEEEEE10hipError_tT0_T1_T2_jT3_P12ihipStream_tbPNSt15iterator_traitsISN_E10value_typeEPNST_ISO_E10value_typeEPSP_NS1_7vsmem_tEENKUlT_SN_SO_SP_E_clIPjSG_PS9_SI_EESM_S12_SN_SO_SP_EUlS12_E1_NS1_11comp_targetILNS1_3genE2ELNS1_11target_archE906ELNS1_3gpuE6ELNS1_3repE0EEENS1_36merge_oddeven_config_static_selectorELNS0_4arch9wavefront6targetE1EEEvSO_,comdat
.Lfunc_end46:
	.size	_ZN7rocprim17ROCPRIM_400000_NS6detail17trampoline_kernelINS0_14default_configENS1_38merge_sort_block_merge_config_selectorIjN6thrust23THRUST_200600_302600_NS5tupleIffNS6_9null_typeES8_S8_S8_S8_S8_S8_S8_EEEEZZNS1_27merge_sort_block_merge_implIS3_NS6_6detail15normal_iteratorINS6_10device_ptrIjEEEENSD_INSE_IS9_EEEEjNS1_19radix_merge_compareILb0ELb0EjNS0_19identity_decomposerEEEEE10hipError_tT0_T1_T2_jT3_P12ihipStream_tbPNSt15iterator_traitsISN_E10value_typeEPNST_ISO_E10value_typeEPSP_NS1_7vsmem_tEENKUlT_SN_SO_SP_E_clIPjSG_PS9_SI_EESM_S12_SN_SO_SP_EUlS12_E1_NS1_11comp_targetILNS1_3genE2ELNS1_11target_archE906ELNS1_3gpuE6ELNS1_3repE0EEENS1_36merge_oddeven_config_static_selectorELNS0_4arch9wavefront6targetE1EEEvSO_, .Lfunc_end46-_ZN7rocprim17ROCPRIM_400000_NS6detail17trampoline_kernelINS0_14default_configENS1_38merge_sort_block_merge_config_selectorIjN6thrust23THRUST_200600_302600_NS5tupleIffNS6_9null_typeES8_S8_S8_S8_S8_S8_S8_EEEEZZNS1_27merge_sort_block_merge_implIS3_NS6_6detail15normal_iteratorINS6_10device_ptrIjEEEENSD_INSE_IS9_EEEEjNS1_19radix_merge_compareILb0ELb0EjNS0_19identity_decomposerEEEEE10hipError_tT0_T1_T2_jT3_P12ihipStream_tbPNSt15iterator_traitsISN_E10value_typeEPNST_ISO_E10value_typeEPSP_NS1_7vsmem_tEENKUlT_SN_SO_SP_E_clIPjSG_PS9_SI_EESM_S12_SN_SO_SP_EUlS12_E1_NS1_11comp_targetILNS1_3genE2ELNS1_11target_archE906ELNS1_3gpuE6ELNS1_3repE0EEENS1_36merge_oddeven_config_static_selectorELNS0_4arch9wavefront6targetE1EEEvSO_
                                        ; -- End function
	.section	.AMDGPU.csdata,"",@progbits
; Kernel info:
; codeLenInByte = 0
; NumSgprs: 4
; NumVgprs: 0
; NumAgprs: 0
; TotalNumVgprs: 0
; ScratchSize: 0
; MemoryBound: 0
; FloatMode: 240
; IeeeMode: 1
; LDSByteSize: 0 bytes/workgroup (compile time only)
; SGPRBlocks: 0
; VGPRBlocks: 0
; NumSGPRsForWavesPerEU: 4
; NumVGPRsForWavesPerEU: 1
; AccumOffset: 4
; Occupancy: 8
; WaveLimiterHint : 0
; COMPUTE_PGM_RSRC2:SCRATCH_EN: 0
; COMPUTE_PGM_RSRC2:USER_SGPR: 6
; COMPUTE_PGM_RSRC2:TRAP_HANDLER: 0
; COMPUTE_PGM_RSRC2:TGID_X_EN: 1
; COMPUTE_PGM_RSRC2:TGID_Y_EN: 0
; COMPUTE_PGM_RSRC2:TGID_Z_EN: 0
; COMPUTE_PGM_RSRC2:TIDIG_COMP_CNT: 0
; COMPUTE_PGM_RSRC3_GFX90A:ACCUM_OFFSET: 0
; COMPUTE_PGM_RSRC3_GFX90A:TG_SPLIT: 0
	.section	.text._ZN7rocprim17ROCPRIM_400000_NS6detail17trampoline_kernelINS0_14default_configENS1_38merge_sort_block_merge_config_selectorIjN6thrust23THRUST_200600_302600_NS5tupleIffNS6_9null_typeES8_S8_S8_S8_S8_S8_S8_EEEEZZNS1_27merge_sort_block_merge_implIS3_NS6_6detail15normal_iteratorINS6_10device_ptrIjEEEENSD_INSE_IS9_EEEEjNS1_19radix_merge_compareILb0ELb0EjNS0_19identity_decomposerEEEEE10hipError_tT0_T1_T2_jT3_P12ihipStream_tbPNSt15iterator_traitsISN_E10value_typeEPNST_ISO_E10value_typeEPSP_NS1_7vsmem_tEENKUlT_SN_SO_SP_E_clIPjSG_PS9_SI_EESM_S12_SN_SO_SP_EUlS12_E1_NS1_11comp_targetILNS1_3genE9ELNS1_11target_archE1100ELNS1_3gpuE3ELNS1_3repE0EEENS1_36merge_oddeven_config_static_selectorELNS0_4arch9wavefront6targetE1EEEvSO_,"axG",@progbits,_ZN7rocprim17ROCPRIM_400000_NS6detail17trampoline_kernelINS0_14default_configENS1_38merge_sort_block_merge_config_selectorIjN6thrust23THRUST_200600_302600_NS5tupleIffNS6_9null_typeES8_S8_S8_S8_S8_S8_S8_EEEEZZNS1_27merge_sort_block_merge_implIS3_NS6_6detail15normal_iteratorINS6_10device_ptrIjEEEENSD_INSE_IS9_EEEEjNS1_19radix_merge_compareILb0ELb0EjNS0_19identity_decomposerEEEEE10hipError_tT0_T1_T2_jT3_P12ihipStream_tbPNSt15iterator_traitsISN_E10value_typeEPNST_ISO_E10value_typeEPSP_NS1_7vsmem_tEENKUlT_SN_SO_SP_E_clIPjSG_PS9_SI_EESM_S12_SN_SO_SP_EUlS12_E1_NS1_11comp_targetILNS1_3genE9ELNS1_11target_archE1100ELNS1_3gpuE3ELNS1_3repE0EEENS1_36merge_oddeven_config_static_selectorELNS0_4arch9wavefront6targetE1EEEvSO_,comdat
	.protected	_ZN7rocprim17ROCPRIM_400000_NS6detail17trampoline_kernelINS0_14default_configENS1_38merge_sort_block_merge_config_selectorIjN6thrust23THRUST_200600_302600_NS5tupleIffNS6_9null_typeES8_S8_S8_S8_S8_S8_S8_EEEEZZNS1_27merge_sort_block_merge_implIS3_NS6_6detail15normal_iteratorINS6_10device_ptrIjEEEENSD_INSE_IS9_EEEEjNS1_19radix_merge_compareILb0ELb0EjNS0_19identity_decomposerEEEEE10hipError_tT0_T1_T2_jT3_P12ihipStream_tbPNSt15iterator_traitsISN_E10value_typeEPNST_ISO_E10value_typeEPSP_NS1_7vsmem_tEENKUlT_SN_SO_SP_E_clIPjSG_PS9_SI_EESM_S12_SN_SO_SP_EUlS12_E1_NS1_11comp_targetILNS1_3genE9ELNS1_11target_archE1100ELNS1_3gpuE3ELNS1_3repE0EEENS1_36merge_oddeven_config_static_selectorELNS0_4arch9wavefront6targetE1EEEvSO_ ; -- Begin function _ZN7rocprim17ROCPRIM_400000_NS6detail17trampoline_kernelINS0_14default_configENS1_38merge_sort_block_merge_config_selectorIjN6thrust23THRUST_200600_302600_NS5tupleIffNS6_9null_typeES8_S8_S8_S8_S8_S8_S8_EEEEZZNS1_27merge_sort_block_merge_implIS3_NS6_6detail15normal_iteratorINS6_10device_ptrIjEEEENSD_INSE_IS9_EEEEjNS1_19radix_merge_compareILb0ELb0EjNS0_19identity_decomposerEEEEE10hipError_tT0_T1_T2_jT3_P12ihipStream_tbPNSt15iterator_traitsISN_E10value_typeEPNST_ISO_E10value_typeEPSP_NS1_7vsmem_tEENKUlT_SN_SO_SP_E_clIPjSG_PS9_SI_EESM_S12_SN_SO_SP_EUlS12_E1_NS1_11comp_targetILNS1_3genE9ELNS1_11target_archE1100ELNS1_3gpuE3ELNS1_3repE0EEENS1_36merge_oddeven_config_static_selectorELNS0_4arch9wavefront6targetE1EEEvSO_
	.globl	_ZN7rocprim17ROCPRIM_400000_NS6detail17trampoline_kernelINS0_14default_configENS1_38merge_sort_block_merge_config_selectorIjN6thrust23THRUST_200600_302600_NS5tupleIffNS6_9null_typeES8_S8_S8_S8_S8_S8_S8_EEEEZZNS1_27merge_sort_block_merge_implIS3_NS6_6detail15normal_iteratorINS6_10device_ptrIjEEEENSD_INSE_IS9_EEEEjNS1_19radix_merge_compareILb0ELb0EjNS0_19identity_decomposerEEEEE10hipError_tT0_T1_T2_jT3_P12ihipStream_tbPNSt15iterator_traitsISN_E10value_typeEPNST_ISO_E10value_typeEPSP_NS1_7vsmem_tEENKUlT_SN_SO_SP_E_clIPjSG_PS9_SI_EESM_S12_SN_SO_SP_EUlS12_E1_NS1_11comp_targetILNS1_3genE9ELNS1_11target_archE1100ELNS1_3gpuE3ELNS1_3repE0EEENS1_36merge_oddeven_config_static_selectorELNS0_4arch9wavefront6targetE1EEEvSO_
	.p2align	8
	.type	_ZN7rocprim17ROCPRIM_400000_NS6detail17trampoline_kernelINS0_14default_configENS1_38merge_sort_block_merge_config_selectorIjN6thrust23THRUST_200600_302600_NS5tupleIffNS6_9null_typeES8_S8_S8_S8_S8_S8_S8_EEEEZZNS1_27merge_sort_block_merge_implIS3_NS6_6detail15normal_iteratorINS6_10device_ptrIjEEEENSD_INSE_IS9_EEEEjNS1_19radix_merge_compareILb0ELb0EjNS0_19identity_decomposerEEEEE10hipError_tT0_T1_T2_jT3_P12ihipStream_tbPNSt15iterator_traitsISN_E10value_typeEPNST_ISO_E10value_typeEPSP_NS1_7vsmem_tEENKUlT_SN_SO_SP_E_clIPjSG_PS9_SI_EESM_S12_SN_SO_SP_EUlS12_E1_NS1_11comp_targetILNS1_3genE9ELNS1_11target_archE1100ELNS1_3gpuE3ELNS1_3repE0EEENS1_36merge_oddeven_config_static_selectorELNS0_4arch9wavefront6targetE1EEEvSO_,@function
_ZN7rocprim17ROCPRIM_400000_NS6detail17trampoline_kernelINS0_14default_configENS1_38merge_sort_block_merge_config_selectorIjN6thrust23THRUST_200600_302600_NS5tupleIffNS6_9null_typeES8_S8_S8_S8_S8_S8_S8_EEEEZZNS1_27merge_sort_block_merge_implIS3_NS6_6detail15normal_iteratorINS6_10device_ptrIjEEEENSD_INSE_IS9_EEEEjNS1_19radix_merge_compareILb0ELb0EjNS0_19identity_decomposerEEEEE10hipError_tT0_T1_T2_jT3_P12ihipStream_tbPNSt15iterator_traitsISN_E10value_typeEPNST_ISO_E10value_typeEPSP_NS1_7vsmem_tEENKUlT_SN_SO_SP_E_clIPjSG_PS9_SI_EESM_S12_SN_SO_SP_EUlS12_E1_NS1_11comp_targetILNS1_3genE9ELNS1_11target_archE1100ELNS1_3gpuE3ELNS1_3repE0EEENS1_36merge_oddeven_config_static_selectorELNS0_4arch9wavefront6targetE1EEEvSO_: ; @_ZN7rocprim17ROCPRIM_400000_NS6detail17trampoline_kernelINS0_14default_configENS1_38merge_sort_block_merge_config_selectorIjN6thrust23THRUST_200600_302600_NS5tupleIffNS6_9null_typeES8_S8_S8_S8_S8_S8_S8_EEEEZZNS1_27merge_sort_block_merge_implIS3_NS6_6detail15normal_iteratorINS6_10device_ptrIjEEEENSD_INSE_IS9_EEEEjNS1_19radix_merge_compareILb0ELb0EjNS0_19identity_decomposerEEEEE10hipError_tT0_T1_T2_jT3_P12ihipStream_tbPNSt15iterator_traitsISN_E10value_typeEPNST_ISO_E10value_typeEPSP_NS1_7vsmem_tEENKUlT_SN_SO_SP_E_clIPjSG_PS9_SI_EESM_S12_SN_SO_SP_EUlS12_E1_NS1_11comp_targetILNS1_3genE9ELNS1_11target_archE1100ELNS1_3gpuE3ELNS1_3repE0EEENS1_36merge_oddeven_config_static_selectorELNS0_4arch9wavefront6targetE1EEEvSO_
; %bb.0:
	.section	.rodata,"a",@progbits
	.p2align	6, 0x0
	.amdhsa_kernel _ZN7rocprim17ROCPRIM_400000_NS6detail17trampoline_kernelINS0_14default_configENS1_38merge_sort_block_merge_config_selectorIjN6thrust23THRUST_200600_302600_NS5tupleIffNS6_9null_typeES8_S8_S8_S8_S8_S8_S8_EEEEZZNS1_27merge_sort_block_merge_implIS3_NS6_6detail15normal_iteratorINS6_10device_ptrIjEEEENSD_INSE_IS9_EEEEjNS1_19radix_merge_compareILb0ELb0EjNS0_19identity_decomposerEEEEE10hipError_tT0_T1_T2_jT3_P12ihipStream_tbPNSt15iterator_traitsISN_E10value_typeEPNST_ISO_E10value_typeEPSP_NS1_7vsmem_tEENKUlT_SN_SO_SP_E_clIPjSG_PS9_SI_EESM_S12_SN_SO_SP_EUlS12_E1_NS1_11comp_targetILNS1_3genE9ELNS1_11target_archE1100ELNS1_3gpuE3ELNS1_3repE0EEENS1_36merge_oddeven_config_static_selectorELNS0_4arch9wavefront6targetE1EEEvSO_
		.amdhsa_group_segment_fixed_size 0
		.amdhsa_private_segment_fixed_size 0
		.amdhsa_kernarg_size 48
		.amdhsa_user_sgpr_count 6
		.amdhsa_user_sgpr_private_segment_buffer 1
		.amdhsa_user_sgpr_dispatch_ptr 0
		.amdhsa_user_sgpr_queue_ptr 0
		.amdhsa_user_sgpr_kernarg_segment_ptr 1
		.amdhsa_user_sgpr_dispatch_id 0
		.amdhsa_user_sgpr_flat_scratch_init 0
		.amdhsa_user_sgpr_kernarg_preload_length 0
		.amdhsa_user_sgpr_kernarg_preload_offset 0
		.amdhsa_user_sgpr_private_segment_size 0
		.amdhsa_uses_dynamic_stack 0
		.amdhsa_system_sgpr_private_segment_wavefront_offset 0
		.amdhsa_system_sgpr_workgroup_id_x 1
		.amdhsa_system_sgpr_workgroup_id_y 0
		.amdhsa_system_sgpr_workgroup_id_z 0
		.amdhsa_system_sgpr_workgroup_info 0
		.amdhsa_system_vgpr_workitem_id 0
		.amdhsa_next_free_vgpr 1
		.amdhsa_next_free_sgpr 0
		.amdhsa_accum_offset 4
		.amdhsa_reserve_vcc 0
		.amdhsa_reserve_flat_scratch 0
		.amdhsa_float_round_mode_32 0
		.amdhsa_float_round_mode_16_64 0
		.amdhsa_float_denorm_mode_32 3
		.amdhsa_float_denorm_mode_16_64 3
		.amdhsa_dx10_clamp 1
		.amdhsa_ieee_mode 1
		.amdhsa_fp16_overflow 0
		.amdhsa_tg_split 0
		.amdhsa_exception_fp_ieee_invalid_op 0
		.amdhsa_exception_fp_denorm_src 0
		.amdhsa_exception_fp_ieee_div_zero 0
		.amdhsa_exception_fp_ieee_overflow 0
		.amdhsa_exception_fp_ieee_underflow 0
		.amdhsa_exception_fp_ieee_inexact 0
		.amdhsa_exception_int_div_zero 0
	.end_amdhsa_kernel
	.section	.text._ZN7rocprim17ROCPRIM_400000_NS6detail17trampoline_kernelINS0_14default_configENS1_38merge_sort_block_merge_config_selectorIjN6thrust23THRUST_200600_302600_NS5tupleIffNS6_9null_typeES8_S8_S8_S8_S8_S8_S8_EEEEZZNS1_27merge_sort_block_merge_implIS3_NS6_6detail15normal_iteratorINS6_10device_ptrIjEEEENSD_INSE_IS9_EEEEjNS1_19radix_merge_compareILb0ELb0EjNS0_19identity_decomposerEEEEE10hipError_tT0_T1_T2_jT3_P12ihipStream_tbPNSt15iterator_traitsISN_E10value_typeEPNST_ISO_E10value_typeEPSP_NS1_7vsmem_tEENKUlT_SN_SO_SP_E_clIPjSG_PS9_SI_EESM_S12_SN_SO_SP_EUlS12_E1_NS1_11comp_targetILNS1_3genE9ELNS1_11target_archE1100ELNS1_3gpuE3ELNS1_3repE0EEENS1_36merge_oddeven_config_static_selectorELNS0_4arch9wavefront6targetE1EEEvSO_,"axG",@progbits,_ZN7rocprim17ROCPRIM_400000_NS6detail17trampoline_kernelINS0_14default_configENS1_38merge_sort_block_merge_config_selectorIjN6thrust23THRUST_200600_302600_NS5tupleIffNS6_9null_typeES8_S8_S8_S8_S8_S8_S8_EEEEZZNS1_27merge_sort_block_merge_implIS3_NS6_6detail15normal_iteratorINS6_10device_ptrIjEEEENSD_INSE_IS9_EEEEjNS1_19radix_merge_compareILb0ELb0EjNS0_19identity_decomposerEEEEE10hipError_tT0_T1_T2_jT3_P12ihipStream_tbPNSt15iterator_traitsISN_E10value_typeEPNST_ISO_E10value_typeEPSP_NS1_7vsmem_tEENKUlT_SN_SO_SP_E_clIPjSG_PS9_SI_EESM_S12_SN_SO_SP_EUlS12_E1_NS1_11comp_targetILNS1_3genE9ELNS1_11target_archE1100ELNS1_3gpuE3ELNS1_3repE0EEENS1_36merge_oddeven_config_static_selectorELNS0_4arch9wavefront6targetE1EEEvSO_,comdat
.Lfunc_end47:
	.size	_ZN7rocprim17ROCPRIM_400000_NS6detail17trampoline_kernelINS0_14default_configENS1_38merge_sort_block_merge_config_selectorIjN6thrust23THRUST_200600_302600_NS5tupleIffNS6_9null_typeES8_S8_S8_S8_S8_S8_S8_EEEEZZNS1_27merge_sort_block_merge_implIS3_NS6_6detail15normal_iteratorINS6_10device_ptrIjEEEENSD_INSE_IS9_EEEEjNS1_19radix_merge_compareILb0ELb0EjNS0_19identity_decomposerEEEEE10hipError_tT0_T1_T2_jT3_P12ihipStream_tbPNSt15iterator_traitsISN_E10value_typeEPNST_ISO_E10value_typeEPSP_NS1_7vsmem_tEENKUlT_SN_SO_SP_E_clIPjSG_PS9_SI_EESM_S12_SN_SO_SP_EUlS12_E1_NS1_11comp_targetILNS1_3genE9ELNS1_11target_archE1100ELNS1_3gpuE3ELNS1_3repE0EEENS1_36merge_oddeven_config_static_selectorELNS0_4arch9wavefront6targetE1EEEvSO_, .Lfunc_end47-_ZN7rocprim17ROCPRIM_400000_NS6detail17trampoline_kernelINS0_14default_configENS1_38merge_sort_block_merge_config_selectorIjN6thrust23THRUST_200600_302600_NS5tupleIffNS6_9null_typeES8_S8_S8_S8_S8_S8_S8_EEEEZZNS1_27merge_sort_block_merge_implIS3_NS6_6detail15normal_iteratorINS6_10device_ptrIjEEEENSD_INSE_IS9_EEEEjNS1_19radix_merge_compareILb0ELb0EjNS0_19identity_decomposerEEEEE10hipError_tT0_T1_T2_jT3_P12ihipStream_tbPNSt15iterator_traitsISN_E10value_typeEPNST_ISO_E10value_typeEPSP_NS1_7vsmem_tEENKUlT_SN_SO_SP_E_clIPjSG_PS9_SI_EESM_S12_SN_SO_SP_EUlS12_E1_NS1_11comp_targetILNS1_3genE9ELNS1_11target_archE1100ELNS1_3gpuE3ELNS1_3repE0EEENS1_36merge_oddeven_config_static_selectorELNS0_4arch9wavefront6targetE1EEEvSO_
                                        ; -- End function
	.section	.AMDGPU.csdata,"",@progbits
; Kernel info:
; codeLenInByte = 0
; NumSgprs: 4
; NumVgprs: 0
; NumAgprs: 0
; TotalNumVgprs: 0
; ScratchSize: 0
; MemoryBound: 0
; FloatMode: 240
; IeeeMode: 1
; LDSByteSize: 0 bytes/workgroup (compile time only)
; SGPRBlocks: 0
; VGPRBlocks: 0
; NumSGPRsForWavesPerEU: 4
; NumVGPRsForWavesPerEU: 1
; AccumOffset: 4
; Occupancy: 8
; WaveLimiterHint : 0
; COMPUTE_PGM_RSRC2:SCRATCH_EN: 0
; COMPUTE_PGM_RSRC2:USER_SGPR: 6
; COMPUTE_PGM_RSRC2:TRAP_HANDLER: 0
; COMPUTE_PGM_RSRC2:TGID_X_EN: 1
; COMPUTE_PGM_RSRC2:TGID_Y_EN: 0
; COMPUTE_PGM_RSRC2:TGID_Z_EN: 0
; COMPUTE_PGM_RSRC2:TIDIG_COMP_CNT: 0
; COMPUTE_PGM_RSRC3_GFX90A:ACCUM_OFFSET: 0
; COMPUTE_PGM_RSRC3_GFX90A:TG_SPLIT: 0
	.section	.text._ZN7rocprim17ROCPRIM_400000_NS6detail17trampoline_kernelINS0_14default_configENS1_38merge_sort_block_merge_config_selectorIjN6thrust23THRUST_200600_302600_NS5tupleIffNS6_9null_typeES8_S8_S8_S8_S8_S8_S8_EEEEZZNS1_27merge_sort_block_merge_implIS3_NS6_6detail15normal_iteratorINS6_10device_ptrIjEEEENSD_INSE_IS9_EEEEjNS1_19radix_merge_compareILb0ELb0EjNS0_19identity_decomposerEEEEE10hipError_tT0_T1_T2_jT3_P12ihipStream_tbPNSt15iterator_traitsISN_E10value_typeEPNST_ISO_E10value_typeEPSP_NS1_7vsmem_tEENKUlT_SN_SO_SP_E_clIPjSG_PS9_SI_EESM_S12_SN_SO_SP_EUlS12_E1_NS1_11comp_targetILNS1_3genE8ELNS1_11target_archE1030ELNS1_3gpuE2ELNS1_3repE0EEENS1_36merge_oddeven_config_static_selectorELNS0_4arch9wavefront6targetE1EEEvSO_,"axG",@progbits,_ZN7rocprim17ROCPRIM_400000_NS6detail17trampoline_kernelINS0_14default_configENS1_38merge_sort_block_merge_config_selectorIjN6thrust23THRUST_200600_302600_NS5tupleIffNS6_9null_typeES8_S8_S8_S8_S8_S8_S8_EEEEZZNS1_27merge_sort_block_merge_implIS3_NS6_6detail15normal_iteratorINS6_10device_ptrIjEEEENSD_INSE_IS9_EEEEjNS1_19radix_merge_compareILb0ELb0EjNS0_19identity_decomposerEEEEE10hipError_tT0_T1_T2_jT3_P12ihipStream_tbPNSt15iterator_traitsISN_E10value_typeEPNST_ISO_E10value_typeEPSP_NS1_7vsmem_tEENKUlT_SN_SO_SP_E_clIPjSG_PS9_SI_EESM_S12_SN_SO_SP_EUlS12_E1_NS1_11comp_targetILNS1_3genE8ELNS1_11target_archE1030ELNS1_3gpuE2ELNS1_3repE0EEENS1_36merge_oddeven_config_static_selectorELNS0_4arch9wavefront6targetE1EEEvSO_,comdat
	.protected	_ZN7rocprim17ROCPRIM_400000_NS6detail17trampoline_kernelINS0_14default_configENS1_38merge_sort_block_merge_config_selectorIjN6thrust23THRUST_200600_302600_NS5tupleIffNS6_9null_typeES8_S8_S8_S8_S8_S8_S8_EEEEZZNS1_27merge_sort_block_merge_implIS3_NS6_6detail15normal_iteratorINS6_10device_ptrIjEEEENSD_INSE_IS9_EEEEjNS1_19radix_merge_compareILb0ELb0EjNS0_19identity_decomposerEEEEE10hipError_tT0_T1_T2_jT3_P12ihipStream_tbPNSt15iterator_traitsISN_E10value_typeEPNST_ISO_E10value_typeEPSP_NS1_7vsmem_tEENKUlT_SN_SO_SP_E_clIPjSG_PS9_SI_EESM_S12_SN_SO_SP_EUlS12_E1_NS1_11comp_targetILNS1_3genE8ELNS1_11target_archE1030ELNS1_3gpuE2ELNS1_3repE0EEENS1_36merge_oddeven_config_static_selectorELNS0_4arch9wavefront6targetE1EEEvSO_ ; -- Begin function _ZN7rocprim17ROCPRIM_400000_NS6detail17trampoline_kernelINS0_14default_configENS1_38merge_sort_block_merge_config_selectorIjN6thrust23THRUST_200600_302600_NS5tupleIffNS6_9null_typeES8_S8_S8_S8_S8_S8_S8_EEEEZZNS1_27merge_sort_block_merge_implIS3_NS6_6detail15normal_iteratorINS6_10device_ptrIjEEEENSD_INSE_IS9_EEEEjNS1_19radix_merge_compareILb0ELb0EjNS0_19identity_decomposerEEEEE10hipError_tT0_T1_T2_jT3_P12ihipStream_tbPNSt15iterator_traitsISN_E10value_typeEPNST_ISO_E10value_typeEPSP_NS1_7vsmem_tEENKUlT_SN_SO_SP_E_clIPjSG_PS9_SI_EESM_S12_SN_SO_SP_EUlS12_E1_NS1_11comp_targetILNS1_3genE8ELNS1_11target_archE1030ELNS1_3gpuE2ELNS1_3repE0EEENS1_36merge_oddeven_config_static_selectorELNS0_4arch9wavefront6targetE1EEEvSO_
	.globl	_ZN7rocprim17ROCPRIM_400000_NS6detail17trampoline_kernelINS0_14default_configENS1_38merge_sort_block_merge_config_selectorIjN6thrust23THRUST_200600_302600_NS5tupleIffNS6_9null_typeES8_S8_S8_S8_S8_S8_S8_EEEEZZNS1_27merge_sort_block_merge_implIS3_NS6_6detail15normal_iteratorINS6_10device_ptrIjEEEENSD_INSE_IS9_EEEEjNS1_19radix_merge_compareILb0ELb0EjNS0_19identity_decomposerEEEEE10hipError_tT0_T1_T2_jT3_P12ihipStream_tbPNSt15iterator_traitsISN_E10value_typeEPNST_ISO_E10value_typeEPSP_NS1_7vsmem_tEENKUlT_SN_SO_SP_E_clIPjSG_PS9_SI_EESM_S12_SN_SO_SP_EUlS12_E1_NS1_11comp_targetILNS1_3genE8ELNS1_11target_archE1030ELNS1_3gpuE2ELNS1_3repE0EEENS1_36merge_oddeven_config_static_selectorELNS0_4arch9wavefront6targetE1EEEvSO_
	.p2align	8
	.type	_ZN7rocprim17ROCPRIM_400000_NS6detail17trampoline_kernelINS0_14default_configENS1_38merge_sort_block_merge_config_selectorIjN6thrust23THRUST_200600_302600_NS5tupleIffNS6_9null_typeES8_S8_S8_S8_S8_S8_S8_EEEEZZNS1_27merge_sort_block_merge_implIS3_NS6_6detail15normal_iteratorINS6_10device_ptrIjEEEENSD_INSE_IS9_EEEEjNS1_19radix_merge_compareILb0ELb0EjNS0_19identity_decomposerEEEEE10hipError_tT0_T1_T2_jT3_P12ihipStream_tbPNSt15iterator_traitsISN_E10value_typeEPNST_ISO_E10value_typeEPSP_NS1_7vsmem_tEENKUlT_SN_SO_SP_E_clIPjSG_PS9_SI_EESM_S12_SN_SO_SP_EUlS12_E1_NS1_11comp_targetILNS1_3genE8ELNS1_11target_archE1030ELNS1_3gpuE2ELNS1_3repE0EEENS1_36merge_oddeven_config_static_selectorELNS0_4arch9wavefront6targetE1EEEvSO_,@function
_ZN7rocprim17ROCPRIM_400000_NS6detail17trampoline_kernelINS0_14default_configENS1_38merge_sort_block_merge_config_selectorIjN6thrust23THRUST_200600_302600_NS5tupleIffNS6_9null_typeES8_S8_S8_S8_S8_S8_S8_EEEEZZNS1_27merge_sort_block_merge_implIS3_NS6_6detail15normal_iteratorINS6_10device_ptrIjEEEENSD_INSE_IS9_EEEEjNS1_19radix_merge_compareILb0ELb0EjNS0_19identity_decomposerEEEEE10hipError_tT0_T1_T2_jT3_P12ihipStream_tbPNSt15iterator_traitsISN_E10value_typeEPNST_ISO_E10value_typeEPSP_NS1_7vsmem_tEENKUlT_SN_SO_SP_E_clIPjSG_PS9_SI_EESM_S12_SN_SO_SP_EUlS12_E1_NS1_11comp_targetILNS1_3genE8ELNS1_11target_archE1030ELNS1_3gpuE2ELNS1_3repE0EEENS1_36merge_oddeven_config_static_selectorELNS0_4arch9wavefront6targetE1EEEvSO_: ; @_ZN7rocprim17ROCPRIM_400000_NS6detail17trampoline_kernelINS0_14default_configENS1_38merge_sort_block_merge_config_selectorIjN6thrust23THRUST_200600_302600_NS5tupleIffNS6_9null_typeES8_S8_S8_S8_S8_S8_S8_EEEEZZNS1_27merge_sort_block_merge_implIS3_NS6_6detail15normal_iteratorINS6_10device_ptrIjEEEENSD_INSE_IS9_EEEEjNS1_19radix_merge_compareILb0ELb0EjNS0_19identity_decomposerEEEEE10hipError_tT0_T1_T2_jT3_P12ihipStream_tbPNSt15iterator_traitsISN_E10value_typeEPNST_ISO_E10value_typeEPSP_NS1_7vsmem_tEENKUlT_SN_SO_SP_E_clIPjSG_PS9_SI_EESM_S12_SN_SO_SP_EUlS12_E1_NS1_11comp_targetILNS1_3genE8ELNS1_11target_archE1030ELNS1_3gpuE2ELNS1_3repE0EEENS1_36merge_oddeven_config_static_selectorELNS0_4arch9wavefront6targetE1EEEvSO_
; %bb.0:
	.section	.rodata,"a",@progbits
	.p2align	6, 0x0
	.amdhsa_kernel _ZN7rocprim17ROCPRIM_400000_NS6detail17trampoline_kernelINS0_14default_configENS1_38merge_sort_block_merge_config_selectorIjN6thrust23THRUST_200600_302600_NS5tupleIffNS6_9null_typeES8_S8_S8_S8_S8_S8_S8_EEEEZZNS1_27merge_sort_block_merge_implIS3_NS6_6detail15normal_iteratorINS6_10device_ptrIjEEEENSD_INSE_IS9_EEEEjNS1_19radix_merge_compareILb0ELb0EjNS0_19identity_decomposerEEEEE10hipError_tT0_T1_T2_jT3_P12ihipStream_tbPNSt15iterator_traitsISN_E10value_typeEPNST_ISO_E10value_typeEPSP_NS1_7vsmem_tEENKUlT_SN_SO_SP_E_clIPjSG_PS9_SI_EESM_S12_SN_SO_SP_EUlS12_E1_NS1_11comp_targetILNS1_3genE8ELNS1_11target_archE1030ELNS1_3gpuE2ELNS1_3repE0EEENS1_36merge_oddeven_config_static_selectorELNS0_4arch9wavefront6targetE1EEEvSO_
		.amdhsa_group_segment_fixed_size 0
		.amdhsa_private_segment_fixed_size 0
		.amdhsa_kernarg_size 48
		.amdhsa_user_sgpr_count 6
		.amdhsa_user_sgpr_private_segment_buffer 1
		.amdhsa_user_sgpr_dispatch_ptr 0
		.amdhsa_user_sgpr_queue_ptr 0
		.amdhsa_user_sgpr_kernarg_segment_ptr 1
		.amdhsa_user_sgpr_dispatch_id 0
		.amdhsa_user_sgpr_flat_scratch_init 0
		.amdhsa_user_sgpr_kernarg_preload_length 0
		.amdhsa_user_sgpr_kernarg_preload_offset 0
		.amdhsa_user_sgpr_private_segment_size 0
		.amdhsa_uses_dynamic_stack 0
		.amdhsa_system_sgpr_private_segment_wavefront_offset 0
		.amdhsa_system_sgpr_workgroup_id_x 1
		.amdhsa_system_sgpr_workgroup_id_y 0
		.amdhsa_system_sgpr_workgroup_id_z 0
		.amdhsa_system_sgpr_workgroup_info 0
		.amdhsa_system_vgpr_workitem_id 0
		.amdhsa_next_free_vgpr 1
		.amdhsa_next_free_sgpr 0
		.amdhsa_accum_offset 4
		.amdhsa_reserve_vcc 0
		.amdhsa_reserve_flat_scratch 0
		.amdhsa_float_round_mode_32 0
		.amdhsa_float_round_mode_16_64 0
		.amdhsa_float_denorm_mode_32 3
		.amdhsa_float_denorm_mode_16_64 3
		.amdhsa_dx10_clamp 1
		.amdhsa_ieee_mode 1
		.amdhsa_fp16_overflow 0
		.amdhsa_tg_split 0
		.amdhsa_exception_fp_ieee_invalid_op 0
		.amdhsa_exception_fp_denorm_src 0
		.amdhsa_exception_fp_ieee_div_zero 0
		.amdhsa_exception_fp_ieee_overflow 0
		.amdhsa_exception_fp_ieee_underflow 0
		.amdhsa_exception_fp_ieee_inexact 0
		.amdhsa_exception_int_div_zero 0
	.end_amdhsa_kernel
	.section	.text._ZN7rocprim17ROCPRIM_400000_NS6detail17trampoline_kernelINS0_14default_configENS1_38merge_sort_block_merge_config_selectorIjN6thrust23THRUST_200600_302600_NS5tupleIffNS6_9null_typeES8_S8_S8_S8_S8_S8_S8_EEEEZZNS1_27merge_sort_block_merge_implIS3_NS6_6detail15normal_iteratorINS6_10device_ptrIjEEEENSD_INSE_IS9_EEEEjNS1_19radix_merge_compareILb0ELb0EjNS0_19identity_decomposerEEEEE10hipError_tT0_T1_T2_jT3_P12ihipStream_tbPNSt15iterator_traitsISN_E10value_typeEPNST_ISO_E10value_typeEPSP_NS1_7vsmem_tEENKUlT_SN_SO_SP_E_clIPjSG_PS9_SI_EESM_S12_SN_SO_SP_EUlS12_E1_NS1_11comp_targetILNS1_3genE8ELNS1_11target_archE1030ELNS1_3gpuE2ELNS1_3repE0EEENS1_36merge_oddeven_config_static_selectorELNS0_4arch9wavefront6targetE1EEEvSO_,"axG",@progbits,_ZN7rocprim17ROCPRIM_400000_NS6detail17trampoline_kernelINS0_14default_configENS1_38merge_sort_block_merge_config_selectorIjN6thrust23THRUST_200600_302600_NS5tupleIffNS6_9null_typeES8_S8_S8_S8_S8_S8_S8_EEEEZZNS1_27merge_sort_block_merge_implIS3_NS6_6detail15normal_iteratorINS6_10device_ptrIjEEEENSD_INSE_IS9_EEEEjNS1_19radix_merge_compareILb0ELb0EjNS0_19identity_decomposerEEEEE10hipError_tT0_T1_T2_jT3_P12ihipStream_tbPNSt15iterator_traitsISN_E10value_typeEPNST_ISO_E10value_typeEPSP_NS1_7vsmem_tEENKUlT_SN_SO_SP_E_clIPjSG_PS9_SI_EESM_S12_SN_SO_SP_EUlS12_E1_NS1_11comp_targetILNS1_3genE8ELNS1_11target_archE1030ELNS1_3gpuE2ELNS1_3repE0EEENS1_36merge_oddeven_config_static_selectorELNS0_4arch9wavefront6targetE1EEEvSO_,comdat
.Lfunc_end48:
	.size	_ZN7rocprim17ROCPRIM_400000_NS6detail17trampoline_kernelINS0_14default_configENS1_38merge_sort_block_merge_config_selectorIjN6thrust23THRUST_200600_302600_NS5tupleIffNS6_9null_typeES8_S8_S8_S8_S8_S8_S8_EEEEZZNS1_27merge_sort_block_merge_implIS3_NS6_6detail15normal_iteratorINS6_10device_ptrIjEEEENSD_INSE_IS9_EEEEjNS1_19radix_merge_compareILb0ELb0EjNS0_19identity_decomposerEEEEE10hipError_tT0_T1_T2_jT3_P12ihipStream_tbPNSt15iterator_traitsISN_E10value_typeEPNST_ISO_E10value_typeEPSP_NS1_7vsmem_tEENKUlT_SN_SO_SP_E_clIPjSG_PS9_SI_EESM_S12_SN_SO_SP_EUlS12_E1_NS1_11comp_targetILNS1_3genE8ELNS1_11target_archE1030ELNS1_3gpuE2ELNS1_3repE0EEENS1_36merge_oddeven_config_static_selectorELNS0_4arch9wavefront6targetE1EEEvSO_, .Lfunc_end48-_ZN7rocprim17ROCPRIM_400000_NS6detail17trampoline_kernelINS0_14default_configENS1_38merge_sort_block_merge_config_selectorIjN6thrust23THRUST_200600_302600_NS5tupleIffNS6_9null_typeES8_S8_S8_S8_S8_S8_S8_EEEEZZNS1_27merge_sort_block_merge_implIS3_NS6_6detail15normal_iteratorINS6_10device_ptrIjEEEENSD_INSE_IS9_EEEEjNS1_19radix_merge_compareILb0ELb0EjNS0_19identity_decomposerEEEEE10hipError_tT0_T1_T2_jT3_P12ihipStream_tbPNSt15iterator_traitsISN_E10value_typeEPNST_ISO_E10value_typeEPSP_NS1_7vsmem_tEENKUlT_SN_SO_SP_E_clIPjSG_PS9_SI_EESM_S12_SN_SO_SP_EUlS12_E1_NS1_11comp_targetILNS1_3genE8ELNS1_11target_archE1030ELNS1_3gpuE2ELNS1_3repE0EEENS1_36merge_oddeven_config_static_selectorELNS0_4arch9wavefront6targetE1EEEvSO_
                                        ; -- End function
	.section	.AMDGPU.csdata,"",@progbits
; Kernel info:
; codeLenInByte = 0
; NumSgprs: 4
; NumVgprs: 0
; NumAgprs: 0
; TotalNumVgprs: 0
; ScratchSize: 0
; MemoryBound: 0
; FloatMode: 240
; IeeeMode: 1
; LDSByteSize: 0 bytes/workgroup (compile time only)
; SGPRBlocks: 0
; VGPRBlocks: 0
; NumSGPRsForWavesPerEU: 4
; NumVGPRsForWavesPerEU: 1
; AccumOffset: 4
; Occupancy: 8
; WaveLimiterHint : 0
; COMPUTE_PGM_RSRC2:SCRATCH_EN: 0
; COMPUTE_PGM_RSRC2:USER_SGPR: 6
; COMPUTE_PGM_RSRC2:TRAP_HANDLER: 0
; COMPUTE_PGM_RSRC2:TGID_X_EN: 1
; COMPUTE_PGM_RSRC2:TGID_Y_EN: 0
; COMPUTE_PGM_RSRC2:TGID_Z_EN: 0
; COMPUTE_PGM_RSRC2:TIDIG_COMP_CNT: 0
; COMPUTE_PGM_RSRC3_GFX90A:ACCUM_OFFSET: 0
; COMPUTE_PGM_RSRC3_GFX90A:TG_SPLIT: 0
	.section	.text._ZN7rocprim17ROCPRIM_400000_NS6detail17trampoline_kernelINS0_14default_configENS1_38merge_sort_block_merge_config_selectorIjN6thrust23THRUST_200600_302600_NS5tupleIffNS6_9null_typeES8_S8_S8_S8_S8_S8_S8_EEEEZZNS1_27merge_sort_block_merge_implIS3_NS6_6detail15normal_iteratorINS6_10device_ptrIjEEEENSD_INSE_IS9_EEEEjNS1_19radix_merge_compareILb0ELb0EjNS0_19identity_decomposerEEEEE10hipError_tT0_T1_T2_jT3_P12ihipStream_tbPNSt15iterator_traitsISN_E10value_typeEPNST_ISO_E10value_typeEPSP_NS1_7vsmem_tEENKUlT_SN_SO_SP_E_clISG_PjSI_PS9_EESM_S12_SN_SO_SP_EUlS12_E_NS1_11comp_targetILNS1_3genE0ELNS1_11target_archE4294967295ELNS1_3gpuE0ELNS1_3repE0EEENS1_48merge_mergepath_partition_config_static_selectorELNS0_4arch9wavefront6targetE1EEEvSO_,"axG",@progbits,_ZN7rocprim17ROCPRIM_400000_NS6detail17trampoline_kernelINS0_14default_configENS1_38merge_sort_block_merge_config_selectorIjN6thrust23THRUST_200600_302600_NS5tupleIffNS6_9null_typeES8_S8_S8_S8_S8_S8_S8_EEEEZZNS1_27merge_sort_block_merge_implIS3_NS6_6detail15normal_iteratorINS6_10device_ptrIjEEEENSD_INSE_IS9_EEEEjNS1_19radix_merge_compareILb0ELb0EjNS0_19identity_decomposerEEEEE10hipError_tT0_T1_T2_jT3_P12ihipStream_tbPNSt15iterator_traitsISN_E10value_typeEPNST_ISO_E10value_typeEPSP_NS1_7vsmem_tEENKUlT_SN_SO_SP_E_clISG_PjSI_PS9_EESM_S12_SN_SO_SP_EUlS12_E_NS1_11comp_targetILNS1_3genE0ELNS1_11target_archE4294967295ELNS1_3gpuE0ELNS1_3repE0EEENS1_48merge_mergepath_partition_config_static_selectorELNS0_4arch9wavefront6targetE1EEEvSO_,comdat
	.protected	_ZN7rocprim17ROCPRIM_400000_NS6detail17trampoline_kernelINS0_14default_configENS1_38merge_sort_block_merge_config_selectorIjN6thrust23THRUST_200600_302600_NS5tupleIffNS6_9null_typeES8_S8_S8_S8_S8_S8_S8_EEEEZZNS1_27merge_sort_block_merge_implIS3_NS6_6detail15normal_iteratorINS6_10device_ptrIjEEEENSD_INSE_IS9_EEEEjNS1_19radix_merge_compareILb0ELb0EjNS0_19identity_decomposerEEEEE10hipError_tT0_T1_T2_jT3_P12ihipStream_tbPNSt15iterator_traitsISN_E10value_typeEPNST_ISO_E10value_typeEPSP_NS1_7vsmem_tEENKUlT_SN_SO_SP_E_clISG_PjSI_PS9_EESM_S12_SN_SO_SP_EUlS12_E_NS1_11comp_targetILNS1_3genE0ELNS1_11target_archE4294967295ELNS1_3gpuE0ELNS1_3repE0EEENS1_48merge_mergepath_partition_config_static_selectorELNS0_4arch9wavefront6targetE1EEEvSO_ ; -- Begin function _ZN7rocprim17ROCPRIM_400000_NS6detail17trampoline_kernelINS0_14default_configENS1_38merge_sort_block_merge_config_selectorIjN6thrust23THRUST_200600_302600_NS5tupleIffNS6_9null_typeES8_S8_S8_S8_S8_S8_S8_EEEEZZNS1_27merge_sort_block_merge_implIS3_NS6_6detail15normal_iteratorINS6_10device_ptrIjEEEENSD_INSE_IS9_EEEEjNS1_19radix_merge_compareILb0ELb0EjNS0_19identity_decomposerEEEEE10hipError_tT0_T1_T2_jT3_P12ihipStream_tbPNSt15iterator_traitsISN_E10value_typeEPNST_ISO_E10value_typeEPSP_NS1_7vsmem_tEENKUlT_SN_SO_SP_E_clISG_PjSI_PS9_EESM_S12_SN_SO_SP_EUlS12_E_NS1_11comp_targetILNS1_3genE0ELNS1_11target_archE4294967295ELNS1_3gpuE0ELNS1_3repE0EEENS1_48merge_mergepath_partition_config_static_selectorELNS0_4arch9wavefront6targetE1EEEvSO_
	.globl	_ZN7rocprim17ROCPRIM_400000_NS6detail17trampoline_kernelINS0_14default_configENS1_38merge_sort_block_merge_config_selectorIjN6thrust23THRUST_200600_302600_NS5tupleIffNS6_9null_typeES8_S8_S8_S8_S8_S8_S8_EEEEZZNS1_27merge_sort_block_merge_implIS3_NS6_6detail15normal_iteratorINS6_10device_ptrIjEEEENSD_INSE_IS9_EEEEjNS1_19radix_merge_compareILb0ELb0EjNS0_19identity_decomposerEEEEE10hipError_tT0_T1_T2_jT3_P12ihipStream_tbPNSt15iterator_traitsISN_E10value_typeEPNST_ISO_E10value_typeEPSP_NS1_7vsmem_tEENKUlT_SN_SO_SP_E_clISG_PjSI_PS9_EESM_S12_SN_SO_SP_EUlS12_E_NS1_11comp_targetILNS1_3genE0ELNS1_11target_archE4294967295ELNS1_3gpuE0ELNS1_3repE0EEENS1_48merge_mergepath_partition_config_static_selectorELNS0_4arch9wavefront6targetE1EEEvSO_
	.p2align	8
	.type	_ZN7rocprim17ROCPRIM_400000_NS6detail17trampoline_kernelINS0_14default_configENS1_38merge_sort_block_merge_config_selectorIjN6thrust23THRUST_200600_302600_NS5tupleIffNS6_9null_typeES8_S8_S8_S8_S8_S8_S8_EEEEZZNS1_27merge_sort_block_merge_implIS3_NS6_6detail15normal_iteratorINS6_10device_ptrIjEEEENSD_INSE_IS9_EEEEjNS1_19radix_merge_compareILb0ELb0EjNS0_19identity_decomposerEEEEE10hipError_tT0_T1_T2_jT3_P12ihipStream_tbPNSt15iterator_traitsISN_E10value_typeEPNST_ISO_E10value_typeEPSP_NS1_7vsmem_tEENKUlT_SN_SO_SP_E_clISG_PjSI_PS9_EESM_S12_SN_SO_SP_EUlS12_E_NS1_11comp_targetILNS1_3genE0ELNS1_11target_archE4294967295ELNS1_3gpuE0ELNS1_3repE0EEENS1_48merge_mergepath_partition_config_static_selectorELNS0_4arch9wavefront6targetE1EEEvSO_,@function
_ZN7rocprim17ROCPRIM_400000_NS6detail17trampoline_kernelINS0_14default_configENS1_38merge_sort_block_merge_config_selectorIjN6thrust23THRUST_200600_302600_NS5tupleIffNS6_9null_typeES8_S8_S8_S8_S8_S8_S8_EEEEZZNS1_27merge_sort_block_merge_implIS3_NS6_6detail15normal_iteratorINS6_10device_ptrIjEEEENSD_INSE_IS9_EEEEjNS1_19radix_merge_compareILb0ELb0EjNS0_19identity_decomposerEEEEE10hipError_tT0_T1_T2_jT3_P12ihipStream_tbPNSt15iterator_traitsISN_E10value_typeEPNST_ISO_E10value_typeEPSP_NS1_7vsmem_tEENKUlT_SN_SO_SP_E_clISG_PjSI_PS9_EESM_S12_SN_SO_SP_EUlS12_E_NS1_11comp_targetILNS1_3genE0ELNS1_11target_archE4294967295ELNS1_3gpuE0ELNS1_3repE0EEENS1_48merge_mergepath_partition_config_static_selectorELNS0_4arch9wavefront6targetE1EEEvSO_: ; @_ZN7rocprim17ROCPRIM_400000_NS6detail17trampoline_kernelINS0_14default_configENS1_38merge_sort_block_merge_config_selectorIjN6thrust23THRUST_200600_302600_NS5tupleIffNS6_9null_typeES8_S8_S8_S8_S8_S8_S8_EEEEZZNS1_27merge_sort_block_merge_implIS3_NS6_6detail15normal_iteratorINS6_10device_ptrIjEEEENSD_INSE_IS9_EEEEjNS1_19radix_merge_compareILb0ELb0EjNS0_19identity_decomposerEEEEE10hipError_tT0_T1_T2_jT3_P12ihipStream_tbPNSt15iterator_traitsISN_E10value_typeEPNST_ISO_E10value_typeEPSP_NS1_7vsmem_tEENKUlT_SN_SO_SP_E_clISG_PjSI_PS9_EESM_S12_SN_SO_SP_EUlS12_E_NS1_11comp_targetILNS1_3genE0ELNS1_11target_archE4294967295ELNS1_3gpuE0ELNS1_3repE0EEENS1_48merge_mergepath_partition_config_static_selectorELNS0_4arch9wavefront6targetE1EEEvSO_
; %bb.0:
	.section	.rodata,"a",@progbits
	.p2align	6, 0x0
	.amdhsa_kernel _ZN7rocprim17ROCPRIM_400000_NS6detail17trampoline_kernelINS0_14default_configENS1_38merge_sort_block_merge_config_selectorIjN6thrust23THRUST_200600_302600_NS5tupleIffNS6_9null_typeES8_S8_S8_S8_S8_S8_S8_EEEEZZNS1_27merge_sort_block_merge_implIS3_NS6_6detail15normal_iteratorINS6_10device_ptrIjEEEENSD_INSE_IS9_EEEEjNS1_19radix_merge_compareILb0ELb0EjNS0_19identity_decomposerEEEEE10hipError_tT0_T1_T2_jT3_P12ihipStream_tbPNSt15iterator_traitsISN_E10value_typeEPNST_ISO_E10value_typeEPSP_NS1_7vsmem_tEENKUlT_SN_SO_SP_E_clISG_PjSI_PS9_EESM_S12_SN_SO_SP_EUlS12_E_NS1_11comp_targetILNS1_3genE0ELNS1_11target_archE4294967295ELNS1_3gpuE0ELNS1_3repE0EEENS1_48merge_mergepath_partition_config_static_selectorELNS0_4arch9wavefront6targetE1EEEvSO_
		.amdhsa_group_segment_fixed_size 0
		.amdhsa_private_segment_fixed_size 0
		.amdhsa_kernarg_size 40
		.amdhsa_user_sgpr_count 6
		.amdhsa_user_sgpr_private_segment_buffer 1
		.amdhsa_user_sgpr_dispatch_ptr 0
		.amdhsa_user_sgpr_queue_ptr 0
		.amdhsa_user_sgpr_kernarg_segment_ptr 1
		.amdhsa_user_sgpr_dispatch_id 0
		.amdhsa_user_sgpr_flat_scratch_init 0
		.amdhsa_user_sgpr_kernarg_preload_length 0
		.amdhsa_user_sgpr_kernarg_preload_offset 0
		.amdhsa_user_sgpr_private_segment_size 0
		.amdhsa_uses_dynamic_stack 0
		.amdhsa_system_sgpr_private_segment_wavefront_offset 0
		.amdhsa_system_sgpr_workgroup_id_x 1
		.amdhsa_system_sgpr_workgroup_id_y 0
		.amdhsa_system_sgpr_workgroup_id_z 0
		.amdhsa_system_sgpr_workgroup_info 0
		.amdhsa_system_vgpr_workitem_id 0
		.amdhsa_next_free_vgpr 1
		.amdhsa_next_free_sgpr 0
		.amdhsa_accum_offset 4
		.amdhsa_reserve_vcc 0
		.amdhsa_reserve_flat_scratch 0
		.amdhsa_float_round_mode_32 0
		.amdhsa_float_round_mode_16_64 0
		.amdhsa_float_denorm_mode_32 3
		.amdhsa_float_denorm_mode_16_64 3
		.amdhsa_dx10_clamp 1
		.amdhsa_ieee_mode 1
		.amdhsa_fp16_overflow 0
		.amdhsa_tg_split 0
		.amdhsa_exception_fp_ieee_invalid_op 0
		.amdhsa_exception_fp_denorm_src 0
		.amdhsa_exception_fp_ieee_div_zero 0
		.amdhsa_exception_fp_ieee_overflow 0
		.amdhsa_exception_fp_ieee_underflow 0
		.amdhsa_exception_fp_ieee_inexact 0
		.amdhsa_exception_int_div_zero 0
	.end_amdhsa_kernel
	.section	.text._ZN7rocprim17ROCPRIM_400000_NS6detail17trampoline_kernelINS0_14default_configENS1_38merge_sort_block_merge_config_selectorIjN6thrust23THRUST_200600_302600_NS5tupleIffNS6_9null_typeES8_S8_S8_S8_S8_S8_S8_EEEEZZNS1_27merge_sort_block_merge_implIS3_NS6_6detail15normal_iteratorINS6_10device_ptrIjEEEENSD_INSE_IS9_EEEEjNS1_19radix_merge_compareILb0ELb0EjNS0_19identity_decomposerEEEEE10hipError_tT0_T1_T2_jT3_P12ihipStream_tbPNSt15iterator_traitsISN_E10value_typeEPNST_ISO_E10value_typeEPSP_NS1_7vsmem_tEENKUlT_SN_SO_SP_E_clISG_PjSI_PS9_EESM_S12_SN_SO_SP_EUlS12_E_NS1_11comp_targetILNS1_3genE0ELNS1_11target_archE4294967295ELNS1_3gpuE0ELNS1_3repE0EEENS1_48merge_mergepath_partition_config_static_selectorELNS0_4arch9wavefront6targetE1EEEvSO_,"axG",@progbits,_ZN7rocprim17ROCPRIM_400000_NS6detail17trampoline_kernelINS0_14default_configENS1_38merge_sort_block_merge_config_selectorIjN6thrust23THRUST_200600_302600_NS5tupleIffNS6_9null_typeES8_S8_S8_S8_S8_S8_S8_EEEEZZNS1_27merge_sort_block_merge_implIS3_NS6_6detail15normal_iteratorINS6_10device_ptrIjEEEENSD_INSE_IS9_EEEEjNS1_19radix_merge_compareILb0ELb0EjNS0_19identity_decomposerEEEEE10hipError_tT0_T1_T2_jT3_P12ihipStream_tbPNSt15iterator_traitsISN_E10value_typeEPNST_ISO_E10value_typeEPSP_NS1_7vsmem_tEENKUlT_SN_SO_SP_E_clISG_PjSI_PS9_EESM_S12_SN_SO_SP_EUlS12_E_NS1_11comp_targetILNS1_3genE0ELNS1_11target_archE4294967295ELNS1_3gpuE0ELNS1_3repE0EEENS1_48merge_mergepath_partition_config_static_selectorELNS0_4arch9wavefront6targetE1EEEvSO_,comdat
.Lfunc_end49:
	.size	_ZN7rocprim17ROCPRIM_400000_NS6detail17trampoline_kernelINS0_14default_configENS1_38merge_sort_block_merge_config_selectorIjN6thrust23THRUST_200600_302600_NS5tupleIffNS6_9null_typeES8_S8_S8_S8_S8_S8_S8_EEEEZZNS1_27merge_sort_block_merge_implIS3_NS6_6detail15normal_iteratorINS6_10device_ptrIjEEEENSD_INSE_IS9_EEEEjNS1_19radix_merge_compareILb0ELb0EjNS0_19identity_decomposerEEEEE10hipError_tT0_T1_T2_jT3_P12ihipStream_tbPNSt15iterator_traitsISN_E10value_typeEPNST_ISO_E10value_typeEPSP_NS1_7vsmem_tEENKUlT_SN_SO_SP_E_clISG_PjSI_PS9_EESM_S12_SN_SO_SP_EUlS12_E_NS1_11comp_targetILNS1_3genE0ELNS1_11target_archE4294967295ELNS1_3gpuE0ELNS1_3repE0EEENS1_48merge_mergepath_partition_config_static_selectorELNS0_4arch9wavefront6targetE1EEEvSO_, .Lfunc_end49-_ZN7rocprim17ROCPRIM_400000_NS6detail17trampoline_kernelINS0_14default_configENS1_38merge_sort_block_merge_config_selectorIjN6thrust23THRUST_200600_302600_NS5tupleIffNS6_9null_typeES8_S8_S8_S8_S8_S8_S8_EEEEZZNS1_27merge_sort_block_merge_implIS3_NS6_6detail15normal_iteratorINS6_10device_ptrIjEEEENSD_INSE_IS9_EEEEjNS1_19radix_merge_compareILb0ELb0EjNS0_19identity_decomposerEEEEE10hipError_tT0_T1_T2_jT3_P12ihipStream_tbPNSt15iterator_traitsISN_E10value_typeEPNST_ISO_E10value_typeEPSP_NS1_7vsmem_tEENKUlT_SN_SO_SP_E_clISG_PjSI_PS9_EESM_S12_SN_SO_SP_EUlS12_E_NS1_11comp_targetILNS1_3genE0ELNS1_11target_archE4294967295ELNS1_3gpuE0ELNS1_3repE0EEENS1_48merge_mergepath_partition_config_static_selectorELNS0_4arch9wavefront6targetE1EEEvSO_
                                        ; -- End function
	.section	.AMDGPU.csdata,"",@progbits
; Kernel info:
; codeLenInByte = 0
; NumSgprs: 4
; NumVgprs: 0
; NumAgprs: 0
; TotalNumVgprs: 0
; ScratchSize: 0
; MemoryBound: 0
; FloatMode: 240
; IeeeMode: 1
; LDSByteSize: 0 bytes/workgroup (compile time only)
; SGPRBlocks: 0
; VGPRBlocks: 0
; NumSGPRsForWavesPerEU: 4
; NumVGPRsForWavesPerEU: 1
; AccumOffset: 4
; Occupancy: 8
; WaveLimiterHint : 0
; COMPUTE_PGM_RSRC2:SCRATCH_EN: 0
; COMPUTE_PGM_RSRC2:USER_SGPR: 6
; COMPUTE_PGM_RSRC2:TRAP_HANDLER: 0
; COMPUTE_PGM_RSRC2:TGID_X_EN: 1
; COMPUTE_PGM_RSRC2:TGID_Y_EN: 0
; COMPUTE_PGM_RSRC2:TGID_Z_EN: 0
; COMPUTE_PGM_RSRC2:TIDIG_COMP_CNT: 0
; COMPUTE_PGM_RSRC3_GFX90A:ACCUM_OFFSET: 0
; COMPUTE_PGM_RSRC3_GFX90A:TG_SPLIT: 0
	.section	.text._ZN7rocprim17ROCPRIM_400000_NS6detail17trampoline_kernelINS0_14default_configENS1_38merge_sort_block_merge_config_selectorIjN6thrust23THRUST_200600_302600_NS5tupleIffNS6_9null_typeES8_S8_S8_S8_S8_S8_S8_EEEEZZNS1_27merge_sort_block_merge_implIS3_NS6_6detail15normal_iteratorINS6_10device_ptrIjEEEENSD_INSE_IS9_EEEEjNS1_19radix_merge_compareILb0ELb0EjNS0_19identity_decomposerEEEEE10hipError_tT0_T1_T2_jT3_P12ihipStream_tbPNSt15iterator_traitsISN_E10value_typeEPNST_ISO_E10value_typeEPSP_NS1_7vsmem_tEENKUlT_SN_SO_SP_E_clISG_PjSI_PS9_EESM_S12_SN_SO_SP_EUlS12_E_NS1_11comp_targetILNS1_3genE10ELNS1_11target_archE1201ELNS1_3gpuE5ELNS1_3repE0EEENS1_48merge_mergepath_partition_config_static_selectorELNS0_4arch9wavefront6targetE1EEEvSO_,"axG",@progbits,_ZN7rocprim17ROCPRIM_400000_NS6detail17trampoline_kernelINS0_14default_configENS1_38merge_sort_block_merge_config_selectorIjN6thrust23THRUST_200600_302600_NS5tupleIffNS6_9null_typeES8_S8_S8_S8_S8_S8_S8_EEEEZZNS1_27merge_sort_block_merge_implIS3_NS6_6detail15normal_iteratorINS6_10device_ptrIjEEEENSD_INSE_IS9_EEEEjNS1_19radix_merge_compareILb0ELb0EjNS0_19identity_decomposerEEEEE10hipError_tT0_T1_T2_jT3_P12ihipStream_tbPNSt15iterator_traitsISN_E10value_typeEPNST_ISO_E10value_typeEPSP_NS1_7vsmem_tEENKUlT_SN_SO_SP_E_clISG_PjSI_PS9_EESM_S12_SN_SO_SP_EUlS12_E_NS1_11comp_targetILNS1_3genE10ELNS1_11target_archE1201ELNS1_3gpuE5ELNS1_3repE0EEENS1_48merge_mergepath_partition_config_static_selectorELNS0_4arch9wavefront6targetE1EEEvSO_,comdat
	.protected	_ZN7rocprim17ROCPRIM_400000_NS6detail17trampoline_kernelINS0_14default_configENS1_38merge_sort_block_merge_config_selectorIjN6thrust23THRUST_200600_302600_NS5tupleIffNS6_9null_typeES8_S8_S8_S8_S8_S8_S8_EEEEZZNS1_27merge_sort_block_merge_implIS3_NS6_6detail15normal_iteratorINS6_10device_ptrIjEEEENSD_INSE_IS9_EEEEjNS1_19radix_merge_compareILb0ELb0EjNS0_19identity_decomposerEEEEE10hipError_tT0_T1_T2_jT3_P12ihipStream_tbPNSt15iterator_traitsISN_E10value_typeEPNST_ISO_E10value_typeEPSP_NS1_7vsmem_tEENKUlT_SN_SO_SP_E_clISG_PjSI_PS9_EESM_S12_SN_SO_SP_EUlS12_E_NS1_11comp_targetILNS1_3genE10ELNS1_11target_archE1201ELNS1_3gpuE5ELNS1_3repE0EEENS1_48merge_mergepath_partition_config_static_selectorELNS0_4arch9wavefront6targetE1EEEvSO_ ; -- Begin function _ZN7rocprim17ROCPRIM_400000_NS6detail17trampoline_kernelINS0_14default_configENS1_38merge_sort_block_merge_config_selectorIjN6thrust23THRUST_200600_302600_NS5tupleIffNS6_9null_typeES8_S8_S8_S8_S8_S8_S8_EEEEZZNS1_27merge_sort_block_merge_implIS3_NS6_6detail15normal_iteratorINS6_10device_ptrIjEEEENSD_INSE_IS9_EEEEjNS1_19radix_merge_compareILb0ELb0EjNS0_19identity_decomposerEEEEE10hipError_tT0_T1_T2_jT3_P12ihipStream_tbPNSt15iterator_traitsISN_E10value_typeEPNST_ISO_E10value_typeEPSP_NS1_7vsmem_tEENKUlT_SN_SO_SP_E_clISG_PjSI_PS9_EESM_S12_SN_SO_SP_EUlS12_E_NS1_11comp_targetILNS1_3genE10ELNS1_11target_archE1201ELNS1_3gpuE5ELNS1_3repE0EEENS1_48merge_mergepath_partition_config_static_selectorELNS0_4arch9wavefront6targetE1EEEvSO_
	.globl	_ZN7rocprim17ROCPRIM_400000_NS6detail17trampoline_kernelINS0_14default_configENS1_38merge_sort_block_merge_config_selectorIjN6thrust23THRUST_200600_302600_NS5tupleIffNS6_9null_typeES8_S8_S8_S8_S8_S8_S8_EEEEZZNS1_27merge_sort_block_merge_implIS3_NS6_6detail15normal_iteratorINS6_10device_ptrIjEEEENSD_INSE_IS9_EEEEjNS1_19radix_merge_compareILb0ELb0EjNS0_19identity_decomposerEEEEE10hipError_tT0_T1_T2_jT3_P12ihipStream_tbPNSt15iterator_traitsISN_E10value_typeEPNST_ISO_E10value_typeEPSP_NS1_7vsmem_tEENKUlT_SN_SO_SP_E_clISG_PjSI_PS9_EESM_S12_SN_SO_SP_EUlS12_E_NS1_11comp_targetILNS1_3genE10ELNS1_11target_archE1201ELNS1_3gpuE5ELNS1_3repE0EEENS1_48merge_mergepath_partition_config_static_selectorELNS0_4arch9wavefront6targetE1EEEvSO_
	.p2align	8
	.type	_ZN7rocprim17ROCPRIM_400000_NS6detail17trampoline_kernelINS0_14default_configENS1_38merge_sort_block_merge_config_selectorIjN6thrust23THRUST_200600_302600_NS5tupleIffNS6_9null_typeES8_S8_S8_S8_S8_S8_S8_EEEEZZNS1_27merge_sort_block_merge_implIS3_NS6_6detail15normal_iteratorINS6_10device_ptrIjEEEENSD_INSE_IS9_EEEEjNS1_19radix_merge_compareILb0ELb0EjNS0_19identity_decomposerEEEEE10hipError_tT0_T1_T2_jT3_P12ihipStream_tbPNSt15iterator_traitsISN_E10value_typeEPNST_ISO_E10value_typeEPSP_NS1_7vsmem_tEENKUlT_SN_SO_SP_E_clISG_PjSI_PS9_EESM_S12_SN_SO_SP_EUlS12_E_NS1_11comp_targetILNS1_3genE10ELNS1_11target_archE1201ELNS1_3gpuE5ELNS1_3repE0EEENS1_48merge_mergepath_partition_config_static_selectorELNS0_4arch9wavefront6targetE1EEEvSO_,@function
_ZN7rocprim17ROCPRIM_400000_NS6detail17trampoline_kernelINS0_14default_configENS1_38merge_sort_block_merge_config_selectorIjN6thrust23THRUST_200600_302600_NS5tupleIffNS6_9null_typeES8_S8_S8_S8_S8_S8_S8_EEEEZZNS1_27merge_sort_block_merge_implIS3_NS6_6detail15normal_iteratorINS6_10device_ptrIjEEEENSD_INSE_IS9_EEEEjNS1_19radix_merge_compareILb0ELb0EjNS0_19identity_decomposerEEEEE10hipError_tT0_T1_T2_jT3_P12ihipStream_tbPNSt15iterator_traitsISN_E10value_typeEPNST_ISO_E10value_typeEPSP_NS1_7vsmem_tEENKUlT_SN_SO_SP_E_clISG_PjSI_PS9_EESM_S12_SN_SO_SP_EUlS12_E_NS1_11comp_targetILNS1_3genE10ELNS1_11target_archE1201ELNS1_3gpuE5ELNS1_3repE0EEENS1_48merge_mergepath_partition_config_static_selectorELNS0_4arch9wavefront6targetE1EEEvSO_: ; @_ZN7rocprim17ROCPRIM_400000_NS6detail17trampoline_kernelINS0_14default_configENS1_38merge_sort_block_merge_config_selectorIjN6thrust23THRUST_200600_302600_NS5tupleIffNS6_9null_typeES8_S8_S8_S8_S8_S8_S8_EEEEZZNS1_27merge_sort_block_merge_implIS3_NS6_6detail15normal_iteratorINS6_10device_ptrIjEEEENSD_INSE_IS9_EEEEjNS1_19radix_merge_compareILb0ELb0EjNS0_19identity_decomposerEEEEE10hipError_tT0_T1_T2_jT3_P12ihipStream_tbPNSt15iterator_traitsISN_E10value_typeEPNST_ISO_E10value_typeEPSP_NS1_7vsmem_tEENKUlT_SN_SO_SP_E_clISG_PjSI_PS9_EESM_S12_SN_SO_SP_EUlS12_E_NS1_11comp_targetILNS1_3genE10ELNS1_11target_archE1201ELNS1_3gpuE5ELNS1_3repE0EEENS1_48merge_mergepath_partition_config_static_selectorELNS0_4arch9wavefront6targetE1EEEvSO_
; %bb.0:
	.section	.rodata,"a",@progbits
	.p2align	6, 0x0
	.amdhsa_kernel _ZN7rocprim17ROCPRIM_400000_NS6detail17trampoline_kernelINS0_14default_configENS1_38merge_sort_block_merge_config_selectorIjN6thrust23THRUST_200600_302600_NS5tupleIffNS6_9null_typeES8_S8_S8_S8_S8_S8_S8_EEEEZZNS1_27merge_sort_block_merge_implIS3_NS6_6detail15normal_iteratorINS6_10device_ptrIjEEEENSD_INSE_IS9_EEEEjNS1_19radix_merge_compareILb0ELb0EjNS0_19identity_decomposerEEEEE10hipError_tT0_T1_T2_jT3_P12ihipStream_tbPNSt15iterator_traitsISN_E10value_typeEPNST_ISO_E10value_typeEPSP_NS1_7vsmem_tEENKUlT_SN_SO_SP_E_clISG_PjSI_PS9_EESM_S12_SN_SO_SP_EUlS12_E_NS1_11comp_targetILNS1_3genE10ELNS1_11target_archE1201ELNS1_3gpuE5ELNS1_3repE0EEENS1_48merge_mergepath_partition_config_static_selectorELNS0_4arch9wavefront6targetE1EEEvSO_
		.amdhsa_group_segment_fixed_size 0
		.amdhsa_private_segment_fixed_size 0
		.amdhsa_kernarg_size 40
		.amdhsa_user_sgpr_count 6
		.amdhsa_user_sgpr_private_segment_buffer 1
		.amdhsa_user_sgpr_dispatch_ptr 0
		.amdhsa_user_sgpr_queue_ptr 0
		.amdhsa_user_sgpr_kernarg_segment_ptr 1
		.amdhsa_user_sgpr_dispatch_id 0
		.amdhsa_user_sgpr_flat_scratch_init 0
		.amdhsa_user_sgpr_kernarg_preload_length 0
		.amdhsa_user_sgpr_kernarg_preload_offset 0
		.amdhsa_user_sgpr_private_segment_size 0
		.amdhsa_uses_dynamic_stack 0
		.amdhsa_system_sgpr_private_segment_wavefront_offset 0
		.amdhsa_system_sgpr_workgroup_id_x 1
		.amdhsa_system_sgpr_workgroup_id_y 0
		.amdhsa_system_sgpr_workgroup_id_z 0
		.amdhsa_system_sgpr_workgroup_info 0
		.amdhsa_system_vgpr_workitem_id 0
		.amdhsa_next_free_vgpr 1
		.amdhsa_next_free_sgpr 0
		.amdhsa_accum_offset 4
		.amdhsa_reserve_vcc 0
		.amdhsa_reserve_flat_scratch 0
		.amdhsa_float_round_mode_32 0
		.amdhsa_float_round_mode_16_64 0
		.amdhsa_float_denorm_mode_32 3
		.amdhsa_float_denorm_mode_16_64 3
		.amdhsa_dx10_clamp 1
		.amdhsa_ieee_mode 1
		.amdhsa_fp16_overflow 0
		.amdhsa_tg_split 0
		.amdhsa_exception_fp_ieee_invalid_op 0
		.amdhsa_exception_fp_denorm_src 0
		.amdhsa_exception_fp_ieee_div_zero 0
		.amdhsa_exception_fp_ieee_overflow 0
		.amdhsa_exception_fp_ieee_underflow 0
		.amdhsa_exception_fp_ieee_inexact 0
		.amdhsa_exception_int_div_zero 0
	.end_amdhsa_kernel
	.section	.text._ZN7rocprim17ROCPRIM_400000_NS6detail17trampoline_kernelINS0_14default_configENS1_38merge_sort_block_merge_config_selectorIjN6thrust23THRUST_200600_302600_NS5tupleIffNS6_9null_typeES8_S8_S8_S8_S8_S8_S8_EEEEZZNS1_27merge_sort_block_merge_implIS3_NS6_6detail15normal_iteratorINS6_10device_ptrIjEEEENSD_INSE_IS9_EEEEjNS1_19radix_merge_compareILb0ELb0EjNS0_19identity_decomposerEEEEE10hipError_tT0_T1_T2_jT3_P12ihipStream_tbPNSt15iterator_traitsISN_E10value_typeEPNST_ISO_E10value_typeEPSP_NS1_7vsmem_tEENKUlT_SN_SO_SP_E_clISG_PjSI_PS9_EESM_S12_SN_SO_SP_EUlS12_E_NS1_11comp_targetILNS1_3genE10ELNS1_11target_archE1201ELNS1_3gpuE5ELNS1_3repE0EEENS1_48merge_mergepath_partition_config_static_selectorELNS0_4arch9wavefront6targetE1EEEvSO_,"axG",@progbits,_ZN7rocprim17ROCPRIM_400000_NS6detail17trampoline_kernelINS0_14default_configENS1_38merge_sort_block_merge_config_selectorIjN6thrust23THRUST_200600_302600_NS5tupleIffNS6_9null_typeES8_S8_S8_S8_S8_S8_S8_EEEEZZNS1_27merge_sort_block_merge_implIS3_NS6_6detail15normal_iteratorINS6_10device_ptrIjEEEENSD_INSE_IS9_EEEEjNS1_19radix_merge_compareILb0ELb0EjNS0_19identity_decomposerEEEEE10hipError_tT0_T1_T2_jT3_P12ihipStream_tbPNSt15iterator_traitsISN_E10value_typeEPNST_ISO_E10value_typeEPSP_NS1_7vsmem_tEENKUlT_SN_SO_SP_E_clISG_PjSI_PS9_EESM_S12_SN_SO_SP_EUlS12_E_NS1_11comp_targetILNS1_3genE10ELNS1_11target_archE1201ELNS1_3gpuE5ELNS1_3repE0EEENS1_48merge_mergepath_partition_config_static_selectorELNS0_4arch9wavefront6targetE1EEEvSO_,comdat
.Lfunc_end50:
	.size	_ZN7rocprim17ROCPRIM_400000_NS6detail17trampoline_kernelINS0_14default_configENS1_38merge_sort_block_merge_config_selectorIjN6thrust23THRUST_200600_302600_NS5tupleIffNS6_9null_typeES8_S8_S8_S8_S8_S8_S8_EEEEZZNS1_27merge_sort_block_merge_implIS3_NS6_6detail15normal_iteratorINS6_10device_ptrIjEEEENSD_INSE_IS9_EEEEjNS1_19radix_merge_compareILb0ELb0EjNS0_19identity_decomposerEEEEE10hipError_tT0_T1_T2_jT3_P12ihipStream_tbPNSt15iterator_traitsISN_E10value_typeEPNST_ISO_E10value_typeEPSP_NS1_7vsmem_tEENKUlT_SN_SO_SP_E_clISG_PjSI_PS9_EESM_S12_SN_SO_SP_EUlS12_E_NS1_11comp_targetILNS1_3genE10ELNS1_11target_archE1201ELNS1_3gpuE5ELNS1_3repE0EEENS1_48merge_mergepath_partition_config_static_selectorELNS0_4arch9wavefront6targetE1EEEvSO_, .Lfunc_end50-_ZN7rocprim17ROCPRIM_400000_NS6detail17trampoline_kernelINS0_14default_configENS1_38merge_sort_block_merge_config_selectorIjN6thrust23THRUST_200600_302600_NS5tupleIffNS6_9null_typeES8_S8_S8_S8_S8_S8_S8_EEEEZZNS1_27merge_sort_block_merge_implIS3_NS6_6detail15normal_iteratorINS6_10device_ptrIjEEEENSD_INSE_IS9_EEEEjNS1_19radix_merge_compareILb0ELb0EjNS0_19identity_decomposerEEEEE10hipError_tT0_T1_T2_jT3_P12ihipStream_tbPNSt15iterator_traitsISN_E10value_typeEPNST_ISO_E10value_typeEPSP_NS1_7vsmem_tEENKUlT_SN_SO_SP_E_clISG_PjSI_PS9_EESM_S12_SN_SO_SP_EUlS12_E_NS1_11comp_targetILNS1_3genE10ELNS1_11target_archE1201ELNS1_3gpuE5ELNS1_3repE0EEENS1_48merge_mergepath_partition_config_static_selectorELNS0_4arch9wavefront6targetE1EEEvSO_
                                        ; -- End function
	.section	.AMDGPU.csdata,"",@progbits
; Kernel info:
; codeLenInByte = 0
; NumSgprs: 4
; NumVgprs: 0
; NumAgprs: 0
; TotalNumVgprs: 0
; ScratchSize: 0
; MemoryBound: 0
; FloatMode: 240
; IeeeMode: 1
; LDSByteSize: 0 bytes/workgroup (compile time only)
; SGPRBlocks: 0
; VGPRBlocks: 0
; NumSGPRsForWavesPerEU: 4
; NumVGPRsForWavesPerEU: 1
; AccumOffset: 4
; Occupancy: 8
; WaveLimiterHint : 0
; COMPUTE_PGM_RSRC2:SCRATCH_EN: 0
; COMPUTE_PGM_RSRC2:USER_SGPR: 6
; COMPUTE_PGM_RSRC2:TRAP_HANDLER: 0
; COMPUTE_PGM_RSRC2:TGID_X_EN: 1
; COMPUTE_PGM_RSRC2:TGID_Y_EN: 0
; COMPUTE_PGM_RSRC2:TGID_Z_EN: 0
; COMPUTE_PGM_RSRC2:TIDIG_COMP_CNT: 0
; COMPUTE_PGM_RSRC3_GFX90A:ACCUM_OFFSET: 0
; COMPUTE_PGM_RSRC3_GFX90A:TG_SPLIT: 0
	.section	.text._ZN7rocprim17ROCPRIM_400000_NS6detail17trampoline_kernelINS0_14default_configENS1_38merge_sort_block_merge_config_selectorIjN6thrust23THRUST_200600_302600_NS5tupleIffNS6_9null_typeES8_S8_S8_S8_S8_S8_S8_EEEEZZNS1_27merge_sort_block_merge_implIS3_NS6_6detail15normal_iteratorINS6_10device_ptrIjEEEENSD_INSE_IS9_EEEEjNS1_19radix_merge_compareILb0ELb0EjNS0_19identity_decomposerEEEEE10hipError_tT0_T1_T2_jT3_P12ihipStream_tbPNSt15iterator_traitsISN_E10value_typeEPNST_ISO_E10value_typeEPSP_NS1_7vsmem_tEENKUlT_SN_SO_SP_E_clISG_PjSI_PS9_EESM_S12_SN_SO_SP_EUlS12_E_NS1_11comp_targetILNS1_3genE5ELNS1_11target_archE942ELNS1_3gpuE9ELNS1_3repE0EEENS1_48merge_mergepath_partition_config_static_selectorELNS0_4arch9wavefront6targetE1EEEvSO_,"axG",@progbits,_ZN7rocprim17ROCPRIM_400000_NS6detail17trampoline_kernelINS0_14default_configENS1_38merge_sort_block_merge_config_selectorIjN6thrust23THRUST_200600_302600_NS5tupleIffNS6_9null_typeES8_S8_S8_S8_S8_S8_S8_EEEEZZNS1_27merge_sort_block_merge_implIS3_NS6_6detail15normal_iteratorINS6_10device_ptrIjEEEENSD_INSE_IS9_EEEEjNS1_19radix_merge_compareILb0ELb0EjNS0_19identity_decomposerEEEEE10hipError_tT0_T1_T2_jT3_P12ihipStream_tbPNSt15iterator_traitsISN_E10value_typeEPNST_ISO_E10value_typeEPSP_NS1_7vsmem_tEENKUlT_SN_SO_SP_E_clISG_PjSI_PS9_EESM_S12_SN_SO_SP_EUlS12_E_NS1_11comp_targetILNS1_3genE5ELNS1_11target_archE942ELNS1_3gpuE9ELNS1_3repE0EEENS1_48merge_mergepath_partition_config_static_selectorELNS0_4arch9wavefront6targetE1EEEvSO_,comdat
	.protected	_ZN7rocprim17ROCPRIM_400000_NS6detail17trampoline_kernelINS0_14default_configENS1_38merge_sort_block_merge_config_selectorIjN6thrust23THRUST_200600_302600_NS5tupleIffNS6_9null_typeES8_S8_S8_S8_S8_S8_S8_EEEEZZNS1_27merge_sort_block_merge_implIS3_NS6_6detail15normal_iteratorINS6_10device_ptrIjEEEENSD_INSE_IS9_EEEEjNS1_19radix_merge_compareILb0ELb0EjNS0_19identity_decomposerEEEEE10hipError_tT0_T1_T2_jT3_P12ihipStream_tbPNSt15iterator_traitsISN_E10value_typeEPNST_ISO_E10value_typeEPSP_NS1_7vsmem_tEENKUlT_SN_SO_SP_E_clISG_PjSI_PS9_EESM_S12_SN_SO_SP_EUlS12_E_NS1_11comp_targetILNS1_3genE5ELNS1_11target_archE942ELNS1_3gpuE9ELNS1_3repE0EEENS1_48merge_mergepath_partition_config_static_selectorELNS0_4arch9wavefront6targetE1EEEvSO_ ; -- Begin function _ZN7rocprim17ROCPRIM_400000_NS6detail17trampoline_kernelINS0_14default_configENS1_38merge_sort_block_merge_config_selectorIjN6thrust23THRUST_200600_302600_NS5tupleIffNS6_9null_typeES8_S8_S8_S8_S8_S8_S8_EEEEZZNS1_27merge_sort_block_merge_implIS3_NS6_6detail15normal_iteratorINS6_10device_ptrIjEEEENSD_INSE_IS9_EEEEjNS1_19radix_merge_compareILb0ELb0EjNS0_19identity_decomposerEEEEE10hipError_tT0_T1_T2_jT3_P12ihipStream_tbPNSt15iterator_traitsISN_E10value_typeEPNST_ISO_E10value_typeEPSP_NS1_7vsmem_tEENKUlT_SN_SO_SP_E_clISG_PjSI_PS9_EESM_S12_SN_SO_SP_EUlS12_E_NS1_11comp_targetILNS1_3genE5ELNS1_11target_archE942ELNS1_3gpuE9ELNS1_3repE0EEENS1_48merge_mergepath_partition_config_static_selectorELNS0_4arch9wavefront6targetE1EEEvSO_
	.globl	_ZN7rocprim17ROCPRIM_400000_NS6detail17trampoline_kernelINS0_14default_configENS1_38merge_sort_block_merge_config_selectorIjN6thrust23THRUST_200600_302600_NS5tupleIffNS6_9null_typeES8_S8_S8_S8_S8_S8_S8_EEEEZZNS1_27merge_sort_block_merge_implIS3_NS6_6detail15normal_iteratorINS6_10device_ptrIjEEEENSD_INSE_IS9_EEEEjNS1_19radix_merge_compareILb0ELb0EjNS0_19identity_decomposerEEEEE10hipError_tT0_T1_T2_jT3_P12ihipStream_tbPNSt15iterator_traitsISN_E10value_typeEPNST_ISO_E10value_typeEPSP_NS1_7vsmem_tEENKUlT_SN_SO_SP_E_clISG_PjSI_PS9_EESM_S12_SN_SO_SP_EUlS12_E_NS1_11comp_targetILNS1_3genE5ELNS1_11target_archE942ELNS1_3gpuE9ELNS1_3repE0EEENS1_48merge_mergepath_partition_config_static_selectorELNS0_4arch9wavefront6targetE1EEEvSO_
	.p2align	8
	.type	_ZN7rocprim17ROCPRIM_400000_NS6detail17trampoline_kernelINS0_14default_configENS1_38merge_sort_block_merge_config_selectorIjN6thrust23THRUST_200600_302600_NS5tupleIffNS6_9null_typeES8_S8_S8_S8_S8_S8_S8_EEEEZZNS1_27merge_sort_block_merge_implIS3_NS6_6detail15normal_iteratorINS6_10device_ptrIjEEEENSD_INSE_IS9_EEEEjNS1_19radix_merge_compareILb0ELb0EjNS0_19identity_decomposerEEEEE10hipError_tT0_T1_T2_jT3_P12ihipStream_tbPNSt15iterator_traitsISN_E10value_typeEPNST_ISO_E10value_typeEPSP_NS1_7vsmem_tEENKUlT_SN_SO_SP_E_clISG_PjSI_PS9_EESM_S12_SN_SO_SP_EUlS12_E_NS1_11comp_targetILNS1_3genE5ELNS1_11target_archE942ELNS1_3gpuE9ELNS1_3repE0EEENS1_48merge_mergepath_partition_config_static_selectorELNS0_4arch9wavefront6targetE1EEEvSO_,@function
_ZN7rocprim17ROCPRIM_400000_NS6detail17trampoline_kernelINS0_14default_configENS1_38merge_sort_block_merge_config_selectorIjN6thrust23THRUST_200600_302600_NS5tupleIffNS6_9null_typeES8_S8_S8_S8_S8_S8_S8_EEEEZZNS1_27merge_sort_block_merge_implIS3_NS6_6detail15normal_iteratorINS6_10device_ptrIjEEEENSD_INSE_IS9_EEEEjNS1_19radix_merge_compareILb0ELb0EjNS0_19identity_decomposerEEEEE10hipError_tT0_T1_T2_jT3_P12ihipStream_tbPNSt15iterator_traitsISN_E10value_typeEPNST_ISO_E10value_typeEPSP_NS1_7vsmem_tEENKUlT_SN_SO_SP_E_clISG_PjSI_PS9_EESM_S12_SN_SO_SP_EUlS12_E_NS1_11comp_targetILNS1_3genE5ELNS1_11target_archE942ELNS1_3gpuE9ELNS1_3repE0EEENS1_48merge_mergepath_partition_config_static_selectorELNS0_4arch9wavefront6targetE1EEEvSO_: ; @_ZN7rocprim17ROCPRIM_400000_NS6detail17trampoline_kernelINS0_14default_configENS1_38merge_sort_block_merge_config_selectorIjN6thrust23THRUST_200600_302600_NS5tupleIffNS6_9null_typeES8_S8_S8_S8_S8_S8_S8_EEEEZZNS1_27merge_sort_block_merge_implIS3_NS6_6detail15normal_iteratorINS6_10device_ptrIjEEEENSD_INSE_IS9_EEEEjNS1_19radix_merge_compareILb0ELb0EjNS0_19identity_decomposerEEEEE10hipError_tT0_T1_T2_jT3_P12ihipStream_tbPNSt15iterator_traitsISN_E10value_typeEPNST_ISO_E10value_typeEPSP_NS1_7vsmem_tEENKUlT_SN_SO_SP_E_clISG_PjSI_PS9_EESM_S12_SN_SO_SP_EUlS12_E_NS1_11comp_targetILNS1_3genE5ELNS1_11target_archE942ELNS1_3gpuE9ELNS1_3repE0EEENS1_48merge_mergepath_partition_config_static_selectorELNS0_4arch9wavefront6targetE1EEEvSO_
; %bb.0:
	.section	.rodata,"a",@progbits
	.p2align	6, 0x0
	.amdhsa_kernel _ZN7rocprim17ROCPRIM_400000_NS6detail17trampoline_kernelINS0_14default_configENS1_38merge_sort_block_merge_config_selectorIjN6thrust23THRUST_200600_302600_NS5tupleIffNS6_9null_typeES8_S8_S8_S8_S8_S8_S8_EEEEZZNS1_27merge_sort_block_merge_implIS3_NS6_6detail15normal_iteratorINS6_10device_ptrIjEEEENSD_INSE_IS9_EEEEjNS1_19radix_merge_compareILb0ELb0EjNS0_19identity_decomposerEEEEE10hipError_tT0_T1_T2_jT3_P12ihipStream_tbPNSt15iterator_traitsISN_E10value_typeEPNST_ISO_E10value_typeEPSP_NS1_7vsmem_tEENKUlT_SN_SO_SP_E_clISG_PjSI_PS9_EESM_S12_SN_SO_SP_EUlS12_E_NS1_11comp_targetILNS1_3genE5ELNS1_11target_archE942ELNS1_3gpuE9ELNS1_3repE0EEENS1_48merge_mergepath_partition_config_static_selectorELNS0_4arch9wavefront6targetE1EEEvSO_
		.amdhsa_group_segment_fixed_size 0
		.amdhsa_private_segment_fixed_size 0
		.amdhsa_kernarg_size 40
		.amdhsa_user_sgpr_count 6
		.amdhsa_user_sgpr_private_segment_buffer 1
		.amdhsa_user_sgpr_dispatch_ptr 0
		.amdhsa_user_sgpr_queue_ptr 0
		.amdhsa_user_sgpr_kernarg_segment_ptr 1
		.amdhsa_user_sgpr_dispatch_id 0
		.amdhsa_user_sgpr_flat_scratch_init 0
		.amdhsa_user_sgpr_kernarg_preload_length 0
		.amdhsa_user_sgpr_kernarg_preload_offset 0
		.amdhsa_user_sgpr_private_segment_size 0
		.amdhsa_uses_dynamic_stack 0
		.amdhsa_system_sgpr_private_segment_wavefront_offset 0
		.amdhsa_system_sgpr_workgroup_id_x 1
		.amdhsa_system_sgpr_workgroup_id_y 0
		.amdhsa_system_sgpr_workgroup_id_z 0
		.amdhsa_system_sgpr_workgroup_info 0
		.amdhsa_system_vgpr_workitem_id 0
		.amdhsa_next_free_vgpr 1
		.amdhsa_next_free_sgpr 0
		.amdhsa_accum_offset 4
		.amdhsa_reserve_vcc 0
		.amdhsa_reserve_flat_scratch 0
		.amdhsa_float_round_mode_32 0
		.amdhsa_float_round_mode_16_64 0
		.amdhsa_float_denorm_mode_32 3
		.amdhsa_float_denorm_mode_16_64 3
		.amdhsa_dx10_clamp 1
		.amdhsa_ieee_mode 1
		.amdhsa_fp16_overflow 0
		.amdhsa_tg_split 0
		.amdhsa_exception_fp_ieee_invalid_op 0
		.amdhsa_exception_fp_denorm_src 0
		.amdhsa_exception_fp_ieee_div_zero 0
		.amdhsa_exception_fp_ieee_overflow 0
		.amdhsa_exception_fp_ieee_underflow 0
		.amdhsa_exception_fp_ieee_inexact 0
		.amdhsa_exception_int_div_zero 0
	.end_amdhsa_kernel
	.section	.text._ZN7rocprim17ROCPRIM_400000_NS6detail17trampoline_kernelINS0_14default_configENS1_38merge_sort_block_merge_config_selectorIjN6thrust23THRUST_200600_302600_NS5tupleIffNS6_9null_typeES8_S8_S8_S8_S8_S8_S8_EEEEZZNS1_27merge_sort_block_merge_implIS3_NS6_6detail15normal_iteratorINS6_10device_ptrIjEEEENSD_INSE_IS9_EEEEjNS1_19radix_merge_compareILb0ELb0EjNS0_19identity_decomposerEEEEE10hipError_tT0_T1_T2_jT3_P12ihipStream_tbPNSt15iterator_traitsISN_E10value_typeEPNST_ISO_E10value_typeEPSP_NS1_7vsmem_tEENKUlT_SN_SO_SP_E_clISG_PjSI_PS9_EESM_S12_SN_SO_SP_EUlS12_E_NS1_11comp_targetILNS1_3genE5ELNS1_11target_archE942ELNS1_3gpuE9ELNS1_3repE0EEENS1_48merge_mergepath_partition_config_static_selectorELNS0_4arch9wavefront6targetE1EEEvSO_,"axG",@progbits,_ZN7rocprim17ROCPRIM_400000_NS6detail17trampoline_kernelINS0_14default_configENS1_38merge_sort_block_merge_config_selectorIjN6thrust23THRUST_200600_302600_NS5tupleIffNS6_9null_typeES8_S8_S8_S8_S8_S8_S8_EEEEZZNS1_27merge_sort_block_merge_implIS3_NS6_6detail15normal_iteratorINS6_10device_ptrIjEEEENSD_INSE_IS9_EEEEjNS1_19radix_merge_compareILb0ELb0EjNS0_19identity_decomposerEEEEE10hipError_tT0_T1_T2_jT3_P12ihipStream_tbPNSt15iterator_traitsISN_E10value_typeEPNST_ISO_E10value_typeEPSP_NS1_7vsmem_tEENKUlT_SN_SO_SP_E_clISG_PjSI_PS9_EESM_S12_SN_SO_SP_EUlS12_E_NS1_11comp_targetILNS1_3genE5ELNS1_11target_archE942ELNS1_3gpuE9ELNS1_3repE0EEENS1_48merge_mergepath_partition_config_static_selectorELNS0_4arch9wavefront6targetE1EEEvSO_,comdat
.Lfunc_end51:
	.size	_ZN7rocprim17ROCPRIM_400000_NS6detail17trampoline_kernelINS0_14default_configENS1_38merge_sort_block_merge_config_selectorIjN6thrust23THRUST_200600_302600_NS5tupleIffNS6_9null_typeES8_S8_S8_S8_S8_S8_S8_EEEEZZNS1_27merge_sort_block_merge_implIS3_NS6_6detail15normal_iteratorINS6_10device_ptrIjEEEENSD_INSE_IS9_EEEEjNS1_19radix_merge_compareILb0ELb0EjNS0_19identity_decomposerEEEEE10hipError_tT0_T1_T2_jT3_P12ihipStream_tbPNSt15iterator_traitsISN_E10value_typeEPNST_ISO_E10value_typeEPSP_NS1_7vsmem_tEENKUlT_SN_SO_SP_E_clISG_PjSI_PS9_EESM_S12_SN_SO_SP_EUlS12_E_NS1_11comp_targetILNS1_3genE5ELNS1_11target_archE942ELNS1_3gpuE9ELNS1_3repE0EEENS1_48merge_mergepath_partition_config_static_selectorELNS0_4arch9wavefront6targetE1EEEvSO_, .Lfunc_end51-_ZN7rocprim17ROCPRIM_400000_NS6detail17trampoline_kernelINS0_14default_configENS1_38merge_sort_block_merge_config_selectorIjN6thrust23THRUST_200600_302600_NS5tupleIffNS6_9null_typeES8_S8_S8_S8_S8_S8_S8_EEEEZZNS1_27merge_sort_block_merge_implIS3_NS6_6detail15normal_iteratorINS6_10device_ptrIjEEEENSD_INSE_IS9_EEEEjNS1_19radix_merge_compareILb0ELb0EjNS0_19identity_decomposerEEEEE10hipError_tT0_T1_T2_jT3_P12ihipStream_tbPNSt15iterator_traitsISN_E10value_typeEPNST_ISO_E10value_typeEPSP_NS1_7vsmem_tEENKUlT_SN_SO_SP_E_clISG_PjSI_PS9_EESM_S12_SN_SO_SP_EUlS12_E_NS1_11comp_targetILNS1_3genE5ELNS1_11target_archE942ELNS1_3gpuE9ELNS1_3repE0EEENS1_48merge_mergepath_partition_config_static_selectorELNS0_4arch9wavefront6targetE1EEEvSO_
                                        ; -- End function
	.section	.AMDGPU.csdata,"",@progbits
; Kernel info:
; codeLenInByte = 0
; NumSgprs: 4
; NumVgprs: 0
; NumAgprs: 0
; TotalNumVgprs: 0
; ScratchSize: 0
; MemoryBound: 0
; FloatMode: 240
; IeeeMode: 1
; LDSByteSize: 0 bytes/workgroup (compile time only)
; SGPRBlocks: 0
; VGPRBlocks: 0
; NumSGPRsForWavesPerEU: 4
; NumVGPRsForWavesPerEU: 1
; AccumOffset: 4
; Occupancy: 8
; WaveLimiterHint : 0
; COMPUTE_PGM_RSRC2:SCRATCH_EN: 0
; COMPUTE_PGM_RSRC2:USER_SGPR: 6
; COMPUTE_PGM_RSRC2:TRAP_HANDLER: 0
; COMPUTE_PGM_RSRC2:TGID_X_EN: 1
; COMPUTE_PGM_RSRC2:TGID_Y_EN: 0
; COMPUTE_PGM_RSRC2:TGID_Z_EN: 0
; COMPUTE_PGM_RSRC2:TIDIG_COMP_CNT: 0
; COMPUTE_PGM_RSRC3_GFX90A:ACCUM_OFFSET: 0
; COMPUTE_PGM_RSRC3_GFX90A:TG_SPLIT: 0
	.section	.text._ZN7rocprim17ROCPRIM_400000_NS6detail17trampoline_kernelINS0_14default_configENS1_38merge_sort_block_merge_config_selectorIjN6thrust23THRUST_200600_302600_NS5tupleIffNS6_9null_typeES8_S8_S8_S8_S8_S8_S8_EEEEZZNS1_27merge_sort_block_merge_implIS3_NS6_6detail15normal_iteratorINS6_10device_ptrIjEEEENSD_INSE_IS9_EEEEjNS1_19radix_merge_compareILb0ELb0EjNS0_19identity_decomposerEEEEE10hipError_tT0_T1_T2_jT3_P12ihipStream_tbPNSt15iterator_traitsISN_E10value_typeEPNST_ISO_E10value_typeEPSP_NS1_7vsmem_tEENKUlT_SN_SO_SP_E_clISG_PjSI_PS9_EESM_S12_SN_SO_SP_EUlS12_E_NS1_11comp_targetILNS1_3genE4ELNS1_11target_archE910ELNS1_3gpuE8ELNS1_3repE0EEENS1_48merge_mergepath_partition_config_static_selectorELNS0_4arch9wavefront6targetE1EEEvSO_,"axG",@progbits,_ZN7rocprim17ROCPRIM_400000_NS6detail17trampoline_kernelINS0_14default_configENS1_38merge_sort_block_merge_config_selectorIjN6thrust23THRUST_200600_302600_NS5tupleIffNS6_9null_typeES8_S8_S8_S8_S8_S8_S8_EEEEZZNS1_27merge_sort_block_merge_implIS3_NS6_6detail15normal_iteratorINS6_10device_ptrIjEEEENSD_INSE_IS9_EEEEjNS1_19radix_merge_compareILb0ELb0EjNS0_19identity_decomposerEEEEE10hipError_tT0_T1_T2_jT3_P12ihipStream_tbPNSt15iterator_traitsISN_E10value_typeEPNST_ISO_E10value_typeEPSP_NS1_7vsmem_tEENKUlT_SN_SO_SP_E_clISG_PjSI_PS9_EESM_S12_SN_SO_SP_EUlS12_E_NS1_11comp_targetILNS1_3genE4ELNS1_11target_archE910ELNS1_3gpuE8ELNS1_3repE0EEENS1_48merge_mergepath_partition_config_static_selectorELNS0_4arch9wavefront6targetE1EEEvSO_,comdat
	.protected	_ZN7rocprim17ROCPRIM_400000_NS6detail17trampoline_kernelINS0_14default_configENS1_38merge_sort_block_merge_config_selectorIjN6thrust23THRUST_200600_302600_NS5tupleIffNS6_9null_typeES8_S8_S8_S8_S8_S8_S8_EEEEZZNS1_27merge_sort_block_merge_implIS3_NS6_6detail15normal_iteratorINS6_10device_ptrIjEEEENSD_INSE_IS9_EEEEjNS1_19radix_merge_compareILb0ELb0EjNS0_19identity_decomposerEEEEE10hipError_tT0_T1_T2_jT3_P12ihipStream_tbPNSt15iterator_traitsISN_E10value_typeEPNST_ISO_E10value_typeEPSP_NS1_7vsmem_tEENKUlT_SN_SO_SP_E_clISG_PjSI_PS9_EESM_S12_SN_SO_SP_EUlS12_E_NS1_11comp_targetILNS1_3genE4ELNS1_11target_archE910ELNS1_3gpuE8ELNS1_3repE0EEENS1_48merge_mergepath_partition_config_static_selectorELNS0_4arch9wavefront6targetE1EEEvSO_ ; -- Begin function _ZN7rocprim17ROCPRIM_400000_NS6detail17trampoline_kernelINS0_14default_configENS1_38merge_sort_block_merge_config_selectorIjN6thrust23THRUST_200600_302600_NS5tupleIffNS6_9null_typeES8_S8_S8_S8_S8_S8_S8_EEEEZZNS1_27merge_sort_block_merge_implIS3_NS6_6detail15normal_iteratorINS6_10device_ptrIjEEEENSD_INSE_IS9_EEEEjNS1_19radix_merge_compareILb0ELb0EjNS0_19identity_decomposerEEEEE10hipError_tT0_T1_T2_jT3_P12ihipStream_tbPNSt15iterator_traitsISN_E10value_typeEPNST_ISO_E10value_typeEPSP_NS1_7vsmem_tEENKUlT_SN_SO_SP_E_clISG_PjSI_PS9_EESM_S12_SN_SO_SP_EUlS12_E_NS1_11comp_targetILNS1_3genE4ELNS1_11target_archE910ELNS1_3gpuE8ELNS1_3repE0EEENS1_48merge_mergepath_partition_config_static_selectorELNS0_4arch9wavefront6targetE1EEEvSO_
	.globl	_ZN7rocprim17ROCPRIM_400000_NS6detail17trampoline_kernelINS0_14default_configENS1_38merge_sort_block_merge_config_selectorIjN6thrust23THRUST_200600_302600_NS5tupleIffNS6_9null_typeES8_S8_S8_S8_S8_S8_S8_EEEEZZNS1_27merge_sort_block_merge_implIS3_NS6_6detail15normal_iteratorINS6_10device_ptrIjEEEENSD_INSE_IS9_EEEEjNS1_19radix_merge_compareILb0ELb0EjNS0_19identity_decomposerEEEEE10hipError_tT0_T1_T2_jT3_P12ihipStream_tbPNSt15iterator_traitsISN_E10value_typeEPNST_ISO_E10value_typeEPSP_NS1_7vsmem_tEENKUlT_SN_SO_SP_E_clISG_PjSI_PS9_EESM_S12_SN_SO_SP_EUlS12_E_NS1_11comp_targetILNS1_3genE4ELNS1_11target_archE910ELNS1_3gpuE8ELNS1_3repE0EEENS1_48merge_mergepath_partition_config_static_selectorELNS0_4arch9wavefront6targetE1EEEvSO_
	.p2align	8
	.type	_ZN7rocprim17ROCPRIM_400000_NS6detail17trampoline_kernelINS0_14default_configENS1_38merge_sort_block_merge_config_selectorIjN6thrust23THRUST_200600_302600_NS5tupleIffNS6_9null_typeES8_S8_S8_S8_S8_S8_S8_EEEEZZNS1_27merge_sort_block_merge_implIS3_NS6_6detail15normal_iteratorINS6_10device_ptrIjEEEENSD_INSE_IS9_EEEEjNS1_19radix_merge_compareILb0ELb0EjNS0_19identity_decomposerEEEEE10hipError_tT0_T1_T2_jT3_P12ihipStream_tbPNSt15iterator_traitsISN_E10value_typeEPNST_ISO_E10value_typeEPSP_NS1_7vsmem_tEENKUlT_SN_SO_SP_E_clISG_PjSI_PS9_EESM_S12_SN_SO_SP_EUlS12_E_NS1_11comp_targetILNS1_3genE4ELNS1_11target_archE910ELNS1_3gpuE8ELNS1_3repE0EEENS1_48merge_mergepath_partition_config_static_selectorELNS0_4arch9wavefront6targetE1EEEvSO_,@function
_ZN7rocprim17ROCPRIM_400000_NS6detail17trampoline_kernelINS0_14default_configENS1_38merge_sort_block_merge_config_selectorIjN6thrust23THRUST_200600_302600_NS5tupleIffNS6_9null_typeES8_S8_S8_S8_S8_S8_S8_EEEEZZNS1_27merge_sort_block_merge_implIS3_NS6_6detail15normal_iteratorINS6_10device_ptrIjEEEENSD_INSE_IS9_EEEEjNS1_19radix_merge_compareILb0ELb0EjNS0_19identity_decomposerEEEEE10hipError_tT0_T1_T2_jT3_P12ihipStream_tbPNSt15iterator_traitsISN_E10value_typeEPNST_ISO_E10value_typeEPSP_NS1_7vsmem_tEENKUlT_SN_SO_SP_E_clISG_PjSI_PS9_EESM_S12_SN_SO_SP_EUlS12_E_NS1_11comp_targetILNS1_3genE4ELNS1_11target_archE910ELNS1_3gpuE8ELNS1_3repE0EEENS1_48merge_mergepath_partition_config_static_selectorELNS0_4arch9wavefront6targetE1EEEvSO_: ; @_ZN7rocprim17ROCPRIM_400000_NS6detail17trampoline_kernelINS0_14default_configENS1_38merge_sort_block_merge_config_selectorIjN6thrust23THRUST_200600_302600_NS5tupleIffNS6_9null_typeES8_S8_S8_S8_S8_S8_S8_EEEEZZNS1_27merge_sort_block_merge_implIS3_NS6_6detail15normal_iteratorINS6_10device_ptrIjEEEENSD_INSE_IS9_EEEEjNS1_19radix_merge_compareILb0ELb0EjNS0_19identity_decomposerEEEEE10hipError_tT0_T1_T2_jT3_P12ihipStream_tbPNSt15iterator_traitsISN_E10value_typeEPNST_ISO_E10value_typeEPSP_NS1_7vsmem_tEENKUlT_SN_SO_SP_E_clISG_PjSI_PS9_EESM_S12_SN_SO_SP_EUlS12_E_NS1_11comp_targetILNS1_3genE4ELNS1_11target_archE910ELNS1_3gpuE8ELNS1_3repE0EEENS1_48merge_mergepath_partition_config_static_selectorELNS0_4arch9wavefront6targetE1EEEvSO_
; %bb.0:
	s_load_dword s0, s[4:5], 0x0
	v_lshl_or_b32 v0, s6, 7, v0
	s_waitcnt lgkmcnt(0)
	v_cmp_gt_u32_e32 vcc, s0, v0
	s_and_saveexec_b64 s[0:1], vcc
	s_cbranch_execz .LBB52_6
; %bb.1:
	s_load_dwordx2 s[2:3], s[4:5], 0x4
	s_load_dwordx2 s[0:1], s[4:5], 0x20
	s_waitcnt lgkmcnt(0)
	s_lshr_b32 s6, s2, 9
	s_and_b32 s6, s6, 0x7ffffe
	s_add_i32 s7, s6, -1
	s_sub_i32 s6, 0, s6
	v_and_b32_e32 v1, s6, v0
	v_lshlrev_b32_e32 v1, 10, v1
	v_min_u32_e32 v2, s3, v1
	v_add_u32_e32 v1, s2, v1
	v_min_u32_e32 v4, s3, v1
	v_add_u32_e32 v1, s2, v4
	v_and_b32_e32 v3, s7, v0
	v_min_u32_e32 v1, s3, v1
	v_sub_u32_e32 v5, v1, v2
	v_lshlrev_b32_e32 v3, 10, v3
	v_min_u32_e32 v6, v5, v3
	v_sub_u32_e32 v3, v4, v2
	v_sub_u32_e32 v1, v1, v4
	v_sub_u32_e64 v1, v6, v1 clamp
	v_min_u32_e32 v7, v6, v3
	v_cmp_lt_u32_e32 vcc, v1, v7
	s_and_saveexec_b64 s[2:3], vcc
	s_cbranch_execz .LBB52_5
; %bb.2:
	s_load_dwordx2 s[4:5], s[4:5], 0x10
	v_mov_b32_e32 v5, 0
	v_mov_b32_e32 v3, v5
	v_lshlrev_b64 v[8:9], 2, v[2:3]
	v_lshlrev_b64 v[10:11], 2, v[4:5]
	s_waitcnt lgkmcnt(0)
	v_mov_b32_e32 v12, s5
	v_add_co_u32_e32 v3, vcc, s4, v8
	v_addc_co_u32_e32 v8, vcc, v12, v9, vcc
	v_add_co_u32_e32 v9, vcc, s4, v10
	v_addc_co_u32_e32 v10, vcc, v12, v11, vcc
	s_mov_b64 s[4:5], 0
.LBB52_3:                               ; =>This Inner Loop Header: Depth=1
	v_add_u32_e32 v4, v7, v1
	v_lshrrev_b32_e32 v4, 1, v4
	v_lshlrev_b64 v[14:15], 2, v[4:5]
	v_mov_b32_e32 v13, v5
	v_xad_u32 v12, v4, -1, v6
	v_add_co_u32_e32 v14, vcc, v3, v14
	v_addc_co_u32_e32 v15, vcc, v8, v15, vcc
	v_lshlrev_b64 v[12:13], 2, v[12:13]
	v_add_co_u32_e32 v12, vcc, v9, v12
	v_addc_co_u32_e32 v13, vcc, v10, v13, vcc
	flat_load_dword v11, v[14:15]
	flat_load_dword v16, v[12:13]
	v_add_u32_e32 v12, 1, v4
	s_waitcnt vmcnt(0) lgkmcnt(0)
	v_cmp_gt_u32_e32 vcc, v11, v16
	v_cndmask_b32_e32 v7, v7, v4, vcc
	v_cndmask_b32_e32 v1, v12, v1, vcc
	v_cmp_ge_u32_e32 vcc, v1, v7
	s_or_b64 s[4:5], vcc, s[4:5]
	s_andn2_b64 exec, exec, s[4:5]
	s_cbranch_execnz .LBB52_3
; %bb.4:
	s_or_b64 exec, exec, s[4:5]
.LBB52_5:
	s_or_b64 exec, exec, s[2:3]
	v_add_u32_e32 v2, v1, v2
	v_mov_b32_e32 v1, 0
	v_lshlrev_b64 v[0:1], 2, v[0:1]
	v_mov_b32_e32 v3, s1
	v_add_co_u32_e32 v0, vcc, s0, v0
	v_addc_co_u32_e32 v1, vcc, v3, v1, vcc
	global_store_dword v[0:1], v2, off
.LBB52_6:
	s_endpgm
	.section	.rodata,"a",@progbits
	.p2align	6, 0x0
	.amdhsa_kernel _ZN7rocprim17ROCPRIM_400000_NS6detail17trampoline_kernelINS0_14default_configENS1_38merge_sort_block_merge_config_selectorIjN6thrust23THRUST_200600_302600_NS5tupleIffNS6_9null_typeES8_S8_S8_S8_S8_S8_S8_EEEEZZNS1_27merge_sort_block_merge_implIS3_NS6_6detail15normal_iteratorINS6_10device_ptrIjEEEENSD_INSE_IS9_EEEEjNS1_19radix_merge_compareILb0ELb0EjNS0_19identity_decomposerEEEEE10hipError_tT0_T1_T2_jT3_P12ihipStream_tbPNSt15iterator_traitsISN_E10value_typeEPNST_ISO_E10value_typeEPSP_NS1_7vsmem_tEENKUlT_SN_SO_SP_E_clISG_PjSI_PS9_EESM_S12_SN_SO_SP_EUlS12_E_NS1_11comp_targetILNS1_3genE4ELNS1_11target_archE910ELNS1_3gpuE8ELNS1_3repE0EEENS1_48merge_mergepath_partition_config_static_selectorELNS0_4arch9wavefront6targetE1EEEvSO_
		.amdhsa_group_segment_fixed_size 0
		.amdhsa_private_segment_fixed_size 0
		.amdhsa_kernarg_size 40
		.amdhsa_user_sgpr_count 6
		.amdhsa_user_sgpr_private_segment_buffer 1
		.amdhsa_user_sgpr_dispatch_ptr 0
		.amdhsa_user_sgpr_queue_ptr 0
		.amdhsa_user_sgpr_kernarg_segment_ptr 1
		.amdhsa_user_sgpr_dispatch_id 0
		.amdhsa_user_sgpr_flat_scratch_init 0
		.amdhsa_user_sgpr_kernarg_preload_length 0
		.amdhsa_user_sgpr_kernarg_preload_offset 0
		.amdhsa_user_sgpr_private_segment_size 0
		.amdhsa_uses_dynamic_stack 0
		.amdhsa_system_sgpr_private_segment_wavefront_offset 0
		.amdhsa_system_sgpr_workgroup_id_x 1
		.amdhsa_system_sgpr_workgroup_id_y 0
		.amdhsa_system_sgpr_workgroup_id_z 0
		.amdhsa_system_sgpr_workgroup_info 0
		.amdhsa_system_vgpr_workitem_id 0
		.amdhsa_next_free_vgpr 17
		.amdhsa_next_free_sgpr 8
		.amdhsa_accum_offset 20
		.amdhsa_reserve_vcc 1
		.amdhsa_reserve_flat_scratch 0
		.amdhsa_float_round_mode_32 0
		.amdhsa_float_round_mode_16_64 0
		.amdhsa_float_denorm_mode_32 3
		.amdhsa_float_denorm_mode_16_64 3
		.amdhsa_dx10_clamp 1
		.amdhsa_ieee_mode 1
		.amdhsa_fp16_overflow 0
		.amdhsa_tg_split 0
		.amdhsa_exception_fp_ieee_invalid_op 0
		.amdhsa_exception_fp_denorm_src 0
		.amdhsa_exception_fp_ieee_div_zero 0
		.amdhsa_exception_fp_ieee_overflow 0
		.amdhsa_exception_fp_ieee_underflow 0
		.amdhsa_exception_fp_ieee_inexact 0
		.amdhsa_exception_int_div_zero 0
	.end_amdhsa_kernel
	.section	.text._ZN7rocprim17ROCPRIM_400000_NS6detail17trampoline_kernelINS0_14default_configENS1_38merge_sort_block_merge_config_selectorIjN6thrust23THRUST_200600_302600_NS5tupleIffNS6_9null_typeES8_S8_S8_S8_S8_S8_S8_EEEEZZNS1_27merge_sort_block_merge_implIS3_NS6_6detail15normal_iteratorINS6_10device_ptrIjEEEENSD_INSE_IS9_EEEEjNS1_19radix_merge_compareILb0ELb0EjNS0_19identity_decomposerEEEEE10hipError_tT0_T1_T2_jT3_P12ihipStream_tbPNSt15iterator_traitsISN_E10value_typeEPNST_ISO_E10value_typeEPSP_NS1_7vsmem_tEENKUlT_SN_SO_SP_E_clISG_PjSI_PS9_EESM_S12_SN_SO_SP_EUlS12_E_NS1_11comp_targetILNS1_3genE4ELNS1_11target_archE910ELNS1_3gpuE8ELNS1_3repE0EEENS1_48merge_mergepath_partition_config_static_selectorELNS0_4arch9wavefront6targetE1EEEvSO_,"axG",@progbits,_ZN7rocprim17ROCPRIM_400000_NS6detail17trampoline_kernelINS0_14default_configENS1_38merge_sort_block_merge_config_selectorIjN6thrust23THRUST_200600_302600_NS5tupleIffNS6_9null_typeES8_S8_S8_S8_S8_S8_S8_EEEEZZNS1_27merge_sort_block_merge_implIS3_NS6_6detail15normal_iteratorINS6_10device_ptrIjEEEENSD_INSE_IS9_EEEEjNS1_19radix_merge_compareILb0ELb0EjNS0_19identity_decomposerEEEEE10hipError_tT0_T1_T2_jT3_P12ihipStream_tbPNSt15iterator_traitsISN_E10value_typeEPNST_ISO_E10value_typeEPSP_NS1_7vsmem_tEENKUlT_SN_SO_SP_E_clISG_PjSI_PS9_EESM_S12_SN_SO_SP_EUlS12_E_NS1_11comp_targetILNS1_3genE4ELNS1_11target_archE910ELNS1_3gpuE8ELNS1_3repE0EEENS1_48merge_mergepath_partition_config_static_selectorELNS0_4arch9wavefront6targetE1EEEvSO_,comdat
.Lfunc_end52:
	.size	_ZN7rocprim17ROCPRIM_400000_NS6detail17trampoline_kernelINS0_14default_configENS1_38merge_sort_block_merge_config_selectorIjN6thrust23THRUST_200600_302600_NS5tupleIffNS6_9null_typeES8_S8_S8_S8_S8_S8_S8_EEEEZZNS1_27merge_sort_block_merge_implIS3_NS6_6detail15normal_iteratorINS6_10device_ptrIjEEEENSD_INSE_IS9_EEEEjNS1_19radix_merge_compareILb0ELb0EjNS0_19identity_decomposerEEEEE10hipError_tT0_T1_T2_jT3_P12ihipStream_tbPNSt15iterator_traitsISN_E10value_typeEPNST_ISO_E10value_typeEPSP_NS1_7vsmem_tEENKUlT_SN_SO_SP_E_clISG_PjSI_PS9_EESM_S12_SN_SO_SP_EUlS12_E_NS1_11comp_targetILNS1_3genE4ELNS1_11target_archE910ELNS1_3gpuE8ELNS1_3repE0EEENS1_48merge_mergepath_partition_config_static_selectorELNS0_4arch9wavefront6targetE1EEEvSO_, .Lfunc_end52-_ZN7rocprim17ROCPRIM_400000_NS6detail17trampoline_kernelINS0_14default_configENS1_38merge_sort_block_merge_config_selectorIjN6thrust23THRUST_200600_302600_NS5tupleIffNS6_9null_typeES8_S8_S8_S8_S8_S8_S8_EEEEZZNS1_27merge_sort_block_merge_implIS3_NS6_6detail15normal_iteratorINS6_10device_ptrIjEEEENSD_INSE_IS9_EEEEjNS1_19radix_merge_compareILb0ELb0EjNS0_19identity_decomposerEEEEE10hipError_tT0_T1_T2_jT3_P12ihipStream_tbPNSt15iterator_traitsISN_E10value_typeEPNST_ISO_E10value_typeEPSP_NS1_7vsmem_tEENKUlT_SN_SO_SP_E_clISG_PjSI_PS9_EESM_S12_SN_SO_SP_EUlS12_E_NS1_11comp_targetILNS1_3genE4ELNS1_11target_archE910ELNS1_3gpuE8ELNS1_3repE0EEENS1_48merge_mergepath_partition_config_static_selectorELNS0_4arch9wavefront6targetE1EEEvSO_
                                        ; -- End function
	.section	.AMDGPU.csdata,"",@progbits
; Kernel info:
; codeLenInByte = 360
; NumSgprs: 12
; NumVgprs: 17
; NumAgprs: 0
; TotalNumVgprs: 17
; ScratchSize: 0
; MemoryBound: 0
; FloatMode: 240
; IeeeMode: 1
; LDSByteSize: 0 bytes/workgroup (compile time only)
; SGPRBlocks: 1
; VGPRBlocks: 2
; NumSGPRsForWavesPerEU: 12
; NumVGPRsForWavesPerEU: 17
; AccumOffset: 20
; Occupancy: 8
; WaveLimiterHint : 0
; COMPUTE_PGM_RSRC2:SCRATCH_EN: 0
; COMPUTE_PGM_RSRC2:USER_SGPR: 6
; COMPUTE_PGM_RSRC2:TRAP_HANDLER: 0
; COMPUTE_PGM_RSRC2:TGID_X_EN: 1
; COMPUTE_PGM_RSRC2:TGID_Y_EN: 0
; COMPUTE_PGM_RSRC2:TGID_Z_EN: 0
; COMPUTE_PGM_RSRC2:TIDIG_COMP_CNT: 0
; COMPUTE_PGM_RSRC3_GFX90A:ACCUM_OFFSET: 4
; COMPUTE_PGM_RSRC3_GFX90A:TG_SPLIT: 0
	.section	.text._ZN7rocprim17ROCPRIM_400000_NS6detail17trampoline_kernelINS0_14default_configENS1_38merge_sort_block_merge_config_selectorIjN6thrust23THRUST_200600_302600_NS5tupleIffNS6_9null_typeES8_S8_S8_S8_S8_S8_S8_EEEEZZNS1_27merge_sort_block_merge_implIS3_NS6_6detail15normal_iteratorINS6_10device_ptrIjEEEENSD_INSE_IS9_EEEEjNS1_19radix_merge_compareILb0ELb0EjNS0_19identity_decomposerEEEEE10hipError_tT0_T1_T2_jT3_P12ihipStream_tbPNSt15iterator_traitsISN_E10value_typeEPNST_ISO_E10value_typeEPSP_NS1_7vsmem_tEENKUlT_SN_SO_SP_E_clISG_PjSI_PS9_EESM_S12_SN_SO_SP_EUlS12_E_NS1_11comp_targetILNS1_3genE3ELNS1_11target_archE908ELNS1_3gpuE7ELNS1_3repE0EEENS1_48merge_mergepath_partition_config_static_selectorELNS0_4arch9wavefront6targetE1EEEvSO_,"axG",@progbits,_ZN7rocprim17ROCPRIM_400000_NS6detail17trampoline_kernelINS0_14default_configENS1_38merge_sort_block_merge_config_selectorIjN6thrust23THRUST_200600_302600_NS5tupleIffNS6_9null_typeES8_S8_S8_S8_S8_S8_S8_EEEEZZNS1_27merge_sort_block_merge_implIS3_NS6_6detail15normal_iteratorINS6_10device_ptrIjEEEENSD_INSE_IS9_EEEEjNS1_19radix_merge_compareILb0ELb0EjNS0_19identity_decomposerEEEEE10hipError_tT0_T1_T2_jT3_P12ihipStream_tbPNSt15iterator_traitsISN_E10value_typeEPNST_ISO_E10value_typeEPSP_NS1_7vsmem_tEENKUlT_SN_SO_SP_E_clISG_PjSI_PS9_EESM_S12_SN_SO_SP_EUlS12_E_NS1_11comp_targetILNS1_3genE3ELNS1_11target_archE908ELNS1_3gpuE7ELNS1_3repE0EEENS1_48merge_mergepath_partition_config_static_selectorELNS0_4arch9wavefront6targetE1EEEvSO_,comdat
	.protected	_ZN7rocprim17ROCPRIM_400000_NS6detail17trampoline_kernelINS0_14default_configENS1_38merge_sort_block_merge_config_selectorIjN6thrust23THRUST_200600_302600_NS5tupleIffNS6_9null_typeES8_S8_S8_S8_S8_S8_S8_EEEEZZNS1_27merge_sort_block_merge_implIS3_NS6_6detail15normal_iteratorINS6_10device_ptrIjEEEENSD_INSE_IS9_EEEEjNS1_19radix_merge_compareILb0ELb0EjNS0_19identity_decomposerEEEEE10hipError_tT0_T1_T2_jT3_P12ihipStream_tbPNSt15iterator_traitsISN_E10value_typeEPNST_ISO_E10value_typeEPSP_NS1_7vsmem_tEENKUlT_SN_SO_SP_E_clISG_PjSI_PS9_EESM_S12_SN_SO_SP_EUlS12_E_NS1_11comp_targetILNS1_3genE3ELNS1_11target_archE908ELNS1_3gpuE7ELNS1_3repE0EEENS1_48merge_mergepath_partition_config_static_selectorELNS0_4arch9wavefront6targetE1EEEvSO_ ; -- Begin function _ZN7rocprim17ROCPRIM_400000_NS6detail17trampoline_kernelINS0_14default_configENS1_38merge_sort_block_merge_config_selectorIjN6thrust23THRUST_200600_302600_NS5tupleIffNS6_9null_typeES8_S8_S8_S8_S8_S8_S8_EEEEZZNS1_27merge_sort_block_merge_implIS3_NS6_6detail15normal_iteratorINS6_10device_ptrIjEEEENSD_INSE_IS9_EEEEjNS1_19radix_merge_compareILb0ELb0EjNS0_19identity_decomposerEEEEE10hipError_tT0_T1_T2_jT3_P12ihipStream_tbPNSt15iterator_traitsISN_E10value_typeEPNST_ISO_E10value_typeEPSP_NS1_7vsmem_tEENKUlT_SN_SO_SP_E_clISG_PjSI_PS9_EESM_S12_SN_SO_SP_EUlS12_E_NS1_11comp_targetILNS1_3genE3ELNS1_11target_archE908ELNS1_3gpuE7ELNS1_3repE0EEENS1_48merge_mergepath_partition_config_static_selectorELNS0_4arch9wavefront6targetE1EEEvSO_
	.globl	_ZN7rocprim17ROCPRIM_400000_NS6detail17trampoline_kernelINS0_14default_configENS1_38merge_sort_block_merge_config_selectorIjN6thrust23THRUST_200600_302600_NS5tupleIffNS6_9null_typeES8_S8_S8_S8_S8_S8_S8_EEEEZZNS1_27merge_sort_block_merge_implIS3_NS6_6detail15normal_iteratorINS6_10device_ptrIjEEEENSD_INSE_IS9_EEEEjNS1_19radix_merge_compareILb0ELb0EjNS0_19identity_decomposerEEEEE10hipError_tT0_T1_T2_jT3_P12ihipStream_tbPNSt15iterator_traitsISN_E10value_typeEPNST_ISO_E10value_typeEPSP_NS1_7vsmem_tEENKUlT_SN_SO_SP_E_clISG_PjSI_PS9_EESM_S12_SN_SO_SP_EUlS12_E_NS1_11comp_targetILNS1_3genE3ELNS1_11target_archE908ELNS1_3gpuE7ELNS1_3repE0EEENS1_48merge_mergepath_partition_config_static_selectorELNS0_4arch9wavefront6targetE1EEEvSO_
	.p2align	8
	.type	_ZN7rocprim17ROCPRIM_400000_NS6detail17trampoline_kernelINS0_14default_configENS1_38merge_sort_block_merge_config_selectorIjN6thrust23THRUST_200600_302600_NS5tupleIffNS6_9null_typeES8_S8_S8_S8_S8_S8_S8_EEEEZZNS1_27merge_sort_block_merge_implIS3_NS6_6detail15normal_iteratorINS6_10device_ptrIjEEEENSD_INSE_IS9_EEEEjNS1_19radix_merge_compareILb0ELb0EjNS0_19identity_decomposerEEEEE10hipError_tT0_T1_T2_jT3_P12ihipStream_tbPNSt15iterator_traitsISN_E10value_typeEPNST_ISO_E10value_typeEPSP_NS1_7vsmem_tEENKUlT_SN_SO_SP_E_clISG_PjSI_PS9_EESM_S12_SN_SO_SP_EUlS12_E_NS1_11comp_targetILNS1_3genE3ELNS1_11target_archE908ELNS1_3gpuE7ELNS1_3repE0EEENS1_48merge_mergepath_partition_config_static_selectorELNS0_4arch9wavefront6targetE1EEEvSO_,@function
_ZN7rocprim17ROCPRIM_400000_NS6detail17trampoline_kernelINS0_14default_configENS1_38merge_sort_block_merge_config_selectorIjN6thrust23THRUST_200600_302600_NS5tupleIffNS6_9null_typeES8_S8_S8_S8_S8_S8_S8_EEEEZZNS1_27merge_sort_block_merge_implIS3_NS6_6detail15normal_iteratorINS6_10device_ptrIjEEEENSD_INSE_IS9_EEEEjNS1_19radix_merge_compareILb0ELb0EjNS0_19identity_decomposerEEEEE10hipError_tT0_T1_T2_jT3_P12ihipStream_tbPNSt15iterator_traitsISN_E10value_typeEPNST_ISO_E10value_typeEPSP_NS1_7vsmem_tEENKUlT_SN_SO_SP_E_clISG_PjSI_PS9_EESM_S12_SN_SO_SP_EUlS12_E_NS1_11comp_targetILNS1_3genE3ELNS1_11target_archE908ELNS1_3gpuE7ELNS1_3repE0EEENS1_48merge_mergepath_partition_config_static_selectorELNS0_4arch9wavefront6targetE1EEEvSO_: ; @_ZN7rocprim17ROCPRIM_400000_NS6detail17trampoline_kernelINS0_14default_configENS1_38merge_sort_block_merge_config_selectorIjN6thrust23THRUST_200600_302600_NS5tupleIffNS6_9null_typeES8_S8_S8_S8_S8_S8_S8_EEEEZZNS1_27merge_sort_block_merge_implIS3_NS6_6detail15normal_iteratorINS6_10device_ptrIjEEEENSD_INSE_IS9_EEEEjNS1_19radix_merge_compareILb0ELb0EjNS0_19identity_decomposerEEEEE10hipError_tT0_T1_T2_jT3_P12ihipStream_tbPNSt15iterator_traitsISN_E10value_typeEPNST_ISO_E10value_typeEPSP_NS1_7vsmem_tEENKUlT_SN_SO_SP_E_clISG_PjSI_PS9_EESM_S12_SN_SO_SP_EUlS12_E_NS1_11comp_targetILNS1_3genE3ELNS1_11target_archE908ELNS1_3gpuE7ELNS1_3repE0EEENS1_48merge_mergepath_partition_config_static_selectorELNS0_4arch9wavefront6targetE1EEEvSO_
; %bb.0:
	.section	.rodata,"a",@progbits
	.p2align	6, 0x0
	.amdhsa_kernel _ZN7rocprim17ROCPRIM_400000_NS6detail17trampoline_kernelINS0_14default_configENS1_38merge_sort_block_merge_config_selectorIjN6thrust23THRUST_200600_302600_NS5tupleIffNS6_9null_typeES8_S8_S8_S8_S8_S8_S8_EEEEZZNS1_27merge_sort_block_merge_implIS3_NS6_6detail15normal_iteratorINS6_10device_ptrIjEEEENSD_INSE_IS9_EEEEjNS1_19radix_merge_compareILb0ELb0EjNS0_19identity_decomposerEEEEE10hipError_tT0_T1_T2_jT3_P12ihipStream_tbPNSt15iterator_traitsISN_E10value_typeEPNST_ISO_E10value_typeEPSP_NS1_7vsmem_tEENKUlT_SN_SO_SP_E_clISG_PjSI_PS9_EESM_S12_SN_SO_SP_EUlS12_E_NS1_11comp_targetILNS1_3genE3ELNS1_11target_archE908ELNS1_3gpuE7ELNS1_3repE0EEENS1_48merge_mergepath_partition_config_static_selectorELNS0_4arch9wavefront6targetE1EEEvSO_
		.amdhsa_group_segment_fixed_size 0
		.amdhsa_private_segment_fixed_size 0
		.amdhsa_kernarg_size 40
		.amdhsa_user_sgpr_count 6
		.amdhsa_user_sgpr_private_segment_buffer 1
		.amdhsa_user_sgpr_dispatch_ptr 0
		.amdhsa_user_sgpr_queue_ptr 0
		.amdhsa_user_sgpr_kernarg_segment_ptr 1
		.amdhsa_user_sgpr_dispatch_id 0
		.amdhsa_user_sgpr_flat_scratch_init 0
		.amdhsa_user_sgpr_kernarg_preload_length 0
		.amdhsa_user_sgpr_kernarg_preload_offset 0
		.amdhsa_user_sgpr_private_segment_size 0
		.amdhsa_uses_dynamic_stack 0
		.amdhsa_system_sgpr_private_segment_wavefront_offset 0
		.amdhsa_system_sgpr_workgroup_id_x 1
		.amdhsa_system_sgpr_workgroup_id_y 0
		.amdhsa_system_sgpr_workgroup_id_z 0
		.amdhsa_system_sgpr_workgroup_info 0
		.amdhsa_system_vgpr_workitem_id 0
		.amdhsa_next_free_vgpr 1
		.amdhsa_next_free_sgpr 0
		.amdhsa_accum_offset 4
		.amdhsa_reserve_vcc 0
		.amdhsa_reserve_flat_scratch 0
		.amdhsa_float_round_mode_32 0
		.amdhsa_float_round_mode_16_64 0
		.amdhsa_float_denorm_mode_32 3
		.amdhsa_float_denorm_mode_16_64 3
		.amdhsa_dx10_clamp 1
		.amdhsa_ieee_mode 1
		.amdhsa_fp16_overflow 0
		.amdhsa_tg_split 0
		.amdhsa_exception_fp_ieee_invalid_op 0
		.amdhsa_exception_fp_denorm_src 0
		.amdhsa_exception_fp_ieee_div_zero 0
		.amdhsa_exception_fp_ieee_overflow 0
		.amdhsa_exception_fp_ieee_underflow 0
		.amdhsa_exception_fp_ieee_inexact 0
		.amdhsa_exception_int_div_zero 0
	.end_amdhsa_kernel
	.section	.text._ZN7rocprim17ROCPRIM_400000_NS6detail17trampoline_kernelINS0_14default_configENS1_38merge_sort_block_merge_config_selectorIjN6thrust23THRUST_200600_302600_NS5tupleIffNS6_9null_typeES8_S8_S8_S8_S8_S8_S8_EEEEZZNS1_27merge_sort_block_merge_implIS3_NS6_6detail15normal_iteratorINS6_10device_ptrIjEEEENSD_INSE_IS9_EEEEjNS1_19radix_merge_compareILb0ELb0EjNS0_19identity_decomposerEEEEE10hipError_tT0_T1_T2_jT3_P12ihipStream_tbPNSt15iterator_traitsISN_E10value_typeEPNST_ISO_E10value_typeEPSP_NS1_7vsmem_tEENKUlT_SN_SO_SP_E_clISG_PjSI_PS9_EESM_S12_SN_SO_SP_EUlS12_E_NS1_11comp_targetILNS1_3genE3ELNS1_11target_archE908ELNS1_3gpuE7ELNS1_3repE0EEENS1_48merge_mergepath_partition_config_static_selectorELNS0_4arch9wavefront6targetE1EEEvSO_,"axG",@progbits,_ZN7rocprim17ROCPRIM_400000_NS6detail17trampoline_kernelINS0_14default_configENS1_38merge_sort_block_merge_config_selectorIjN6thrust23THRUST_200600_302600_NS5tupleIffNS6_9null_typeES8_S8_S8_S8_S8_S8_S8_EEEEZZNS1_27merge_sort_block_merge_implIS3_NS6_6detail15normal_iteratorINS6_10device_ptrIjEEEENSD_INSE_IS9_EEEEjNS1_19radix_merge_compareILb0ELb0EjNS0_19identity_decomposerEEEEE10hipError_tT0_T1_T2_jT3_P12ihipStream_tbPNSt15iterator_traitsISN_E10value_typeEPNST_ISO_E10value_typeEPSP_NS1_7vsmem_tEENKUlT_SN_SO_SP_E_clISG_PjSI_PS9_EESM_S12_SN_SO_SP_EUlS12_E_NS1_11comp_targetILNS1_3genE3ELNS1_11target_archE908ELNS1_3gpuE7ELNS1_3repE0EEENS1_48merge_mergepath_partition_config_static_selectorELNS0_4arch9wavefront6targetE1EEEvSO_,comdat
.Lfunc_end53:
	.size	_ZN7rocprim17ROCPRIM_400000_NS6detail17trampoline_kernelINS0_14default_configENS1_38merge_sort_block_merge_config_selectorIjN6thrust23THRUST_200600_302600_NS5tupleIffNS6_9null_typeES8_S8_S8_S8_S8_S8_S8_EEEEZZNS1_27merge_sort_block_merge_implIS3_NS6_6detail15normal_iteratorINS6_10device_ptrIjEEEENSD_INSE_IS9_EEEEjNS1_19radix_merge_compareILb0ELb0EjNS0_19identity_decomposerEEEEE10hipError_tT0_T1_T2_jT3_P12ihipStream_tbPNSt15iterator_traitsISN_E10value_typeEPNST_ISO_E10value_typeEPSP_NS1_7vsmem_tEENKUlT_SN_SO_SP_E_clISG_PjSI_PS9_EESM_S12_SN_SO_SP_EUlS12_E_NS1_11comp_targetILNS1_3genE3ELNS1_11target_archE908ELNS1_3gpuE7ELNS1_3repE0EEENS1_48merge_mergepath_partition_config_static_selectorELNS0_4arch9wavefront6targetE1EEEvSO_, .Lfunc_end53-_ZN7rocprim17ROCPRIM_400000_NS6detail17trampoline_kernelINS0_14default_configENS1_38merge_sort_block_merge_config_selectorIjN6thrust23THRUST_200600_302600_NS5tupleIffNS6_9null_typeES8_S8_S8_S8_S8_S8_S8_EEEEZZNS1_27merge_sort_block_merge_implIS3_NS6_6detail15normal_iteratorINS6_10device_ptrIjEEEENSD_INSE_IS9_EEEEjNS1_19radix_merge_compareILb0ELb0EjNS0_19identity_decomposerEEEEE10hipError_tT0_T1_T2_jT3_P12ihipStream_tbPNSt15iterator_traitsISN_E10value_typeEPNST_ISO_E10value_typeEPSP_NS1_7vsmem_tEENKUlT_SN_SO_SP_E_clISG_PjSI_PS9_EESM_S12_SN_SO_SP_EUlS12_E_NS1_11comp_targetILNS1_3genE3ELNS1_11target_archE908ELNS1_3gpuE7ELNS1_3repE0EEENS1_48merge_mergepath_partition_config_static_selectorELNS0_4arch9wavefront6targetE1EEEvSO_
                                        ; -- End function
	.section	.AMDGPU.csdata,"",@progbits
; Kernel info:
; codeLenInByte = 0
; NumSgprs: 4
; NumVgprs: 0
; NumAgprs: 0
; TotalNumVgprs: 0
; ScratchSize: 0
; MemoryBound: 0
; FloatMode: 240
; IeeeMode: 1
; LDSByteSize: 0 bytes/workgroup (compile time only)
; SGPRBlocks: 0
; VGPRBlocks: 0
; NumSGPRsForWavesPerEU: 4
; NumVGPRsForWavesPerEU: 1
; AccumOffset: 4
; Occupancy: 8
; WaveLimiterHint : 0
; COMPUTE_PGM_RSRC2:SCRATCH_EN: 0
; COMPUTE_PGM_RSRC2:USER_SGPR: 6
; COMPUTE_PGM_RSRC2:TRAP_HANDLER: 0
; COMPUTE_PGM_RSRC2:TGID_X_EN: 1
; COMPUTE_PGM_RSRC2:TGID_Y_EN: 0
; COMPUTE_PGM_RSRC2:TGID_Z_EN: 0
; COMPUTE_PGM_RSRC2:TIDIG_COMP_CNT: 0
; COMPUTE_PGM_RSRC3_GFX90A:ACCUM_OFFSET: 0
; COMPUTE_PGM_RSRC3_GFX90A:TG_SPLIT: 0
	.section	.text._ZN7rocprim17ROCPRIM_400000_NS6detail17trampoline_kernelINS0_14default_configENS1_38merge_sort_block_merge_config_selectorIjN6thrust23THRUST_200600_302600_NS5tupleIffNS6_9null_typeES8_S8_S8_S8_S8_S8_S8_EEEEZZNS1_27merge_sort_block_merge_implIS3_NS6_6detail15normal_iteratorINS6_10device_ptrIjEEEENSD_INSE_IS9_EEEEjNS1_19radix_merge_compareILb0ELb0EjNS0_19identity_decomposerEEEEE10hipError_tT0_T1_T2_jT3_P12ihipStream_tbPNSt15iterator_traitsISN_E10value_typeEPNST_ISO_E10value_typeEPSP_NS1_7vsmem_tEENKUlT_SN_SO_SP_E_clISG_PjSI_PS9_EESM_S12_SN_SO_SP_EUlS12_E_NS1_11comp_targetILNS1_3genE2ELNS1_11target_archE906ELNS1_3gpuE6ELNS1_3repE0EEENS1_48merge_mergepath_partition_config_static_selectorELNS0_4arch9wavefront6targetE1EEEvSO_,"axG",@progbits,_ZN7rocprim17ROCPRIM_400000_NS6detail17trampoline_kernelINS0_14default_configENS1_38merge_sort_block_merge_config_selectorIjN6thrust23THRUST_200600_302600_NS5tupleIffNS6_9null_typeES8_S8_S8_S8_S8_S8_S8_EEEEZZNS1_27merge_sort_block_merge_implIS3_NS6_6detail15normal_iteratorINS6_10device_ptrIjEEEENSD_INSE_IS9_EEEEjNS1_19radix_merge_compareILb0ELb0EjNS0_19identity_decomposerEEEEE10hipError_tT0_T1_T2_jT3_P12ihipStream_tbPNSt15iterator_traitsISN_E10value_typeEPNST_ISO_E10value_typeEPSP_NS1_7vsmem_tEENKUlT_SN_SO_SP_E_clISG_PjSI_PS9_EESM_S12_SN_SO_SP_EUlS12_E_NS1_11comp_targetILNS1_3genE2ELNS1_11target_archE906ELNS1_3gpuE6ELNS1_3repE0EEENS1_48merge_mergepath_partition_config_static_selectorELNS0_4arch9wavefront6targetE1EEEvSO_,comdat
	.protected	_ZN7rocprim17ROCPRIM_400000_NS6detail17trampoline_kernelINS0_14default_configENS1_38merge_sort_block_merge_config_selectorIjN6thrust23THRUST_200600_302600_NS5tupleIffNS6_9null_typeES8_S8_S8_S8_S8_S8_S8_EEEEZZNS1_27merge_sort_block_merge_implIS3_NS6_6detail15normal_iteratorINS6_10device_ptrIjEEEENSD_INSE_IS9_EEEEjNS1_19radix_merge_compareILb0ELb0EjNS0_19identity_decomposerEEEEE10hipError_tT0_T1_T2_jT3_P12ihipStream_tbPNSt15iterator_traitsISN_E10value_typeEPNST_ISO_E10value_typeEPSP_NS1_7vsmem_tEENKUlT_SN_SO_SP_E_clISG_PjSI_PS9_EESM_S12_SN_SO_SP_EUlS12_E_NS1_11comp_targetILNS1_3genE2ELNS1_11target_archE906ELNS1_3gpuE6ELNS1_3repE0EEENS1_48merge_mergepath_partition_config_static_selectorELNS0_4arch9wavefront6targetE1EEEvSO_ ; -- Begin function _ZN7rocprim17ROCPRIM_400000_NS6detail17trampoline_kernelINS0_14default_configENS1_38merge_sort_block_merge_config_selectorIjN6thrust23THRUST_200600_302600_NS5tupleIffNS6_9null_typeES8_S8_S8_S8_S8_S8_S8_EEEEZZNS1_27merge_sort_block_merge_implIS3_NS6_6detail15normal_iteratorINS6_10device_ptrIjEEEENSD_INSE_IS9_EEEEjNS1_19radix_merge_compareILb0ELb0EjNS0_19identity_decomposerEEEEE10hipError_tT0_T1_T2_jT3_P12ihipStream_tbPNSt15iterator_traitsISN_E10value_typeEPNST_ISO_E10value_typeEPSP_NS1_7vsmem_tEENKUlT_SN_SO_SP_E_clISG_PjSI_PS9_EESM_S12_SN_SO_SP_EUlS12_E_NS1_11comp_targetILNS1_3genE2ELNS1_11target_archE906ELNS1_3gpuE6ELNS1_3repE0EEENS1_48merge_mergepath_partition_config_static_selectorELNS0_4arch9wavefront6targetE1EEEvSO_
	.globl	_ZN7rocprim17ROCPRIM_400000_NS6detail17trampoline_kernelINS0_14default_configENS1_38merge_sort_block_merge_config_selectorIjN6thrust23THRUST_200600_302600_NS5tupleIffNS6_9null_typeES8_S8_S8_S8_S8_S8_S8_EEEEZZNS1_27merge_sort_block_merge_implIS3_NS6_6detail15normal_iteratorINS6_10device_ptrIjEEEENSD_INSE_IS9_EEEEjNS1_19radix_merge_compareILb0ELb0EjNS0_19identity_decomposerEEEEE10hipError_tT0_T1_T2_jT3_P12ihipStream_tbPNSt15iterator_traitsISN_E10value_typeEPNST_ISO_E10value_typeEPSP_NS1_7vsmem_tEENKUlT_SN_SO_SP_E_clISG_PjSI_PS9_EESM_S12_SN_SO_SP_EUlS12_E_NS1_11comp_targetILNS1_3genE2ELNS1_11target_archE906ELNS1_3gpuE6ELNS1_3repE0EEENS1_48merge_mergepath_partition_config_static_selectorELNS0_4arch9wavefront6targetE1EEEvSO_
	.p2align	8
	.type	_ZN7rocprim17ROCPRIM_400000_NS6detail17trampoline_kernelINS0_14default_configENS1_38merge_sort_block_merge_config_selectorIjN6thrust23THRUST_200600_302600_NS5tupleIffNS6_9null_typeES8_S8_S8_S8_S8_S8_S8_EEEEZZNS1_27merge_sort_block_merge_implIS3_NS6_6detail15normal_iteratorINS6_10device_ptrIjEEEENSD_INSE_IS9_EEEEjNS1_19radix_merge_compareILb0ELb0EjNS0_19identity_decomposerEEEEE10hipError_tT0_T1_T2_jT3_P12ihipStream_tbPNSt15iterator_traitsISN_E10value_typeEPNST_ISO_E10value_typeEPSP_NS1_7vsmem_tEENKUlT_SN_SO_SP_E_clISG_PjSI_PS9_EESM_S12_SN_SO_SP_EUlS12_E_NS1_11comp_targetILNS1_3genE2ELNS1_11target_archE906ELNS1_3gpuE6ELNS1_3repE0EEENS1_48merge_mergepath_partition_config_static_selectorELNS0_4arch9wavefront6targetE1EEEvSO_,@function
_ZN7rocprim17ROCPRIM_400000_NS6detail17trampoline_kernelINS0_14default_configENS1_38merge_sort_block_merge_config_selectorIjN6thrust23THRUST_200600_302600_NS5tupleIffNS6_9null_typeES8_S8_S8_S8_S8_S8_S8_EEEEZZNS1_27merge_sort_block_merge_implIS3_NS6_6detail15normal_iteratorINS6_10device_ptrIjEEEENSD_INSE_IS9_EEEEjNS1_19radix_merge_compareILb0ELb0EjNS0_19identity_decomposerEEEEE10hipError_tT0_T1_T2_jT3_P12ihipStream_tbPNSt15iterator_traitsISN_E10value_typeEPNST_ISO_E10value_typeEPSP_NS1_7vsmem_tEENKUlT_SN_SO_SP_E_clISG_PjSI_PS9_EESM_S12_SN_SO_SP_EUlS12_E_NS1_11comp_targetILNS1_3genE2ELNS1_11target_archE906ELNS1_3gpuE6ELNS1_3repE0EEENS1_48merge_mergepath_partition_config_static_selectorELNS0_4arch9wavefront6targetE1EEEvSO_: ; @_ZN7rocprim17ROCPRIM_400000_NS6detail17trampoline_kernelINS0_14default_configENS1_38merge_sort_block_merge_config_selectorIjN6thrust23THRUST_200600_302600_NS5tupleIffNS6_9null_typeES8_S8_S8_S8_S8_S8_S8_EEEEZZNS1_27merge_sort_block_merge_implIS3_NS6_6detail15normal_iteratorINS6_10device_ptrIjEEEENSD_INSE_IS9_EEEEjNS1_19radix_merge_compareILb0ELb0EjNS0_19identity_decomposerEEEEE10hipError_tT0_T1_T2_jT3_P12ihipStream_tbPNSt15iterator_traitsISN_E10value_typeEPNST_ISO_E10value_typeEPSP_NS1_7vsmem_tEENKUlT_SN_SO_SP_E_clISG_PjSI_PS9_EESM_S12_SN_SO_SP_EUlS12_E_NS1_11comp_targetILNS1_3genE2ELNS1_11target_archE906ELNS1_3gpuE6ELNS1_3repE0EEENS1_48merge_mergepath_partition_config_static_selectorELNS0_4arch9wavefront6targetE1EEEvSO_
; %bb.0:
	.section	.rodata,"a",@progbits
	.p2align	6, 0x0
	.amdhsa_kernel _ZN7rocprim17ROCPRIM_400000_NS6detail17trampoline_kernelINS0_14default_configENS1_38merge_sort_block_merge_config_selectorIjN6thrust23THRUST_200600_302600_NS5tupleIffNS6_9null_typeES8_S8_S8_S8_S8_S8_S8_EEEEZZNS1_27merge_sort_block_merge_implIS3_NS6_6detail15normal_iteratorINS6_10device_ptrIjEEEENSD_INSE_IS9_EEEEjNS1_19radix_merge_compareILb0ELb0EjNS0_19identity_decomposerEEEEE10hipError_tT0_T1_T2_jT3_P12ihipStream_tbPNSt15iterator_traitsISN_E10value_typeEPNST_ISO_E10value_typeEPSP_NS1_7vsmem_tEENKUlT_SN_SO_SP_E_clISG_PjSI_PS9_EESM_S12_SN_SO_SP_EUlS12_E_NS1_11comp_targetILNS1_3genE2ELNS1_11target_archE906ELNS1_3gpuE6ELNS1_3repE0EEENS1_48merge_mergepath_partition_config_static_selectorELNS0_4arch9wavefront6targetE1EEEvSO_
		.amdhsa_group_segment_fixed_size 0
		.amdhsa_private_segment_fixed_size 0
		.amdhsa_kernarg_size 40
		.amdhsa_user_sgpr_count 6
		.amdhsa_user_sgpr_private_segment_buffer 1
		.amdhsa_user_sgpr_dispatch_ptr 0
		.amdhsa_user_sgpr_queue_ptr 0
		.amdhsa_user_sgpr_kernarg_segment_ptr 1
		.amdhsa_user_sgpr_dispatch_id 0
		.amdhsa_user_sgpr_flat_scratch_init 0
		.amdhsa_user_sgpr_kernarg_preload_length 0
		.amdhsa_user_sgpr_kernarg_preload_offset 0
		.amdhsa_user_sgpr_private_segment_size 0
		.amdhsa_uses_dynamic_stack 0
		.amdhsa_system_sgpr_private_segment_wavefront_offset 0
		.amdhsa_system_sgpr_workgroup_id_x 1
		.amdhsa_system_sgpr_workgroup_id_y 0
		.amdhsa_system_sgpr_workgroup_id_z 0
		.amdhsa_system_sgpr_workgroup_info 0
		.amdhsa_system_vgpr_workitem_id 0
		.amdhsa_next_free_vgpr 1
		.amdhsa_next_free_sgpr 0
		.amdhsa_accum_offset 4
		.amdhsa_reserve_vcc 0
		.amdhsa_reserve_flat_scratch 0
		.amdhsa_float_round_mode_32 0
		.amdhsa_float_round_mode_16_64 0
		.amdhsa_float_denorm_mode_32 3
		.amdhsa_float_denorm_mode_16_64 3
		.amdhsa_dx10_clamp 1
		.amdhsa_ieee_mode 1
		.amdhsa_fp16_overflow 0
		.amdhsa_tg_split 0
		.amdhsa_exception_fp_ieee_invalid_op 0
		.amdhsa_exception_fp_denorm_src 0
		.amdhsa_exception_fp_ieee_div_zero 0
		.amdhsa_exception_fp_ieee_overflow 0
		.amdhsa_exception_fp_ieee_underflow 0
		.amdhsa_exception_fp_ieee_inexact 0
		.amdhsa_exception_int_div_zero 0
	.end_amdhsa_kernel
	.section	.text._ZN7rocprim17ROCPRIM_400000_NS6detail17trampoline_kernelINS0_14default_configENS1_38merge_sort_block_merge_config_selectorIjN6thrust23THRUST_200600_302600_NS5tupleIffNS6_9null_typeES8_S8_S8_S8_S8_S8_S8_EEEEZZNS1_27merge_sort_block_merge_implIS3_NS6_6detail15normal_iteratorINS6_10device_ptrIjEEEENSD_INSE_IS9_EEEEjNS1_19radix_merge_compareILb0ELb0EjNS0_19identity_decomposerEEEEE10hipError_tT0_T1_T2_jT3_P12ihipStream_tbPNSt15iterator_traitsISN_E10value_typeEPNST_ISO_E10value_typeEPSP_NS1_7vsmem_tEENKUlT_SN_SO_SP_E_clISG_PjSI_PS9_EESM_S12_SN_SO_SP_EUlS12_E_NS1_11comp_targetILNS1_3genE2ELNS1_11target_archE906ELNS1_3gpuE6ELNS1_3repE0EEENS1_48merge_mergepath_partition_config_static_selectorELNS0_4arch9wavefront6targetE1EEEvSO_,"axG",@progbits,_ZN7rocprim17ROCPRIM_400000_NS6detail17trampoline_kernelINS0_14default_configENS1_38merge_sort_block_merge_config_selectorIjN6thrust23THRUST_200600_302600_NS5tupleIffNS6_9null_typeES8_S8_S8_S8_S8_S8_S8_EEEEZZNS1_27merge_sort_block_merge_implIS3_NS6_6detail15normal_iteratorINS6_10device_ptrIjEEEENSD_INSE_IS9_EEEEjNS1_19radix_merge_compareILb0ELb0EjNS0_19identity_decomposerEEEEE10hipError_tT0_T1_T2_jT3_P12ihipStream_tbPNSt15iterator_traitsISN_E10value_typeEPNST_ISO_E10value_typeEPSP_NS1_7vsmem_tEENKUlT_SN_SO_SP_E_clISG_PjSI_PS9_EESM_S12_SN_SO_SP_EUlS12_E_NS1_11comp_targetILNS1_3genE2ELNS1_11target_archE906ELNS1_3gpuE6ELNS1_3repE0EEENS1_48merge_mergepath_partition_config_static_selectorELNS0_4arch9wavefront6targetE1EEEvSO_,comdat
.Lfunc_end54:
	.size	_ZN7rocprim17ROCPRIM_400000_NS6detail17trampoline_kernelINS0_14default_configENS1_38merge_sort_block_merge_config_selectorIjN6thrust23THRUST_200600_302600_NS5tupleIffNS6_9null_typeES8_S8_S8_S8_S8_S8_S8_EEEEZZNS1_27merge_sort_block_merge_implIS3_NS6_6detail15normal_iteratorINS6_10device_ptrIjEEEENSD_INSE_IS9_EEEEjNS1_19radix_merge_compareILb0ELb0EjNS0_19identity_decomposerEEEEE10hipError_tT0_T1_T2_jT3_P12ihipStream_tbPNSt15iterator_traitsISN_E10value_typeEPNST_ISO_E10value_typeEPSP_NS1_7vsmem_tEENKUlT_SN_SO_SP_E_clISG_PjSI_PS9_EESM_S12_SN_SO_SP_EUlS12_E_NS1_11comp_targetILNS1_3genE2ELNS1_11target_archE906ELNS1_3gpuE6ELNS1_3repE0EEENS1_48merge_mergepath_partition_config_static_selectorELNS0_4arch9wavefront6targetE1EEEvSO_, .Lfunc_end54-_ZN7rocprim17ROCPRIM_400000_NS6detail17trampoline_kernelINS0_14default_configENS1_38merge_sort_block_merge_config_selectorIjN6thrust23THRUST_200600_302600_NS5tupleIffNS6_9null_typeES8_S8_S8_S8_S8_S8_S8_EEEEZZNS1_27merge_sort_block_merge_implIS3_NS6_6detail15normal_iteratorINS6_10device_ptrIjEEEENSD_INSE_IS9_EEEEjNS1_19radix_merge_compareILb0ELb0EjNS0_19identity_decomposerEEEEE10hipError_tT0_T1_T2_jT3_P12ihipStream_tbPNSt15iterator_traitsISN_E10value_typeEPNST_ISO_E10value_typeEPSP_NS1_7vsmem_tEENKUlT_SN_SO_SP_E_clISG_PjSI_PS9_EESM_S12_SN_SO_SP_EUlS12_E_NS1_11comp_targetILNS1_3genE2ELNS1_11target_archE906ELNS1_3gpuE6ELNS1_3repE0EEENS1_48merge_mergepath_partition_config_static_selectorELNS0_4arch9wavefront6targetE1EEEvSO_
                                        ; -- End function
	.section	.AMDGPU.csdata,"",@progbits
; Kernel info:
; codeLenInByte = 0
; NumSgprs: 4
; NumVgprs: 0
; NumAgprs: 0
; TotalNumVgprs: 0
; ScratchSize: 0
; MemoryBound: 0
; FloatMode: 240
; IeeeMode: 1
; LDSByteSize: 0 bytes/workgroup (compile time only)
; SGPRBlocks: 0
; VGPRBlocks: 0
; NumSGPRsForWavesPerEU: 4
; NumVGPRsForWavesPerEU: 1
; AccumOffset: 4
; Occupancy: 8
; WaveLimiterHint : 0
; COMPUTE_PGM_RSRC2:SCRATCH_EN: 0
; COMPUTE_PGM_RSRC2:USER_SGPR: 6
; COMPUTE_PGM_RSRC2:TRAP_HANDLER: 0
; COMPUTE_PGM_RSRC2:TGID_X_EN: 1
; COMPUTE_PGM_RSRC2:TGID_Y_EN: 0
; COMPUTE_PGM_RSRC2:TGID_Z_EN: 0
; COMPUTE_PGM_RSRC2:TIDIG_COMP_CNT: 0
; COMPUTE_PGM_RSRC3_GFX90A:ACCUM_OFFSET: 0
; COMPUTE_PGM_RSRC3_GFX90A:TG_SPLIT: 0
	.section	.text._ZN7rocprim17ROCPRIM_400000_NS6detail17trampoline_kernelINS0_14default_configENS1_38merge_sort_block_merge_config_selectorIjN6thrust23THRUST_200600_302600_NS5tupleIffNS6_9null_typeES8_S8_S8_S8_S8_S8_S8_EEEEZZNS1_27merge_sort_block_merge_implIS3_NS6_6detail15normal_iteratorINS6_10device_ptrIjEEEENSD_INSE_IS9_EEEEjNS1_19radix_merge_compareILb0ELb0EjNS0_19identity_decomposerEEEEE10hipError_tT0_T1_T2_jT3_P12ihipStream_tbPNSt15iterator_traitsISN_E10value_typeEPNST_ISO_E10value_typeEPSP_NS1_7vsmem_tEENKUlT_SN_SO_SP_E_clISG_PjSI_PS9_EESM_S12_SN_SO_SP_EUlS12_E_NS1_11comp_targetILNS1_3genE9ELNS1_11target_archE1100ELNS1_3gpuE3ELNS1_3repE0EEENS1_48merge_mergepath_partition_config_static_selectorELNS0_4arch9wavefront6targetE1EEEvSO_,"axG",@progbits,_ZN7rocprim17ROCPRIM_400000_NS6detail17trampoline_kernelINS0_14default_configENS1_38merge_sort_block_merge_config_selectorIjN6thrust23THRUST_200600_302600_NS5tupleIffNS6_9null_typeES8_S8_S8_S8_S8_S8_S8_EEEEZZNS1_27merge_sort_block_merge_implIS3_NS6_6detail15normal_iteratorINS6_10device_ptrIjEEEENSD_INSE_IS9_EEEEjNS1_19radix_merge_compareILb0ELb0EjNS0_19identity_decomposerEEEEE10hipError_tT0_T1_T2_jT3_P12ihipStream_tbPNSt15iterator_traitsISN_E10value_typeEPNST_ISO_E10value_typeEPSP_NS1_7vsmem_tEENKUlT_SN_SO_SP_E_clISG_PjSI_PS9_EESM_S12_SN_SO_SP_EUlS12_E_NS1_11comp_targetILNS1_3genE9ELNS1_11target_archE1100ELNS1_3gpuE3ELNS1_3repE0EEENS1_48merge_mergepath_partition_config_static_selectorELNS0_4arch9wavefront6targetE1EEEvSO_,comdat
	.protected	_ZN7rocprim17ROCPRIM_400000_NS6detail17trampoline_kernelINS0_14default_configENS1_38merge_sort_block_merge_config_selectorIjN6thrust23THRUST_200600_302600_NS5tupleIffNS6_9null_typeES8_S8_S8_S8_S8_S8_S8_EEEEZZNS1_27merge_sort_block_merge_implIS3_NS6_6detail15normal_iteratorINS6_10device_ptrIjEEEENSD_INSE_IS9_EEEEjNS1_19radix_merge_compareILb0ELb0EjNS0_19identity_decomposerEEEEE10hipError_tT0_T1_T2_jT3_P12ihipStream_tbPNSt15iterator_traitsISN_E10value_typeEPNST_ISO_E10value_typeEPSP_NS1_7vsmem_tEENKUlT_SN_SO_SP_E_clISG_PjSI_PS9_EESM_S12_SN_SO_SP_EUlS12_E_NS1_11comp_targetILNS1_3genE9ELNS1_11target_archE1100ELNS1_3gpuE3ELNS1_3repE0EEENS1_48merge_mergepath_partition_config_static_selectorELNS0_4arch9wavefront6targetE1EEEvSO_ ; -- Begin function _ZN7rocprim17ROCPRIM_400000_NS6detail17trampoline_kernelINS0_14default_configENS1_38merge_sort_block_merge_config_selectorIjN6thrust23THRUST_200600_302600_NS5tupleIffNS6_9null_typeES8_S8_S8_S8_S8_S8_S8_EEEEZZNS1_27merge_sort_block_merge_implIS3_NS6_6detail15normal_iteratorINS6_10device_ptrIjEEEENSD_INSE_IS9_EEEEjNS1_19radix_merge_compareILb0ELb0EjNS0_19identity_decomposerEEEEE10hipError_tT0_T1_T2_jT3_P12ihipStream_tbPNSt15iterator_traitsISN_E10value_typeEPNST_ISO_E10value_typeEPSP_NS1_7vsmem_tEENKUlT_SN_SO_SP_E_clISG_PjSI_PS9_EESM_S12_SN_SO_SP_EUlS12_E_NS1_11comp_targetILNS1_3genE9ELNS1_11target_archE1100ELNS1_3gpuE3ELNS1_3repE0EEENS1_48merge_mergepath_partition_config_static_selectorELNS0_4arch9wavefront6targetE1EEEvSO_
	.globl	_ZN7rocprim17ROCPRIM_400000_NS6detail17trampoline_kernelINS0_14default_configENS1_38merge_sort_block_merge_config_selectorIjN6thrust23THRUST_200600_302600_NS5tupleIffNS6_9null_typeES8_S8_S8_S8_S8_S8_S8_EEEEZZNS1_27merge_sort_block_merge_implIS3_NS6_6detail15normal_iteratorINS6_10device_ptrIjEEEENSD_INSE_IS9_EEEEjNS1_19radix_merge_compareILb0ELb0EjNS0_19identity_decomposerEEEEE10hipError_tT0_T1_T2_jT3_P12ihipStream_tbPNSt15iterator_traitsISN_E10value_typeEPNST_ISO_E10value_typeEPSP_NS1_7vsmem_tEENKUlT_SN_SO_SP_E_clISG_PjSI_PS9_EESM_S12_SN_SO_SP_EUlS12_E_NS1_11comp_targetILNS1_3genE9ELNS1_11target_archE1100ELNS1_3gpuE3ELNS1_3repE0EEENS1_48merge_mergepath_partition_config_static_selectorELNS0_4arch9wavefront6targetE1EEEvSO_
	.p2align	8
	.type	_ZN7rocprim17ROCPRIM_400000_NS6detail17trampoline_kernelINS0_14default_configENS1_38merge_sort_block_merge_config_selectorIjN6thrust23THRUST_200600_302600_NS5tupleIffNS6_9null_typeES8_S8_S8_S8_S8_S8_S8_EEEEZZNS1_27merge_sort_block_merge_implIS3_NS6_6detail15normal_iteratorINS6_10device_ptrIjEEEENSD_INSE_IS9_EEEEjNS1_19radix_merge_compareILb0ELb0EjNS0_19identity_decomposerEEEEE10hipError_tT0_T1_T2_jT3_P12ihipStream_tbPNSt15iterator_traitsISN_E10value_typeEPNST_ISO_E10value_typeEPSP_NS1_7vsmem_tEENKUlT_SN_SO_SP_E_clISG_PjSI_PS9_EESM_S12_SN_SO_SP_EUlS12_E_NS1_11comp_targetILNS1_3genE9ELNS1_11target_archE1100ELNS1_3gpuE3ELNS1_3repE0EEENS1_48merge_mergepath_partition_config_static_selectorELNS0_4arch9wavefront6targetE1EEEvSO_,@function
_ZN7rocprim17ROCPRIM_400000_NS6detail17trampoline_kernelINS0_14default_configENS1_38merge_sort_block_merge_config_selectorIjN6thrust23THRUST_200600_302600_NS5tupleIffNS6_9null_typeES8_S8_S8_S8_S8_S8_S8_EEEEZZNS1_27merge_sort_block_merge_implIS3_NS6_6detail15normal_iteratorINS6_10device_ptrIjEEEENSD_INSE_IS9_EEEEjNS1_19radix_merge_compareILb0ELb0EjNS0_19identity_decomposerEEEEE10hipError_tT0_T1_T2_jT3_P12ihipStream_tbPNSt15iterator_traitsISN_E10value_typeEPNST_ISO_E10value_typeEPSP_NS1_7vsmem_tEENKUlT_SN_SO_SP_E_clISG_PjSI_PS9_EESM_S12_SN_SO_SP_EUlS12_E_NS1_11comp_targetILNS1_3genE9ELNS1_11target_archE1100ELNS1_3gpuE3ELNS1_3repE0EEENS1_48merge_mergepath_partition_config_static_selectorELNS0_4arch9wavefront6targetE1EEEvSO_: ; @_ZN7rocprim17ROCPRIM_400000_NS6detail17trampoline_kernelINS0_14default_configENS1_38merge_sort_block_merge_config_selectorIjN6thrust23THRUST_200600_302600_NS5tupleIffNS6_9null_typeES8_S8_S8_S8_S8_S8_S8_EEEEZZNS1_27merge_sort_block_merge_implIS3_NS6_6detail15normal_iteratorINS6_10device_ptrIjEEEENSD_INSE_IS9_EEEEjNS1_19radix_merge_compareILb0ELb0EjNS0_19identity_decomposerEEEEE10hipError_tT0_T1_T2_jT3_P12ihipStream_tbPNSt15iterator_traitsISN_E10value_typeEPNST_ISO_E10value_typeEPSP_NS1_7vsmem_tEENKUlT_SN_SO_SP_E_clISG_PjSI_PS9_EESM_S12_SN_SO_SP_EUlS12_E_NS1_11comp_targetILNS1_3genE9ELNS1_11target_archE1100ELNS1_3gpuE3ELNS1_3repE0EEENS1_48merge_mergepath_partition_config_static_selectorELNS0_4arch9wavefront6targetE1EEEvSO_
; %bb.0:
	.section	.rodata,"a",@progbits
	.p2align	6, 0x0
	.amdhsa_kernel _ZN7rocprim17ROCPRIM_400000_NS6detail17trampoline_kernelINS0_14default_configENS1_38merge_sort_block_merge_config_selectorIjN6thrust23THRUST_200600_302600_NS5tupleIffNS6_9null_typeES8_S8_S8_S8_S8_S8_S8_EEEEZZNS1_27merge_sort_block_merge_implIS3_NS6_6detail15normal_iteratorINS6_10device_ptrIjEEEENSD_INSE_IS9_EEEEjNS1_19radix_merge_compareILb0ELb0EjNS0_19identity_decomposerEEEEE10hipError_tT0_T1_T2_jT3_P12ihipStream_tbPNSt15iterator_traitsISN_E10value_typeEPNST_ISO_E10value_typeEPSP_NS1_7vsmem_tEENKUlT_SN_SO_SP_E_clISG_PjSI_PS9_EESM_S12_SN_SO_SP_EUlS12_E_NS1_11comp_targetILNS1_3genE9ELNS1_11target_archE1100ELNS1_3gpuE3ELNS1_3repE0EEENS1_48merge_mergepath_partition_config_static_selectorELNS0_4arch9wavefront6targetE1EEEvSO_
		.amdhsa_group_segment_fixed_size 0
		.amdhsa_private_segment_fixed_size 0
		.amdhsa_kernarg_size 40
		.amdhsa_user_sgpr_count 6
		.amdhsa_user_sgpr_private_segment_buffer 1
		.amdhsa_user_sgpr_dispatch_ptr 0
		.amdhsa_user_sgpr_queue_ptr 0
		.amdhsa_user_sgpr_kernarg_segment_ptr 1
		.amdhsa_user_sgpr_dispatch_id 0
		.amdhsa_user_sgpr_flat_scratch_init 0
		.amdhsa_user_sgpr_kernarg_preload_length 0
		.amdhsa_user_sgpr_kernarg_preload_offset 0
		.amdhsa_user_sgpr_private_segment_size 0
		.amdhsa_uses_dynamic_stack 0
		.amdhsa_system_sgpr_private_segment_wavefront_offset 0
		.amdhsa_system_sgpr_workgroup_id_x 1
		.amdhsa_system_sgpr_workgroup_id_y 0
		.amdhsa_system_sgpr_workgroup_id_z 0
		.amdhsa_system_sgpr_workgroup_info 0
		.amdhsa_system_vgpr_workitem_id 0
		.amdhsa_next_free_vgpr 1
		.amdhsa_next_free_sgpr 0
		.amdhsa_accum_offset 4
		.amdhsa_reserve_vcc 0
		.amdhsa_reserve_flat_scratch 0
		.amdhsa_float_round_mode_32 0
		.amdhsa_float_round_mode_16_64 0
		.amdhsa_float_denorm_mode_32 3
		.amdhsa_float_denorm_mode_16_64 3
		.amdhsa_dx10_clamp 1
		.amdhsa_ieee_mode 1
		.amdhsa_fp16_overflow 0
		.amdhsa_tg_split 0
		.amdhsa_exception_fp_ieee_invalid_op 0
		.amdhsa_exception_fp_denorm_src 0
		.amdhsa_exception_fp_ieee_div_zero 0
		.amdhsa_exception_fp_ieee_overflow 0
		.amdhsa_exception_fp_ieee_underflow 0
		.amdhsa_exception_fp_ieee_inexact 0
		.amdhsa_exception_int_div_zero 0
	.end_amdhsa_kernel
	.section	.text._ZN7rocprim17ROCPRIM_400000_NS6detail17trampoline_kernelINS0_14default_configENS1_38merge_sort_block_merge_config_selectorIjN6thrust23THRUST_200600_302600_NS5tupleIffNS6_9null_typeES8_S8_S8_S8_S8_S8_S8_EEEEZZNS1_27merge_sort_block_merge_implIS3_NS6_6detail15normal_iteratorINS6_10device_ptrIjEEEENSD_INSE_IS9_EEEEjNS1_19radix_merge_compareILb0ELb0EjNS0_19identity_decomposerEEEEE10hipError_tT0_T1_T2_jT3_P12ihipStream_tbPNSt15iterator_traitsISN_E10value_typeEPNST_ISO_E10value_typeEPSP_NS1_7vsmem_tEENKUlT_SN_SO_SP_E_clISG_PjSI_PS9_EESM_S12_SN_SO_SP_EUlS12_E_NS1_11comp_targetILNS1_3genE9ELNS1_11target_archE1100ELNS1_3gpuE3ELNS1_3repE0EEENS1_48merge_mergepath_partition_config_static_selectorELNS0_4arch9wavefront6targetE1EEEvSO_,"axG",@progbits,_ZN7rocprim17ROCPRIM_400000_NS6detail17trampoline_kernelINS0_14default_configENS1_38merge_sort_block_merge_config_selectorIjN6thrust23THRUST_200600_302600_NS5tupleIffNS6_9null_typeES8_S8_S8_S8_S8_S8_S8_EEEEZZNS1_27merge_sort_block_merge_implIS3_NS6_6detail15normal_iteratorINS6_10device_ptrIjEEEENSD_INSE_IS9_EEEEjNS1_19radix_merge_compareILb0ELb0EjNS0_19identity_decomposerEEEEE10hipError_tT0_T1_T2_jT3_P12ihipStream_tbPNSt15iterator_traitsISN_E10value_typeEPNST_ISO_E10value_typeEPSP_NS1_7vsmem_tEENKUlT_SN_SO_SP_E_clISG_PjSI_PS9_EESM_S12_SN_SO_SP_EUlS12_E_NS1_11comp_targetILNS1_3genE9ELNS1_11target_archE1100ELNS1_3gpuE3ELNS1_3repE0EEENS1_48merge_mergepath_partition_config_static_selectorELNS0_4arch9wavefront6targetE1EEEvSO_,comdat
.Lfunc_end55:
	.size	_ZN7rocprim17ROCPRIM_400000_NS6detail17trampoline_kernelINS0_14default_configENS1_38merge_sort_block_merge_config_selectorIjN6thrust23THRUST_200600_302600_NS5tupleIffNS6_9null_typeES8_S8_S8_S8_S8_S8_S8_EEEEZZNS1_27merge_sort_block_merge_implIS3_NS6_6detail15normal_iteratorINS6_10device_ptrIjEEEENSD_INSE_IS9_EEEEjNS1_19radix_merge_compareILb0ELb0EjNS0_19identity_decomposerEEEEE10hipError_tT0_T1_T2_jT3_P12ihipStream_tbPNSt15iterator_traitsISN_E10value_typeEPNST_ISO_E10value_typeEPSP_NS1_7vsmem_tEENKUlT_SN_SO_SP_E_clISG_PjSI_PS9_EESM_S12_SN_SO_SP_EUlS12_E_NS1_11comp_targetILNS1_3genE9ELNS1_11target_archE1100ELNS1_3gpuE3ELNS1_3repE0EEENS1_48merge_mergepath_partition_config_static_selectorELNS0_4arch9wavefront6targetE1EEEvSO_, .Lfunc_end55-_ZN7rocprim17ROCPRIM_400000_NS6detail17trampoline_kernelINS0_14default_configENS1_38merge_sort_block_merge_config_selectorIjN6thrust23THRUST_200600_302600_NS5tupleIffNS6_9null_typeES8_S8_S8_S8_S8_S8_S8_EEEEZZNS1_27merge_sort_block_merge_implIS3_NS6_6detail15normal_iteratorINS6_10device_ptrIjEEEENSD_INSE_IS9_EEEEjNS1_19radix_merge_compareILb0ELb0EjNS0_19identity_decomposerEEEEE10hipError_tT0_T1_T2_jT3_P12ihipStream_tbPNSt15iterator_traitsISN_E10value_typeEPNST_ISO_E10value_typeEPSP_NS1_7vsmem_tEENKUlT_SN_SO_SP_E_clISG_PjSI_PS9_EESM_S12_SN_SO_SP_EUlS12_E_NS1_11comp_targetILNS1_3genE9ELNS1_11target_archE1100ELNS1_3gpuE3ELNS1_3repE0EEENS1_48merge_mergepath_partition_config_static_selectorELNS0_4arch9wavefront6targetE1EEEvSO_
                                        ; -- End function
	.section	.AMDGPU.csdata,"",@progbits
; Kernel info:
; codeLenInByte = 0
; NumSgprs: 4
; NumVgprs: 0
; NumAgprs: 0
; TotalNumVgprs: 0
; ScratchSize: 0
; MemoryBound: 0
; FloatMode: 240
; IeeeMode: 1
; LDSByteSize: 0 bytes/workgroup (compile time only)
; SGPRBlocks: 0
; VGPRBlocks: 0
; NumSGPRsForWavesPerEU: 4
; NumVGPRsForWavesPerEU: 1
; AccumOffset: 4
; Occupancy: 8
; WaveLimiterHint : 0
; COMPUTE_PGM_RSRC2:SCRATCH_EN: 0
; COMPUTE_PGM_RSRC2:USER_SGPR: 6
; COMPUTE_PGM_RSRC2:TRAP_HANDLER: 0
; COMPUTE_PGM_RSRC2:TGID_X_EN: 1
; COMPUTE_PGM_RSRC2:TGID_Y_EN: 0
; COMPUTE_PGM_RSRC2:TGID_Z_EN: 0
; COMPUTE_PGM_RSRC2:TIDIG_COMP_CNT: 0
; COMPUTE_PGM_RSRC3_GFX90A:ACCUM_OFFSET: 0
; COMPUTE_PGM_RSRC3_GFX90A:TG_SPLIT: 0
	.section	.text._ZN7rocprim17ROCPRIM_400000_NS6detail17trampoline_kernelINS0_14default_configENS1_38merge_sort_block_merge_config_selectorIjN6thrust23THRUST_200600_302600_NS5tupleIffNS6_9null_typeES8_S8_S8_S8_S8_S8_S8_EEEEZZNS1_27merge_sort_block_merge_implIS3_NS6_6detail15normal_iteratorINS6_10device_ptrIjEEEENSD_INSE_IS9_EEEEjNS1_19radix_merge_compareILb0ELb0EjNS0_19identity_decomposerEEEEE10hipError_tT0_T1_T2_jT3_P12ihipStream_tbPNSt15iterator_traitsISN_E10value_typeEPNST_ISO_E10value_typeEPSP_NS1_7vsmem_tEENKUlT_SN_SO_SP_E_clISG_PjSI_PS9_EESM_S12_SN_SO_SP_EUlS12_E_NS1_11comp_targetILNS1_3genE8ELNS1_11target_archE1030ELNS1_3gpuE2ELNS1_3repE0EEENS1_48merge_mergepath_partition_config_static_selectorELNS0_4arch9wavefront6targetE1EEEvSO_,"axG",@progbits,_ZN7rocprim17ROCPRIM_400000_NS6detail17trampoline_kernelINS0_14default_configENS1_38merge_sort_block_merge_config_selectorIjN6thrust23THRUST_200600_302600_NS5tupleIffNS6_9null_typeES8_S8_S8_S8_S8_S8_S8_EEEEZZNS1_27merge_sort_block_merge_implIS3_NS6_6detail15normal_iteratorINS6_10device_ptrIjEEEENSD_INSE_IS9_EEEEjNS1_19radix_merge_compareILb0ELb0EjNS0_19identity_decomposerEEEEE10hipError_tT0_T1_T2_jT3_P12ihipStream_tbPNSt15iterator_traitsISN_E10value_typeEPNST_ISO_E10value_typeEPSP_NS1_7vsmem_tEENKUlT_SN_SO_SP_E_clISG_PjSI_PS9_EESM_S12_SN_SO_SP_EUlS12_E_NS1_11comp_targetILNS1_3genE8ELNS1_11target_archE1030ELNS1_3gpuE2ELNS1_3repE0EEENS1_48merge_mergepath_partition_config_static_selectorELNS0_4arch9wavefront6targetE1EEEvSO_,comdat
	.protected	_ZN7rocprim17ROCPRIM_400000_NS6detail17trampoline_kernelINS0_14default_configENS1_38merge_sort_block_merge_config_selectorIjN6thrust23THRUST_200600_302600_NS5tupleIffNS6_9null_typeES8_S8_S8_S8_S8_S8_S8_EEEEZZNS1_27merge_sort_block_merge_implIS3_NS6_6detail15normal_iteratorINS6_10device_ptrIjEEEENSD_INSE_IS9_EEEEjNS1_19radix_merge_compareILb0ELb0EjNS0_19identity_decomposerEEEEE10hipError_tT0_T1_T2_jT3_P12ihipStream_tbPNSt15iterator_traitsISN_E10value_typeEPNST_ISO_E10value_typeEPSP_NS1_7vsmem_tEENKUlT_SN_SO_SP_E_clISG_PjSI_PS9_EESM_S12_SN_SO_SP_EUlS12_E_NS1_11comp_targetILNS1_3genE8ELNS1_11target_archE1030ELNS1_3gpuE2ELNS1_3repE0EEENS1_48merge_mergepath_partition_config_static_selectorELNS0_4arch9wavefront6targetE1EEEvSO_ ; -- Begin function _ZN7rocprim17ROCPRIM_400000_NS6detail17trampoline_kernelINS0_14default_configENS1_38merge_sort_block_merge_config_selectorIjN6thrust23THRUST_200600_302600_NS5tupleIffNS6_9null_typeES8_S8_S8_S8_S8_S8_S8_EEEEZZNS1_27merge_sort_block_merge_implIS3_NS6_6detail15normal_iteratorINS6_10device_ptrIjEEEENSD_INSE_IS9_EEEEjNS1_19radix_merge_compareILb0ELb0EjNS0_19identity_decomposerEEEEE10hipError_tT0_T1_T2_jT3_P12ihipStream_tbPNSt15iterator_traitsISN_E10value_typeEPNST_ISO_E10value_typeEPSP_NS1_7vsmem_tEENKUlT_SN_SO_SP_E_clISG_PjSI_PS9_EESM_S12_SN_SO_SP_EUlS12_E_NS1_11comp_targetILNS1_3genE8ELNS1_11target_archE1030ELNS1_3gpuE2ELNS1_3repE0EEENS1_48merge_mergepath_partition_config_static_selectorELNS0_4arch9wavefront6targetE1EEEvSO_
	.globl	_ZN7rocprim17ROCPRIM_400000_NS6detail17trampoline_kernelINS0_14default_configENS1_38merge_sort_block_merge_config_selectorIjN6thrust23THRUST_200600_302600_NS5tupleIffNS6_9null_typeES8_S8_S8_S8_S8_S8_S8_EEEEZZNS1_27merge_sort_block_merge_implIS3_NS6_6detail15normal_iteratorINS6_10device_ptrIjEEEENSD_INSE_IS9_EEEEjNS1_19radix_merge_compareILb0ELb0EjNS0_19identity_decomposerEEEEE10hipError_tT0_T1_T2_jT3_P12ihipStream_tbPNSt15iterator_traitsISN_E10value_typeEPNST_ISO_E10value_typeEPSP_NS1_7vsmem_tEENKUlT_SN_SO_SP_E_clISG_PjSI_PS9_EESM_S12_SN_SO_SP_EUlS12_E_NS1_11comp_targetILNS1_3genE8ELNS1_11target_archE1030ELNS1_3gpuE2ELNS1_3repE0EEENS1_48merge_mergepath_partition_config_static_selectorELNS0_4arch9wavefront6targetE1EEEvSO_
	.p2align	8
	.type	_ZN7rocprim17ROCPRIM_400000_NS6detail17trampoline_kernelINS0_14default_configENS1_38merge_sort_block_merge_config_selectorIjN6thrust23THRUST_200600_302600_NS5tupleIffNS6_9null_typeES8_S8_S8_S8_S8_S8_S8_EEEEZZNS1_27merge_sort_block_merge_implIS3_NS6_6detail15normal_iteratorINS6_10device_ptrIjEEEENSD_INSE_IS9_EEEEjNS1_19radix_merge_compareILb0ELb0EjNS0_19identity_decomposerEEEEE10hipError_tT0_T1_T2_jT3_P12ihipStream_tbPNSt15iterator_traitsISN_E10value_typeEPNST_ISO_E10value_typeEPSP_NS1_7vsmem_tEENKUlT_SN_SO_SP_E_clISG_PjSI_PS9_EESM_S12_SN_SO_SP_EUlS12_E_NS1_11comp_targetILNS1_3genE8ELNS1_11target_archE1030ELNS1_3gpuE2ELNS1_3repE0EEENS1_48merge_mergepath_partition_config_static_selectorELNS0_4arch9wavefront6targetE1EEEvSO_,@function
_ZN7rocprim17ROCPRIM_400000_NS6detail17trampoline_kernelINS0_14default_configENS1_38merge_sort_block_merge_config_selectorIjN6thrust23THRUST_200600_302600_NS5tupleIffNS6_9null_typeES8_S8_S8_S8_S8_S8_S8_EEEEZZNS1_27merge_sort_block_merge_implIS3_NS6_6detail15normal_iteratorINS6_10device_ptrIjEEEENSD_INSE_IS9_EEEEjNS1_19radix_merge_compareILb0ELb0EjNS0_19identity_decomposerEEEEE10hipError_tT0_T1_T2_jT3_P12ihipStream_tbPNSt15iterator_traitsISN_E10value_typeEPNST_ISO_E10value_typeEPSP_NS1_7vsmem_tEENKUlT_SN_SO_SP_E_clISG_PjSI_PS9_EESM_S12_SN_SO_SP_EUlS12_E_NS1_11comp_targetILNS1_3genE8ELNS1_11target_archE1030ELNS1_3gpuE2ELNS1_3repE0EEENS1_48merge_mergepath_partition_config_static_selectorELNS0_4arch9wavefront6targetE1EEEvSO_: ; @_ZN7rocprim17ROCPRIM_400000_NS6detail17trampoline_kernelINS0_14default_configENS1_38merge_sort_block_merge_config_selectorIjN6thrust23THRUST_200600_302600_NS5tupleIffNS6_9null_typeES8_S8_S8_S8_S8_S8_S8_EEEEZZNS1_27merge_sort_block_merge_implIS3_NS6_6detail15normal_iteratorINS6_10device_ptrIjEEEENSD_INSE_IS9_EEEEjNS1_19radix_merge_compareILb0ELb0EjNS0_19identity_decomposerEEEEE10hipError_tT0_T1_T2_jT3_P12ihipStream_tbPNSt15iterator_traitsISN_E10value_typeEPNST_ISO_E10value_typeEPSP_NS1_7vsmem_tEENKUlT_SN_SO_SP_E_clISG_PjSI_PS9_EESM_S12_SN_SO_SP_EUlS12_E_NS1_11comp_targetILNS1_3genE8ELNS1_11target_archE1030ELNS1_3gpuE2ELNS1_3repE0EEENS1_48merge_mergepath_partition_config_static_selectorELNS0_4arch9wavefront6targetE1EEEvSO_
; %bb.0:
	.section	.rodata,"a",@progbits
	.p2align	6, 0x0
	.amdhsa_kernel _ZN7rocprim17ROCPRIM_400000_NS6detail17trampoline_kernelINS0_14default_configENS1_38merge_sort_block_merge_config_selectorIjN6thrust23THRUST_200600_302600_NS5tupleIffNS6_9null_typeES8_S8_S8_S8_S8_S8_S8_EEEEZZNS1_27merge_sort_block_merge_implIS3_NS6_6detail15normal_iteratorINS6_10device_ptrIjEEEENSD_INSE_IS9_EEEEjNS1_19radix_merge_compareILb0ELb0EjNS0_19identity_decomposerEEEEE10hipError_tT0_T1_T2_jT3_P12ihipStream_tbPNSt15iterator_traitsISN_E10value_typeEPNST_ISO_E10value_typeEPSP_NS1_7vsmem_tEENKUlT_SN_SO_SP_E_clISG_PjSI_PS9_EESM_S12_SN_SO_SP_EUlS12_E_NS1_11comp_targetILNS1_3genE8ELNS1_11target_archE1030ELNS1_3gpuE2ELNS1_3repE0EEENS1_48merge_mergepath_partition_config_static_selectorELNS0_4arch9wavefront6targetE1EEEvSO_
		.amdhsa_group_segment_fixed_size 0
		.amdhsa_private_segment_fixed_size 0
		.amdhsa_kernarg_size 40
		.amdhsa_user_sgpr_count 6
		.amdhsa_user_sgpr_private_segment_buffer 1
		.amdhsa_user_sgpr_dispatch_ptr 0
		.amdhsa_user_sgpr_queue_ptr 0
		.amdhsa_user_sgpr_kernarg_segment_ptr 1
		.amdhsa_user_sgpr_dispatch_id 0
		.amdhsa_user_sgpr_flat_scratch_init 0
		.amdhsa_user_sgpr_kernarg_preload_length 0
		.amdhsa_user_sgpr_kernarg_preload_offset 0
		.amdhsa_user_sgpr_private_segment_size 0
		.amdhsa_uses_dynamic_stack 0
		.amdhsa_system_sgpr_private_segment_wavefront_offset 0
		.amdhsa_system_sgpr_workgroup_id_x 1
		.amdhsa_system_sgpr_workgroup_id_y 0
		.amdhsa_system_sgpr_workgroup_id_z 0
		.amdhsa_system_sgpr_workgroup_info 0
		.amdhsa_system_vgpr_workitem_id 0
		.amdhsa_next_free_vgpr 1
		.amdhsa_next_free_sgpr 0
		.amdhsa_accum_offset 4
		.amdhsa_reserve_vcc 0
		.amdhsa_reserve_flat_scratch 0
		.amdhsa_float_round_mode_32 0
		.amdhsa_float_round_mode_16_64 0
		.amdhsa_float_denorm_mode_32 3
		.amdhsa_float_denorm_mode_16_64 3
		.amdhsa_dx10_clamp 1
		.amdhsa_ieee_mode 1
		.amdhsa_fp16_overflow 0
		.amdhsa_tg_split 0
		.amdhsa_exception_fp_ieee_invalid_op 0
		.amdhsa_exception_fp_denorm_src 0
		.amdhsa_exception_fp_ieee_div_zero 0
		.amdhsa_exception_fp_ieee_overflow 0
		.amdhsa_exception_fp_ieee_underflow 0
		.amdhsa_exception_fp_ieee_inexact 0
		.amdhsa_exception_int_div_zero 0
	.end_amdhsa_kernel
	.section	.text._ZN7rocprim17ROCPRIM_400000_NS6detail17trampoline_kernelINS0_14default_configENS1_38merge_sort_block_merge_config_selectorIjN6thrust23THRUST_200600_302600_NS5tupleIffNS6_9null_typeES8_S8_S8_S8_S8_S8_S8_EEEEZZNS1_27merge_sort_block_merge_implIS3_NS6_6detail15normal_iteratorINS6_10device_ptrIjEEEENSD_INSE_IS9_EEEEjNS1_19radix_merge_compareILb0ELb0EjNS0_19identity_decomposerEEEEE10hipError_tT0_T1_T2_jT3_P12ihipStream_tbPNSt15iterator_traitsISN_E10value_typeEPNST_ISO_E10value_typeEPSP_NS1_7vsmem_tEENKUlT_SN_SO_SP_E_clISG_PjSI_PS9_EESM_S12_SN_SO_SP_EUlS12_E_NS1_11comp_targetILNS1_3genE8ELNS1_11target_archE1030ELNS1_3gpuE2ELNS1_3repE0EEENS1_48merge_mergepath_partition_config_static_selectorELNS0_4arch9wavefront6targetE1EEEvSO_,"axG",@progbits,_ZN7rocprim17ROCPRIM_400000_NS6detail17trampoline_kernelINS0_14default_configENS1_38merge_sort_block_merge_config_selectorIjN6thrust23THRUST_200600_302600_NS5tupleIffNS6_9null_typeES8_S8_S8_S8_S8_S8_S8_EEEEZZNS1_27merge_sort_block_merge_implIS3_NS6_6detail15normal_iteratorINS6_10device_ptrIjEEEENSD_INSE_IS9_EEEEjNS1_19radix_merge_compareILb0ELb0EjNS0_19identity_decomposerEEEEE10hipError_tT0_T1_T2_jT3_P12ihipStream_tbPNSt15iterator_traitsISN_E10value_typeEPNST_ISO_E10value_typeEPSP_NS1_7vsmem_tEENKUlT_SN_SO_SP_E_clISG_PjSI_PS9_EESM_S12_SN_SO_SP_EUlS12_E_NS1_11comp_targetILNS1_3genE8ELNS1_11target_archE1030ELNS1_3gpuE2ELNS1_3repE0EEENS1_48merge_mergepath_partition_config_static_selectorELNS0_4arch9wavefront6targetE1EEEvSO_,comdat
.Lfunc_end56:
	.size	_ZN7rocprim17ROCPRIM_400000_NS6detail17trampoline_kernelINS0_14default_configENS1_38merge_sort_block_merge_config_selectorIjN6thrust23THRUST_200600_302600_NS5tupleIffNS6_9null_typeES8_S8_S8_S8_S8_S8_S8_EEEEZZNS1_27merge_sort_block_merge_implIS3_NS6_6detail15normal_iteratorINS6_10device_ptrIjEEEENSD_INSE_IS9_EEEEjNS1_19radix_merge_compareILb0ELb0EjNS0_19identity_decomposerEEEEE10hipError_tT0_T1_T2_jT3_P12ihipStream_tbPNSt15iterator_traitsISN_E10value_typeEPNST_ISO_E10value_typeEPSP_NS1_7vsmem_tEENKUlT_SN_SO_SP_E_clISG_PjSI_PS9_EESM_S12_SN_SO_SP_EUlS12_E_NS1_11comp_targetILNS1_3genE8ELNS1_11target_archE1030ELNS1_3gpuE2ELNS1_3repE0EEENS1_48merge_mergepath_partition_config_static_selectorELNS0_4arch9wavefront6targetE1EEEvSO_, .Lfunc_end56-_ZN7rocprim17ROCPRIM_400000_NS6detail17trampoline_kernelINS0_14default_configENS1_38merge_sort_block_merge_config_selectorIjN6thrust23THRUST_200600_302600_NS5tupleIffNS6_9null_typeES8_S8_S8_S8_S8_S8_S8_EEEEZZNS1_27merge_sort_block_merge_implIS3_NS6_6detail15normal_iteratorINS6_10device_ptrIjEEEENSD_INSE_IS9_EEEEjNS1_19radix_merge_compareILb0ELb0EjNS0_19identity_decomposerEEEEE10hipError_tT0_T1_T2_jT3_P12ihipStream_tbPNSt15iterator_traitsISN_E10value_typeEPNST_ISO_E10value_typeEPSP_NS1_7vsmem_tEENKUlT_SN_SO_SP_E_clISG_PjSI_PS9_EESM_S12_SN_SO_SP_EUlS12_E_NS1_11comp_targetILNS1_3genE8ELNS1_11target_archE1030ELNS1_3gpuE2ELNS1_3repE0EEENS1_48merge_mergepath_partition_config_static_selectorELNS0_4arch9wavefront6targetE1EEEvSO_
                                        ; -- End function
	.section	.AMDGPU.csdata,"",@progbits
; Kernel info:
; codeLenInByte = 0
; NumSgprs: 4
; NumVgprs: 0
; NumAgprs: 0
; TotalNumVgprs: 0
; ScratchSize: 0
; MemoryBound: 0
; FloatMode: 240
; IeeeMode: 1
; LDSByteSize: 0 bytes/workgroup (compile time only)
; SGPRBlocks: 0
; VGPRBlocks: 0
; NumSGPRsForWavesPerEU: 4
; NumVGPRsForWavesPerEU: 1
; AccumOffset: 4
; Occupancy: 8
; WaveLimiterHint : 0
; COMPUTE_PGM_RSRC2:SCRATCH_EN: 0
; COMPUTE_PGM_RSRC2:USER_SGPR: 6
; COMPUTE_PGM_RSRC2:TRAP_HANDLER: 0
; COMPUTE_PGM_RSRC2:TGID_X_EN: 1
; COMPUTE_PGM_RSRC2:TGID_Y_EN: 0
; COMPUTE_PGM_RSRC2:TGID_Z_EN: 0
; COMPUTE_PGM_RSRC2:TIDIG_COMP_CNT: 0
; COMPUTE_PGM_RSRC3_GFX90A:ACCUM_OFFSET: 0
; COMPUTE_PGM_RSRC3_GFX90A:TG_SPLIT: 0
	.section	.text._ZN7rocprim17ROCPRIM_400000_NS6detail17trampoline_kernelINS0_14default_configENS1_38merge_sort_block_merge_config_selectorIjN6thrust23THRUST_200600_302600_NS5tupleIffNS6_9null_typeES8_S8_S8_S8_S8_S8_S8_EEEEZZNS1_27merge_sort_block_merge_implIS3_NS6_6detail15normal_iteratorINS6_10device_ptrIjEEEENSD_INSE_IS9_EEEEjNS1_19radix_merge_compareILb0ELb0EjNS0_19identity_decomposerEEEEE10hipError_tT0_T1_T2_jT3_P12ihipStream_tbPNSt15iterator_traitsISN_E10value_typeEPNST_ISO_E10value_typeEPSP_NS1_7vsmem_tEENKUlT_SN_SO_SP_E_clISG_PjSI_PS9_EESM_S12_SN_SO_SP_EUlS12_E0_NS1_11comp_targetILNS1_3genE0ELNS1_11target_archE4294967295ELNS1_3gpuE0ELNS1_3repE0EEENS1_38merge_mergepath_config_static_selectorELNS0_4arch9wavefront6targetE1EEEvSO_,"axG",@progbits,_ZN7rocprim17ROCPRIM_400000_NS6detail17trampoline_kernelINS0_14default_configENS1_38merge_sort_block_merge_config_selectorIjN6thrust23THRUST_200600_302600_NS5tupleIffNS6_9null_typeES8_S8_S8_S8_S8_S8_S8_EEEEZZNS1_27merge_sort_block_merge_implIS3_NS6_6detail15normal_iteratorINS6_10device_ptrIjEEEENSD_INSE_IS9_EEEEjNS1_19radix_merge_compareILb0ELb0EjNS0_19identity_decomposerEEEEE10hipError_tT0_T1_T2_jT3_P12ihipStream_tbPNSt15iterator_traitsISN_E10value_typeEPNST_ISO_E10value_typeEPSP_NS1_7vsmem_tEENKUlT_SN_SO_SP_E_clISG_PjSI_PS9_EESM_S12_SN_SO_SP_EUlS12_E0_NS1_11comp_targetILNS1_3genE0ELNS1_11target_archE4294967295ELNS1_3gpuE0ELNS1_3repE0EEENS1_38merge_mergepath_config_static_selectorELNS0_4arch9wavefront6targetE1EEEvSO_,comdat
	.protected	_ZN7rocprim17ROCPRIM_400000_NS6detail17trampoline_kernelINS0_14default_configENS1_38merge_sort_block_merge_config_selectorIjN6thrust23THRUST_200600_302600_NS5tupleIffNS6_9null_typeES8_S8_S8_S8_S8_S8_S8_EEEEZZNS1_27merge_sort_block_merge_implIS3_NS6_6detail15normal_iteratorINS6_10device_ptrIjEEEENSD_INSE_IS9_EEEEjNS1_19radix_merge_compareILb0ELb0EjNS0_19identity_decomposerEEEEE10hipError_tT0_T1_T2_jT3_P12ihipStream_tbPNSt15iterator_traitsISN_E10value_typeEPNST_ISO_E10value_typeEPSP_NS1_7vsmem_tEENKUlT_SN_SO_SP_E_clISG_PjSI_PS9_EESM_S12_SN_SO_SP_EUlS12_E0_NS1_11comp_targetILNS1_3genE0ELNS1_11target_archE4294967295ELNS1_3gpuE0ELNS1_3repE0EEENS1_38merge_mergepath_config_static_selectorELNS0_4arch9wavefront6targetE1EEEvSO_ ; -- Begin function _ZN7rocprim17ROCPRIM_400000_NS6detail17trampoline_kernelINS0_14default_configENS1_38merge_sort_block_merge_config_selectorIjN6thrust23THRUST_200600_302600_NS5tupleIffNS6_9null_typeES8_S8_S8_S8_S8_S8_S8_EEEEZZNS1_27merge_sort_block_merge_implIS3_NS6_6detail15normal_iteratorINS6_10device_ptrIjEEEENSD_INSE_IS9_EEEEjNS1_19radix_merge_compareILb0ELb0EjNS0_19identity_decomposerEEEEE10hipError_tT0_T1_T2_jT3_P12ihipStream_tbPNSt15iterator_traitsISN_E10value_typeEPNST_ISO_E10value_typeEPSP_NS1_7vsmem_tEENKUlT_SN_SO_SP_E_clISG_PjSI_PS9_EESM_S12_SN_SO_SP_EUlS12_E0_NS1_11comp_targetILNS1_3genE0ELNS1_11target_archE4294967295ELNS1_3gpuE0ELNS1_3repE0EEENS1_38merge_mergepath_config_static_selectorELNS0_4arch9wavefront6targetE1EEEvSO_
	.globl	_ZN7rocprim17ROCPRIM_400000_NS6detail17trampoline_kernelINS0_14default_configENS1_38merge_sort_block_merge_config_selectorIjN6thrust23THRUST_200600_302600_NS5tupleIffNS6_9null_typeES8_S8_S8_S8_S8_S8_S8_EEEEZZNS1_27merge_sort_block_merge_implIS3_NS6_6detail15normal_iteratorINS6_10device_ptrIjEEEENSD_INSE_IS9_EEEEjNS1_19radix_merge_compareILb0ELb0EjNS0_19identity_decomposerEEEEE10hipError_tT0_T1_T2_jT3_P12ihipStream_tbPNSt15iterator_traitsISN_E10value_typeEPNST_ISO_E10value_typeEPSP_NS1_7vsmem_tEENKUlT_SN_SO_SP_E_clISG_PjSI_PS9_EESM_S12_SN_SO_SP_EUlS12_E0_NS1_11comp_targetILNS1_3genE0ELNS1_11target_archE4294967295ELNS1_3gpuE0ELNS1_3repE0EEENS1_38merge_mergepath_config_static_selectorELNS0_4arch9wavefront6targetE1EEEvSO_
	.p2align	8
	.type	_ZN7rocprim17ROCPRIM_400000_NS6detail17trampoline_kernelINS0_14default_configENS1_38merge_sort_block_merge_config_selectorIjN6thrust23THRUST_200600_302600_NS5tupleIffNS6_9null_typeES8_S8_S8_S8_S8_S8_S8_EEEEZZNS1_27merge_sort_block_merge_implIS3_NS6_6detail15normal_iteratorINS6_10device_ptrIjEEEENSD_INSE_IS9_EEEEjNS1_19radix_merge_compareILb0ELb0EjNS0_19identity_decomposerEEEEE10hipError_tT0_T1_T2_jT3_P12ihipStream_tbPNSt15iterator_traitsISN_E10value_typeEPNST_ISO_E10value_typeEPSP_NS1_7vsmem_tEENKUlT_SN_SO_SP_E_clISG_PjSI_PS9_EESM_S12_SN_SO_SP_EUlS12_E0_NS1_11comp_targetILNS1_3genE0ELNS1_11target_archE4294967295ELNS1_3gpuE0ELNS1_3repE0EEENS1_38merge_mergepath_config_static_selectorELNS0_4arch9wavefront6targetE1EEEvSO_,@function
_ZN7rocprim17ROCPRIM_400000_NS6detail17trampoline_kernelINS0_14default_configENS1_38merge_sort_block_merge_config_selectorIjN6thrust23THRUST_200600_302600_NS5tupleIffNS6_9null_typeES8_S8_S8_S8_S8_S8_S8_EEEEZZNS1_27merge_sort_block_merge_implIS3_NS6_6detail15normal_iteratorINS6_10device_ptrIjEEEENSD_INSE_IS9_EEEEjNS1_19radix_merge_compareILb0ELb0EjNS0_19identity_decomposerEEEEE10hipError_tT0_T1_T2_jT3_P12ihipStream_tbPNSt15iterator_traitsISN_E10value_typeEPNST_ISO_E10value_typeEPSP_NS1_7vsmem_tEENKUlT_SN_SO_SP_E_clISG_PjSI_PS9_EESM_S12_SN_SO_SP_EUlS12_E0_NS1_11comp_targetILNS1_3genE0ELNS1_11target_archE4294967295ELNS1_3gpuE0ELNS1_3repE0EEENS1_38merge_mergepath_config_static_selectorELNS0_4arch9wavefront6targetE1EEEvSO_: ; @_ZN7rocprim17ROCPRIM_400000_NS6detail17trampoline_kernelINS0_14default_configENS1_38merge_sort_block_merge_config_selectorIjN6thrust23THRUST_200600_302600_NS5tupleIffNS6_9null_typeES8_S8_S8_S8_S8_S8_S8_EEEEZZNS1_27merge_sort_block_merge_implIS3_NS6_6detail15normal_iteratorINS6_10device_ptrIjEEEENSD_INSE_IS9_EEEEjNS1_19radix_merge_compareILb0ELb0EjNS0_19identity_decomposerEEEEE10hipError_tT0_T1_T2_jT3_P12ihipStream_tbPNSt15iterator_traitsISN_E10value_typeEPNST_ISO_E10value_typeEPSP_NS1_7vsmem_tEENKUlT_SN_SO_SP_E_clISG_PjSI_PS9_EESM_S12_SN_SO_SP_EUlS12_E0_NS1_11comp_targetILNS1_3genE0ELNS1_11target_archE4294967295ELNS1_3gpuE0ELNS1_3repE0EEENS1_38merge_mergepath_config_static_selectorELNS0_4arch9wavefront6targetE1EEEvSO_
; %bb.0:
	.section	.rodata,"a",@progbits
	.p2align	6, 0x0
	.amdhsa_kernel _ZN7rocprim17ROCPRIM_400000_NS6detail17trampoline_kernelINS0_14default_configENS1_38merge_sort_block_merge_config_selectorIjN6thrust23THRUST_200600_302600_NS5tupleIffNS6_9null_typeES8_S8_S8_S8_S8_S8_S8_EEEEZZNS1_27merge_sort_block_merge_implIS3_NS6_6detail15normal_iteratorINS6_10device_ptrIjEEEENSD_INSE_IS9_EEEEjNS1_19radix_merge_compareILb0ELb0EjNS0_19identity_decomposerEEEEE10hipError_tT0_T1_T2_jT3_P12ihipStream_tbPNSt15iterator_traitsISN_E10value_typeEPNST_ISO_E10value_typeEPSP_NS1_7vsmem_tEENKUlT_SN_SO_SP_E_clISG_PjSI_PS9_EESM_S12_SN_SO_SP_EUlS12_E0_NS1_11comp_targetILNS1_3genE0ELNS1_11target_archE4294967295ELNS1_3gpuE0ELNS1_3repE0EEENS1_38merge_mergepath_config_static_selectorELNS0_4arch9wavefront6targetE1EEEvSO_
		.amdhsa_group_segment_fixed_size 0
		.amdhsa_private_segment_fixed_size 0
		.amdhsa_kernarg_size 64
		.amdhsa_user_sgpr_count 6
		.amdhsa_user_sgpr_private_segment_buffer 1
		.amdhsa_user_sgpr_dispatch_ptr 0
		.amdhsa_user_sgpr_queue_ptr 0
		.amdhsa_user_sgpr_kernarg_segment_ptr 1
		.amdhsa_user_sgpr_dispatch_id 0
		.amdhsa_user_sgpr_flat_scratch_init 0
		.amdhsa_user_sgpr_kernarg_preload_length 0
		.amdhsa_user_sgpr_kernarg_preload_offset 0
		.amdhsa_user_sgpr_private_segment_size 0
		.amdhsa_uses_dynamic_stack 0
		.amdhsa_system_sgpr_private_segment_wavefront_offset 0
		.amdhsa_system_sgpr_workgroup_id_x 1
		.amdhsa_system_sgpr_workgroup_id_y 0
		.amdhsa_system_sgpr_workgroup_id_z 0
		.amdhsa_system_sgpr_workgroup_info 0
		.amdhsa_system_vgpr_workitem_id 0
		.amdhsa_next_free_vgpr 1
		.amdhsa_next_free_sgpr 0
		.amdhsa_accum_offset 4
		.amdhsa_reserve_vcc 0
		.amdhsa_reserve_flat_scratch 0
		.amdhsa_float_round_mode_32 0
		.amdhsa_float_round_mode_16_64 0
		.amdhsa_float_denorm_mode_32 3
		.amdhsa_float_denorm_mode_16_64 3
		.amdhsa_dx10_clamp 1
		.amdhsa_ieee_mode 1
		.amdhsa_fp16_overflow 0
		.amdhsa_tg_split 0
		.amdhsa_exception_fp_ieee_invalid_op 0
		.amdhsa_exception_fp_denorm_src 0
		.amdhsa_exception_fp_ieee_div_zero 0
		.amdhsa_exception_fp_ieee_overflow 0
		.amdhsa_exception_fp_ieee_underflow 0
		.amdhsa_exception_fp_ieee_inexact 0
		.amdhsa_exception_int_div_zero 0
	.end_amdhsa_kernel
	.section	.text._ZN7rocprim17ROCPRIM_400000_NS6detail17trampoline_kernelINS0_14default_configENS1_38merge_sort_block_merge_config_selectorIjN6thrust23THRUST_200600_302600_NS5tupleIffNS6_9null_typeES8_S8_S8_S8_S8_S8_S8_EEEEZZNS1_27merge_sort_block_merge_implIS3_NS6_6detail15normal_iteratorINS6_10device_ptrIjEEEENSD_INSE_IS9_EEEEjNS1_19radix_merge_compareILb0ELb0EjNS0_19identity_decomposerEEEEE10hipError_tT0_T1_T2_jT3_P12ihipStream_tbPNSt15iterator_traitsISN_E10value_typeEPNST_ISO_E10value_typeEPSP_NS1_7vsmem_tEENKUlT_SN_SO_SP_E_clISG_PjSI_PS9_EESM_S12_SN_SO_SP_EUlS12_E0_NS1_11comp_targetILNS1_3genE0ELNS1_11target_archE4294967295ELNS1_3gpuE0ELNS1_3repE0EEENS1_38merge_mergepath_config_static_selectorELNS0_4arch9wavefront6targetE1EEEvSO_,"axG",@progbits,_ZN7rocprim17ROCPRIM_400000_NS6detail17trampoline_kernelINS0_14default_configENS1_38merge_sort_block_merge_config_selectorIjN6thrust23THRUST_200600_302600_NS5tupleIffNS6_9null_typeES8_S8_S8_S8_S8_S8_S8_EEEEZZNS1_27merge_sort_block_merge_implIS3_NS6_6detail15normal_iteratorINS6_10device_ptrIjEEEENSD_INSE_IS9_EEEEjNS1_19radix_merge_compareILb0ELb0EjNS0_19identity_decomposerEEEEE10hipError_tT0_T1_T2_jT3_P12ihipStream_tbPNSt15iterator_traitsISN_E10value_typeEPNST_ISO_E10value_typeEPSP_NS1_7vsmem_tEENKUlT_SN_SO_SP_E_clISG_PjSI_PS9_EESM_S12_SN_SO_SP_EUlS12_E0_NS1_11comp_targetILNS1_3genE0ELNS1_11target_archE4294967295ELNS1_3gpuE0ELNS1_3repE0EEENS1_38merge_mergepath_config_static_selectorELNS0_4arch9wavefront6targetE1EEEvSO_,comdat
.Lfunc_end57:
	.size	_ZN7rocprim17ROCPRIM_400000_NS6detail17trampoline_kernelINS0_14default_configENS1_38merge_sort_block_merge_config_selectorIjN6thrust23THRUST_200600_302600_NS5tupleIffNS6_9null_typeES8_S8_S8_S8_S8_S8_S8_EEEEZZNS1_27merge_sort_block_merge_implIS3_NS6_6detail15normal_iteratorINS6_10device_ptrIjEEEENSD_INSE_IS9_EEEEjNS1_19radix_merge_compareILb0ELb0EjNS0_19identity_decomposerEEEEE10hipError_tT0_T1_T2_jT3_P12ihipStream_tbPNSt15iterator_traitsISN_E10value_typeEPNST_ISO_E10value_typeEPSP_NS1_7vsmem_tEENKUlT_SN_SO_SP_E_clISG_PjSI_PS9_EESM_S12_SN_SO_SP_EUlS12_E0_NS1_11comp_targetILNS1_3genE0ELNS1_11target_archE4294967295ELNS1_3gpuE0ELNS1_3repE0EEENS1_38merge_mergepath_config_static_selectorELNS0_4arch9wavefront6targetE1EEEvSO_, .Lfunc_end57-_ZN7rocprim17ROCPRIM_400000_NS6detail17trampoline_kernelINS0_14default_configENS1_38merge_sort_block_merge_config_selectorIjN6thrust23THRUST_200600_302600_NS5tupleIffNS6_9null_typeES8_S8_S8_S8_S8_S8_S8_EEEEZZNS1_27merge_sort_block_merge_implIS3_NS6_6detail15normal_iteratorINS6_10device_ptrIjEEEENSD_INSE_IS9_EEEEjNS1_19radix_merge_compareILb0ELb0EjNS0_19identity_decomposerEEEEE10hipError_tT0_T1_T2_jT3_P12ihipStream_tbPNSt15iterator_traitsISN_E10value_typeEPNST_ISO_E10value_typeEPSP_NS1_7vsmem_tEENKUlT_SN_SO_SP_E_clISG_PjSI_PS9_EESM_S12_SN_SO_SP_EUlS12_E0_NS1_11comp_targetILNS1_3genE0ELNS1_11target_archE4294967295ELNS1_3gpuE0ELNS1_3repE0EEENS1_38merge_mergepath_config_static_selectorELNS0_4arch9wavefront6targetE1EEEvSO_
                                        ; -- End function
	.section	.AMDGPU.csdata,"",@progbits
; Kernel info:
; codeLenInByte = 0
; NumSgprs: 4
; NumVgprs: 0
; NumAgprs: 0
; TotalNumVgprs: 0
; ScratchSize: 0
; MemoryBound: 0
; FloatMode: 240
; IeeeMode: 1
; LDSByteSize: 0 bytes/workgroup (compile time only)
; SGPRBlocks: 0
; VGPRBlocks: 0
; NumSGPRsForWavesPerEU: 4
; NumVGPRsForWavesPerEU: 1
; AccumOffset: 4
; Occupancy: 8
; WaveLimiterHint : 0
; COMPUTE_PGM_RSRC2:SCRATCH_EN: 0
; COMPUTE_PGM_RSRC2:USER_SGPR: 6
; COMPUTE_PGM_RSRC2:TRAP_HANDLER: 0
; COMPUTE_PGM_RSRC2:TGID_X_EN: 1
; COMPUTE_PGM_RSRC2:TGID_Y_EN: 0
; COMPUTE_PGM_RSRC2:TGID_Z_EN: 0
; COMPUTE_PGM_RSRC2:TIDIG_COMP_CNT: 0
; COMPUTE_PGM_RSRC3_GFX90A:ACCUM_OFFSET: 0
; COMPUTE_PGM_RSRC3_GFX90A:TG_SPLIT: 0
	.section	.text._ZN7rocprim17ROCPRIM_400000_NS6detail17trampoline_kernelINS0_14default_configENS1_38merge_sort_block_merge_config_selectorIjN6thrust23THRUST_200600_302600_NS5tupleIffNS6_9null_typeES8_S8_S8_S8_S8_S8_S8_EEEEZZNS1_27merge_sort_block_merge_implIS3_NS6_6detail15normal_iteratorINS6_10device_ptrIjEEEENSD_INSE_IS9_EEEEjNS1_19radix_merge_compareILb0ELb0EjNS0_19identity_decomposerEEEEE10hipError_tT0_T1_T2_jT3_P12ihipStream_tbPNSt15iterator_traitsISN_E10value_typeEPNST_ISO_E10value_typeEPSP_NS1_7vsmem_tEENKUlT_SN_SO_SP_E_clISG_PjSI_PS9_EESM_S12_SN_SO_SP_EUlS12_E0_NS1_11comp_targetILNS1_3genE10ELNS1_11target_archE1201ELNS1_3gpuE5ELNS1_3repE0EEENS1_38merge_mergepath_config_static_selectorELNS0_4arch9wavefront6targetE1EEEvSO_,"axG",@progbits,_ZN7rocprim17ROCPRIM_400000_NS6detail17trampoline_kernelINS0_14default_configENS1_38merge_sort_block_merge_config_selectorIjN6thrust23THRUST_200600_302600_NS5tupleIffNS6_9null_typeES8_S8_S8_S8_S8_S8_S8_EEEEZZNS1_27merge_sort_block_merge_implIS3_NS6_6detail15normal_iteratorINS6_10device_ptrIjEEEENSD_INSE_IS9_EEEEjNS1_19radix_merge_compareILb0ELb0EjNS0_19identity_decomposerEEEEE10hipError_tT0_T1_T2_jT3_P12ihipStream_tbPNSt15iterator_traitsISN_E10value_typeEPNST_ISO_E10value_typeEPSP_NS1_7vsmem_tEENKUlT_SN_SO_SP_E_clISG_PjSI_PS9_EESM_S12_SN_SO_SP_EUlS12_E0_NS1_11comp_targetILNS1_3genE10ELNS1_11target_archE1201ELNS1_3gpuE5ELNS1_3repE0EEENS1_38merge_mergepath_config_static_selectorELNS0_4arch9wavefront6targetE1EEEvSO_,comdat
	.protected	_ZN7rocprim17ROCPRIM_400000_NS6detail17trampoline_kernelINS0_14default_configENS1_38merge_sort_block_merge_config_selectorIjN6thrust23THRUST_200600_302600_NS5tupleIffNS6_9null_typeES8_S8_S8_S8_S8_S8_S8_EEEEZZNS1_27merge_sort_block_merge_implIS3_NS6_6detail15normal_iteratorINS6_10device_ptrIjEEEENSD_INSE_IS9_EEEEjNS1_19radix_merge_compareILb0ELb0EjNS0_19identity_decomposerEEEEE10hipError_tT0_T1_T2_jT3_P12ihipStream_tbPNSt15iterator_traitsISN_E10value_typeEPNST_ISO_E10value_typeEPSP_NS1_7vsmem_tEENKUlT_SN_SO_SP_E_clISG_PjSI_PS9_EESM_S12_SN_SO_SP_EUlS12_E0_NS1_11comp_targetILNS1_3genE10ELNS1_11target_archE1201ELNS1_3gpuE5ELNS1_3repE0EEENS1_38merge_mergepath_config_static_selectorELNS0_4arch9wavefront6targetE1EEEvSO_ ; -- Begin function _ZN7rocprim17ROCPRIM_400000_NS6detail17trampoline_kernelINS0_14default_configENS1_38merge_sort_block_merge_config_selectorIjN6thrust23THRUST_200600_302600_NS5tupleIffNS6_9null_typeES8_S8_S8_S8_S8_S8_S8_EEEEZZNS1_27merge_sort_block_merge_implIS3_NS6_6detail15normal_iteratorINS6_10device_ptrIjEEEENSD_INSE_IS9_EEEEjNS1_19radix_merge_compareILb0ELb0EjNS0_19identity_decomposerEEEEE10hipError_tT0_T1_T2_jT3_P12ihipStream_tbPNSt15iterator_traitsISN_E10value_typeEPNST_ISO_E10value_typeEPSP_NS1_7vsmem_tEENKUlT_SN_SO_SP_E_clISG_PjSI_PS9_EESM_S12_SN_SO_SP_EUlS12_E0_NS1_11comp_targetILNS1_3genE10ELNS1_11target_archE1201ELNS1_3gpuE5ELNS1_3repE0EEENS1_38merge_mergepath_config_static_selectorELNS0_4arch9wavefront6targetE1EEEvSO_
	.globl	_ZN7rocprim17ROCPRIM_400000_NS6detail17trampoline_kernelINS0_14default_configENS1_38merge_sort_block_merge_config_selectorIjN6thrust23THRUST_200600_302600_NS5tupleIffNS6_9null_typeES8_S8_S8_S8_S8_S8_S8_EEEEZZNS1_27merge_sort_block_merge_implIS3_NS6_6detail15normal_iteratorINS6_10device_ptrIjEEEENSD_INSE_IS9_EEEEjNS1_19radix_merge_compareILb0ELb0EjNS0_19identity_decomposerEEEEE10hipError_tT0_T1_T2_jT3_P12ihipStream_tbPNSt15iterator_traitsISN_E10value_typeEPNST_ISO_E10value_typeEPSP_NS1_7vsmem_tEENKUlT_SN_SO_SP_E_clISG_PjSI_PS9_EESM_S12_SN_SO_SP_EUlS12_E0_NS1_11comp_targetILNS1_3genE10ELNS1_11target_archE1201ELNS1_3gpuE5ELNS1_3repE0EEENS1_38merge_mergepath_config_static_selectorELNS0_4arch9wavefront6targetE1EEEvSO_
	.p2align	8
	.type	_ZN7rocprim17ROCPRIM_400000_NS6detail17trampoline_kernelINS0_14default_configENS1_38merge_sort_block_merge_config_selectorIjN6thrust23THRUST_200600_302600_NS5tupleIffNS6_9null_typeES8_S8_S8_S8_S8_S8_S8_EEEEZZNS1_27merge_sort_block_merge_implIS3_NS6_6detail15normal_iteratorINS6_10device_ptrIjEEEENSD_INSE_IS9_EEEEjNS1_19radix_merge_compareILb0ELb0EjNS0_19identity_decomposerEEEEE10hipError_tT0_T1_T2_jT3_P12ihipStream_tbPNSt15iterator_traitsISN_E10value_typeEPNST_ISO_E10value_typeEPSP_NS1_7vsmem_tEENKUlT_SN_SO_SP_E_clISG_PjSI_PS9_EESM_S12_SN_SO_SP_EUlS12_E0_NS1_11comp_targetILNS1_3genE10ELNS1_11target_archE1201ELNS1_3gpuE5ELNS1_3repE0EEENS1_38merge_mergepath_config_static_selectorELNS0_4arch9wavefront6targetE1EEEvSO_,@function
_ZN7rocprim17ROCPRIM_400000_NS6detail17trampoline_kernelINS0_14default_configENS1_38merge_sort_block_merge_config_selectorIjN6thrust23THRUST_200600_302600_NS5tupleIffNS6_9null_typeES8_S8_S8_S8_S8_S8_S8_EEEEZZNS1_27merge_sort_block_merge_implIS3_NS6_6detail15normal_iteratorINS6_10device_ptrIjEEEENSD_INSE_IS9_EEEEjNS1_19radix_merge_compareILb0ELb0EjNS0_19identity_decomposerEEEEE10hipError_tT0_T1_T2_jT3_P12ihipStream_tbPNSt15iterator_traitsISN_E10value_typeEPNST_ISO_E10value_typeEPSP_NS1_7vsmem_tEENKUlT_SN_SO_SP_E_clISG_PjSI_PS9_EESM_S12_SN_SO_SP_EUlS12_E0_NS1_11comp_targetILNS1_3genE10ELNS1_11target_archE1201ELNS1_3gpuE5ELNS1_3repE0EEENS1_38merge_mergepath_config_static_selectorELNS0_4arch9wavefront6targetE1EEEvSO_: ; @_ZN7rocprim17ROCPRIM_400000_NS6detail17trampoline_kernelINS0_14default_configENS1_38merge_sort_block_merge_config_selectorIjN6thrust23THRUST_200600_302600_NS5tupleIffNS6_9null_typeES8_S8_S8_S8_S8_S8_S8_EEEEZZNS1_27merge_sort_block_merge_implIS3_NS6_6detail15normal_iteratorINS6_10device_ptrIjEEEENSD_INSE_IS9_EEEEjNS1_19radix_merge_compareILb0ELb0EjNS0_19identity_decomposerEEEEE10hipError_tT0_T1_T2_jT3_P12ihipStream_tbPNSt15iterator_traitsISN_E10value_typeEPNST_ISO_E10value_typeEPSP_NS1_7vsmem_tEENKUlT_SN_SO_SP_E_clISG_PjSI_PS9_EESM_S12_SN_SO_SP_EUlS12_E0_NS1_11comp_targetILNS1_3genE10ELNS1_11target_archE1201ELNS1_3gpuE5ELNS1_3repE0EEENS1_38merge_mergepath_config_static_selectorELNS0_4arch9wavefront6targetE1EEEvSO_
; %bb.0:
	.section	.rodata,"a",@progbits
	.p2align	6, 0x0
	.amdhsa_kernel _ZN7rocprim17ROCPRIM_400000_NS6detail17trampoline_kernelINS0_14default_configENS1_38merge_sort_block_merge_config_selectorIjN6thrust23THRUST_200600_302600_NS5tupleIffNS6_9null_typeES8_S8_S8_S8_S8_S8_S8_EEEEZZNS1_27merge_sort_block_merge_implIS3_NS6_6detail15normal_iteratorINS6_10device_ptrIjEEEENSD_INSE_IS9_EEEEjNS1_19radix_merge_compareILb0ELb0EjNS0_19identity_decomposerEEEEE10hipError_tT0_T1_T2_jT3_P12ihipStream_tbPNSt15iterator_traitsISN_E10value_typeEPNST_ISO_E10value_typeEPSP_NS1_7vsmem_tEENKUlT_SN_SO_SP_E_clISG_PjSI_PS9_EESM_S12_SN_SO_SP_EUlS12_E0_NS1_11comp_targetILNS1_3genE10ELNS1_11target_archE1201ELNS1_3gpuE5ELNS1_3repE0EEENS1_38merge_mergepath_config_static_selectorELNS0_4arch9wavefront6targetE1EEEvSO_
		.amdhsa_group_segment_fixed_size 0
		.amdhsa_private_segment_fixed_size 0
		.amdhsa_kernarg_size 64
		.amdhsa_user_sgpr_count 6
		.amdhsa_user_sgpr_private_segment_buffer 1
		.amdhsa_user_sgpr_dispatch_ptr 0
		.amdhsa_user_sgpr_queue_ptr 0
		.amdhsa_user_sgpr_kernarg_segment_ptr 1
		.amdhsa_user_sgpr_dispatch_id 0
		.amdhsa_user_sgpr_flat_scratch_init 0
		.amdhsa_user_sgpr_kernarg_preload_length 0
		.amdhsa_user_sgpr_kernarg_preload_offset 0
		.amdhsa_user_sgpr_private_segment_size 0
		.amdhsa_uses_dynamic_stack 0
		.amdhsa_system_sgpr_private_segment_wavefront_offset 0
		.amdhsa_system_sgpr_workgroup_id_x 1
		.amdhsa_system_sgpr_workgroup_id_y 0
		.amdhsa_system_sgpr_workgroup_id_z 0
		.amdhsa_system_sgpr_workgroup_info 0
		.amdhsa_system_vgpr_workitem_id 0
		.amdhsa_next_free_vgpr 1
		.amdhsa_next_free_sgpr 0
		.amdhsa_accum_offset 4
		.amdhsa_reserve_vcc 0
		.amdhsa_reserve_flat_scratch 0
		.amdhsa_float_round_mode_32 0
		.amdhsa_float_round_mode_16_64 0
		.amdhsa_float_denorm_mode_32 3
		.amdhsa_float_denorm_mode_16_64 3
		.amdhsa_dx10_clamp 1
		.amdhsa_ieee_mode 1
		.amdhsa_fp16_overflow 0
		.amdhsa_tg_split 0
		.amdhsa_exception_fp_ieee_invalid_op 0
		.amdhsa_exception_fp_denorm_src 0
		.amdhsa_exception_fp_ieee_div_zero 0
		.amdhsa_exception_fp_ieee_overflow 0
		.amdhsa_exception_fp_ieee_underflow 0
		.amdhsa_exception_fp_ieee_inexact 0
		.amdhsa_exception_int_div_zero 0
	.end_amdhsa_kernel
	.section	.text._ZN7rocprim17ROCPRIM_400000_NS6detail17trampoline_kernelINS0_14default_configENS1_38merge_sort_block_merge_config_selectorIjN6thrust23THRUST_200600_302600_NS5tupleIffNS6_9null_typeES8_S8_S8_S8_S8_S8_S8_EEEEZZNS1_27merge_sort_block_merge_implIS3_NS6_6detail15normal_iteratorINS6_10device_ptrIjEEEENSD_INSE_IS9_EEEEjNS1_19radix_merge_compareILb0ELb0EjNS0_19identity_decomposerEEEEE10hipError_tT0_T1_T2_jT3_P12ihipStream_tbPNSt15iterator_traitsISN_E10value_typeEPNST_ISO_E10value_typeEPSP_NS1_7vsmem_tEENKUlT_SN_SO_SP_E_clISG_PjSI_PS9_EESM_S12_SN_SO_SP_EUlS12_E0_NS1_11comp_targetILNS1_3genE10ELNS1_11target_archE1201ELNS1_3gpuE5ELNS1_3repE0EEENS1_38merge_mergepath_config_static_selectorELNS0_4arch9wavefront6targetE1EEEvSO_,"axG",@progbits,_ZN7rocprim17ROCPRIM_400000_NS6detail17trampoline_kernelINS0_14default_configENS1_38merge_sort_block_merge_config_selectorIjN6thrust23THRUST_200600_302600_NS5tupleIffNS6_9null_typeES8_S8_S8_S8_S8_S8_S8_EEEEZZNS1_27merge_sort_block_merge_implIS3_NS6_6detail15normal_iteratorINS6_10device_ptrIjEEEENSD_INSE_IS9_EEEEjNS1_19radix_merge_compareILb0ELb0EjNS0_19identity_decomposerEEEEE10hipError_tT0_T1_T2_jT3_P12ihipStream_tbPNSt15iterator_traitsISN_E10value_typeEPNST_ISO_E10value_typeEPSP_NS1_7vsmem_tEENKUlT_SN_SO_SP_E_clISG_PjSI_PS9_EESM_S12_SN_SO_SP_EUlS12_E0_NS1_11comp_targetILNS1_3genE10ELNS1_11target_archE1201ELNS1_3gpuE5ELNS1_3repE0EEENS1_38merge_mergepath_config_static_selectorELNS0_4arch9wavefront6targetE1EEEvSO_,comdat
.Lfunc_end58:
	.size	_ZN7rocprim17ROCPRIM_400000_NS6detail17trampoline_kernelINS0_14default_configENS1_38merge_sort_block_merge_config_selectorIjN6thrust23THRUST_200600_302600_NS5tupleIffNS6_9null_typeES8_S8_S8_S8_S8_S8_S8_EEEEZZNS1_27merge_sort_block_merge_implIS3_NS6_6detail15normal_iteratorINS6_10device_ptrIjEEEENSD_INSE_IS9_EEEEjNS1_19radix_merge_compareILb0ELb0EjNS0_19identity_decomposerEEEEE10hipError_tT0_T1_T2_jT3_P12ihipStream_tbPNSt15iterator_traitsISN_E10value_typeEPNST_ISO_E10value_typeEPSP_NS1_7vsmem_tEENKUlT_SN_SO_SP_E_clISG_PjSI_PS9_EESM_S12_SN_SO_SP_EUlS12_E0_NS1_11comp_targetILNS1_3genE10ELNS1_11target_archE1201ELNS1_3gpuE5ELNS1_3repE0EEENS1_38merge_mergepath_config_static_selectorELNS0_4arch9wavefront6targetE1EEEvSO_, .Lfunc_end58-_ZN7rocprim17ROCPRIM_400000_NS6detail17trampoline_kernelINS0_14default_configENS1_38merge_sort_block_merge_config_selectorIjN6thrust23THRUST_200600_302600_NS5tupleIffNS6_9null_typeES8_S8_S8_S8_S8_S8_S8_EEEEZZNS1_27merge_sort_block_merge_implIS3_NS6_6detail15normal_iteratorINS6_10device_ptrIjEEEENSD_INSE_IS9_EEEEjNS1_19radix_merge_compareILb0ELb0EjNS0_19identity_decomposerEEEEE10hipError_tT0_T1_T2_jT3_P12ihipStream_tbPNSt15iterator_traitsISN_E10value_typeEPNST_ISO_E10value_typeEPSP_NS1_7vsmem_tEENKUlT_SN_SO_SP_E_clISG_PjSI_PS9_EESM_S12_SN_SO_SP_EUlS12_E0_NS1_11comp_targetILNS1_3genE10ELNS1_11target_archE1201ELNS1_3gpuE5ELNS1_3repE0EEENS1_38merge_mergepath_config_static_selectorELNS0_4arch9wavefront6targetE1EEEvSO_
                                        ; -- End function
	.section	.AMDGPU.csdata,"",@progbits
; Kernel info:
; codeLenInByte = 0
; NumSgprs: 4
; NumVgprs: 0
; NumAgprs: 0
; TotalNumVgprs: 0
; ScratchSize: 0
; MemoryBound: 0
; FloatMode: 240
; IeeeMode: 1
; LDSByteSize: 0 bytes/workgroup (compile time only)
; SGPRBlocks: 0
; VGPRBlocks: 0
; NumSGPRsForWavesPerEU: 4
; NumVGPRsForWavesPerEU: 1
; AccumOffset: 4
; Occupancy: 8
; WaveLimiterHint : 0
; COMPUTE_PGM_RSRC2:SCRATCH_EN: 0
; COMPUTE_PGM_RSRC2:USER_SGPR: 6
; COMPUTE_PGM_RSRC2:TRAP_HANDLER: 0
; COMPUTE_PGM_RSRC2:TGID_X_EN: 1
; COMPUTE_PGM_RSRC2:TGID_Y_EN: 0
; COMPUTE_PGM_RSRC2:TGID_Z_EN: 0
; COMPUTE_PGM_RSRC2:TIDIG_COMP_CNT: 0
; COMPUTE_PGM_RSRC3_GFX90A:ACCUM_OFFSET: 0
; COMPUTE_PGM_RSRC3_GFX90A:TG_SPLIT: 0
	.section	.text._ZN7rocprim17ROCPRIM_400000_NS6detail17trampoline_kernelINS0_14default_configENS1_38merge_sort_block_merge_config_selectorIjN6thrust23THRUST_200600_302600_NS5tupleIffNS6_9null_typeES8_S8_S8_S8_S8_S8_S8_EEEEZZNS1_27merge_sort_block_merge_implIS3_NS6_6detail15normal_iteratorINS6_10device_ptrIjEEEENSD_INSE_IS9_EEEEjNS1_19radix_merge_compareILb0ELb0EjNS0_19identity_decomposerEEEEE10hipError_tT0_T1_T2_jT3_P12ihipStream_tbPNSt15iterator_traitsISN_E10value_typeEPNST_ISO_E10value_typeEPSP_NS1_7vsmem_tEENKUlT_SN_SO_SP_E_clISG_PjSI_PS9_EESM_S12_SN_SO_SP_EUlS12_E0_NS1_11comp_targetILNS1_3genE5ELNS1_11target_archE942ELNS1_3gpuE9ELNS1_3repE0EEENS1_38merge_mergepath_config_static_selectorELNS0_4arch9wavefront6targetE1EEEvSO_,"axG",@progbits,_ZN7rocprim17ROCPRIM_400000_NS6detail17trampoline_kernelINS0_14default_configENS1_38merge_sort_block_merge_config_selectorIjN6thrust23THRUST_200600_302600_NS5tupleIffNS6_9null_typeES8_S8_S8_S8_S8_S8_S8_EEEEZZNS1_27merge_sort_block_merge_implIS3_NS6_6detail15normal_iteratorINS6_10device_ptrIjEEEENSD_INSE_IS9_EEEEjNS1_19radix_merge_compareILb0ELb0EjNS0_19identity_decomposerEEEEE10hipError_tT0_T1_T2_jT3_P12ihipStream_tbPNSt15iterator_traitsISN_E10value_typeEPNST_ISO_E10value_typeEPSP_NS1_7vsmem_tEENKUlT_SN_SO_SP_E_clISG_PjSI_PS9_EESM_S12_SN_SO_SP_EUlS12_E0_NS1_11comp_targetILNS1_3genE5ELNS1_11target_archE942ELNS1_3gpuE9ELNS1_3repE0EEENS1_38merge_mergepath_config_static_selectorELNS0_4arch9wavefront6targetE1EEEvSO_,comdat
	.protected	_ZN7rocprim17ROCPRIM_400000_NS6detail17trampoline_kernelINS0_14default_configENS1_38merge_sort_block_merge_config_selectorIjN6thrust23THRUST_200600_302600_NS5tupleIffNS6_9null_typeES8_S8_S8_S8_S8_S8_S8_EEEEZZNS1_27merge_sort_block_merge_implIS3_NS6_6detail15normal_iteratorINS6_10device_ptrIjEEEENSD_INSE_IS9_EEEEjNS1_19radix_merge_compareILb0ELb0EjNS0_19identity_decomposerEEEEE10hipError_tT0_T1_T2_jT3_P12ihipStream_tbPNSt15iterator_traitsISN_E10value_typeEPNST_ISO_E10value_typeEPSP_NS1_7vsmem_tEENKUlT_SN_SO_SP_E_clISG_PjSI_PS9_EESM_S12_SN_SO_SP_EUlS12_E0_NS1_11comp_targetILNS1_3genE5ELNS1_11target_archE942ELNS1_3gpuE9ELNS1_3repE0EEENS1_38merge_mergepath_config_static_selectorELNS0_4arch9wavefront6targetE1EEEvSO_ ; -- Begin function _ZN7rocprim17ROCPRIM_400000_NS6detail17trampoline_kernelINS0_14default_configENS1_38merge_sort_block_merge_config_selectorIjN6thrust23THRUST_200600_302600_NS5tupleIffNS6_9null_typeES8_S8_S8_S8_S8_S8_S8_EEEEZZNS1_27merge_sort_block_merge_implIS3_NS6_6detail15normal_iteratorINS6_10device_ptrIjEEEENSD_INSE_IS9_EEEEjNS1_19radix_merge_compareILb0ELb0EjNS0_19identity_decomposerEEEEE10hipError_tT0_T1_T2_jT3_P12ihipStream_tbPNSt15iterator_traitsISN_E10value_typeEPNST_ISO_E10value_typeEPSP_NS1_7vsmem_tEENKUlT_SN_SO_SP_E_clISG_PjSI_PS9_EESM_S12_SN_SO_SP_EUlS12_E0_NS1_11comp_targetILNS1_3genE5ELNS1_11target_archE942ELNS1_3gpuE9ELNS1_3repE0EEENS1_38merge_mergepath_config_static_selectorELNS0_4arch9wavefront6targetE1EEEvSO_
	.globl	_ZN7rocprim17ROCPRIM_400000_NS6detail17trampoline_kernelINS0_14default_configENS1_38merge_sort_block_merge_config_selectorIjN6thrust23THRUST_200600_302600_NS5tupleIffNS6_9null_typeES8_S8_S8_S8_S8_S8_S8_EEEEZZNS1_27merge_sort_block_merge_implIS3_NS6_6detail15normal_iteratorINS6_10device_ptrIjEEEENSD_INSE_IS9_EEEEjNS1_19radix_merge_compareILb0ELb0EjNS0_19identity_decomposerEEEEE10hipError_tT0_T1_T2_jT3_P12ihipStream_tbPNSt15iterator_traitsISN_E10value_typeEPNST_ISO_E10value_typeEPSP_NS1_7vsmem_tEENKUlT_SN_SO_SP_E_clISG_PjSI_PS9_EESM_S12_SN_SO_SP_EUlS12_E0_NS1_11comp_targetILNS1_3genE5ELNS1_11target_archE942ELNS1_3gpuE9ELNS1_3repE0EEENS1_38merge_mergepath_config_static_selectorELNS0_4arch9wavefront6targetE1EEEvSO_
	.p2align	8
	.type	_ZN7rocprim17ROCPRIM_400000_NS6detail17trampoline_kernelINS0_14default_configENS1_38merge_sort_block_merge_config_selectorIjN6thrust23THRUST_200600_302600_NS5tupleIffNS6_9null_typeES8_S8_S8_S8_S8_S8_S8_EEEEZZNS1_27merge_sort_block_merge_implIS3_NS6_6detail15normal_iteratorINS6_10device_ptrIjEEEENSD_INSE_IS9_EEEEjNS1_19radix_merge_compareILb0ELb0EjNS0_19identity_decomposerEEEEE10hipError_tT0_T1_T2_jT3_P12ihipStream_tbPNSt15iterator_traitsISN_E10value_typeEPNST_ISO_E10value_typeEPSP_NS1_7vsmem_tEENKUlT_SN_SO_SP_E_clISG_PjSI_PS9_EESM_S12_SN_SO_SP_EUlS12_E0_NS1_11comp_targetILNS1_3genE5ELNS1_11target_archE942ELNS1_3gpuE9ELNS1_3repE0EEENS1_38merge_mergepath_config_static_selectorELNS0_4arch9wavefront6targetE1EEEvSO_,@function
_ZN7rocprim17ROCPRIM_400000_NS6detail17trampoline_kernelINS0_14default_configENS1_38merge_sort_block_merge_config_selectorIjN6thrust23THRUST_200600_302600_NS5tupleIffNS6_9null_typeES8_S8_S8_S8_S8_S8_S8_EEEEZZNS1_27merge_sort_block_merge_implIS3_NS6_6detail15normal_iteratorINS6_10device_ptrIjEEEENSD_INSE_IS9_EEEEjNS1_19radix_merge_compareILb0ELb0EjNS0_19identity_decomposerEEEEE10hipError_tT0_T1_T2_jT3_P12ihipStream_tbPNSt15iterator_traitsISN_E10value_typeEPNST_ISO_E10value_typeEPSP_NS1_7vsmem_tEENKUlT_SN_SO_SP_E_clISG_PjSI_PS9_EESM_S12_SN_SO_SP_EUlS12_E0_NS1_11comp_targetILNS1_3genE5ELNS1_11target_archE942ELNS1_3gpuE9ELNS1_3repE0EEENS1_38merge_mergepath_config_static_selectorELNS0_4arch9wavefront6targetE1EEEvSO_: ; @_ZN7rocprim17ROCPRIM_400000_NS6detail17trampoline_kernelINS0_14default_configENS1_38merge_sort_block_merge_config_selectorIjN6thrust23THRUST_200600_302600_NS5tupleIffNS6_9null_typeES8_S8_S8_S8_S8_S8_S8_EEEEZZNS1_27merge_sort_block_merge_implIS3_NS6_6detail15normal_iteratorINS6_10device_ptrIjEEEENSD_INSE_IS9_EEEEjNS1_19radix_merge_compareILb0ELb0EjNS0_19identity_decomposerEEEEE10hipError_tT0_T1_T2_jT3_P12ihipStream_tbPNSt15iterator_traitsISN_E10value_typeEPNST_ISO_E10value_typeEPSP_NS1_7vsmem_tEENKUlT_SN_SO_SP_E_clISG_PjSI_PS9_EESM_S12_SN_SO_SP_EUlS12_E0_NS1_11comp_targetILNS1_3genE5ELNS1_11target_archE942ELNS1_3gpuE9ELNS1_3repE0EEENS1_38merge_mergepath_config_static_selectorELNS0_4arch9wavefront6targetE1EEEvSO_
; %bb.0:
	.section	.rodata,"a",@progbits
	.p2align	6, 0x0
	.amdhsa_kernel _ZN7rocprim17ROCPRIM_400000_NS6detail17trampoline_kernelINS0_14default_configENS1_38merge_sort_block_merge_config_selectorIjN6thrust23THRUST_200600_302600_NS5tupleIffNS6_9null_typeES8_S8_S8_S8_S8_S8_S8_EEEEZZNS1_27merge_sort_block_merge_implIS3_NS6_6detail15normal_iteratorINS6_10device_ptrIjEEEENSD_INSE_IS9_EEEEjNS1_19radix_merge_compareILb0ELb0EjNS0_19identity_decomposerEEEEE10hipError_tT0_T1_T2_jT3_P12ihipStream_tbPNSt15iterator_traitsISN_E10value_typeEPNST_ISO_E10value_typeEPSP_NS1_7vsmem_tEENKUlT_SN_SO_SP_E_clISG_PjSI_PS9_EESM_S12_SN_SO_SP_EUlS12_E0_NS1_11comp_targetILNS1_3genE5ELNS1_11target_archE942ELNS1_3gpuE9ELNS1_3repE0EEENS1_38merge_mergepath_config_static_selectorELNS0_4arch9wavefront6targetE1EEEvSO_
		.amdhsa_group_segment_fixed_size 0
		.amdhsa_private_segment_fixed_size 0
		.amdhsa_kernarg_size 64
		.amdhsa_user_sgpr_count 6
		.amdhsa_user_sgpr_private_segment_buffer 1
		.amdhsa_user_sgpr_dispatch_ptr 0
		.amdhsa_user_sgpr_queue_ptr 0
		.amdhsa_user_sgpr_kernarg_segment_ptr 1
		.amdhsa_user_sgpr_dispatch_id 0
		.amdhsa_user_sgpr_flat_scratch_init 0
		.amdhsa_user_sgpr_kernarg_preload_length 0
		.amdhsa_user_sgpr_kernarg_preload_offset 0
		.amdhsa_user_sgpr_private_segment_size 0
		.amdhsa_uses_dynamic_stack 0
		.amdhsa_system_sgpr_private_segment_wavefront_offset 0
		.amdhsa_system_sgpr_workgroup_id_x 1
		.amdhsa_system_sgpr_workgroup_id_y 0
		.amdhsa_system_sgpr_workgroup_id_z 0
		.amdhsa_system_sgpr_workgroup_info 0
		.amdhsa_system_vgpr_workitem_id 0
		.amdhsa_next_free_vgpr 1
		.amdhsa_next_free_sgpr 0
		.amdhsa_accum_offset 4
		.amdhsa_reserve_vcc 0
		.amdhsa_reserve_flat_scratch 0
		.amdhsa_float_round_mode_32 0
		.amdhsa_float_round_mode_16_64 0
		.amdhsa_float_denorm_mode_32 3
		.amdhsa_float_denorm_mode_16_64 3
		.amdhsa_dx10_clamp 1
		.amdhsa_ieee_mode 1
		.amdhsa_fp16_overflow 0
		.amdhsa_tg_split 0
		.amdhsa_exception_fp_ieee_invalid_op 0
		.amdhsa_exception_fp_denorm_src 0
		.amdhsa_exception_fp_ieee_div_zero 0
		.amdhsa_exception_fp_ieee_overflow 0
		.amdhsa_exception_fp_ieee_underflow 0
		.amdhsa_exception_fp_ieee_inexact 0
		.amdhsa_exception_int_div_zero 0
	.end_amdhsa_kernel
	.section	.text._ZN7rocprim17ROCPRIM_400000_NS6detail17trampoline_kernelINS0_14default_configENS1_38merge_sort_block_merge_config_selectorIjN6thrust23THRUST_200600_302600_NS5tupleIffNS6_9null_typeES8_S8_S8_S8_S8_S8_S8_EEEEZZNS1_27merge_sort_block_merge_implIS3_NS6_6detail15normal_iteratorINS6_10device_ptrIjEEEENSD_INSE_IS9_EEEEjNS1_19radix_merge_compareILb0ELb0EjNS0_19identity_decomposerEEEEE10hipError_tT0_T1_T2_jT3_P12ihipStream_tbPNSt15iterator_traitsISN_E10value_typeEPNST_ISO_E10value_typeEPSP_NS1_7vsmem_tEENKUlT_SN_SO_SP_E_clISG_PjSI_PS9_EESM_S12_SN_SO_SP_EUlS12_E0_NS1_11comp_targetILNS1_3genE5ELNS1_11target_archE942ELNS1_3gpuE9ELNS1_3repE0EEENS1_38merge_mergepath_config_static_selectorELNS0_4arch9wavefront6targetE1EEEvSO_,"axG",@progbits,_ZN7rocprim17ROCPRIM_400000_NS6detail17trampoline_kernelINS0_14default_configENS1_38merge_sort_block_merge_config_selectorIjN6thrust23THRUST_200600_302600_NS5tupleIffNS6_9null_typeES8_S8_S8_S8_S8_S8_S8_EEEEZZNS1_27merge_sort_block_merge_implIS3_NS6_6detail15normal_iteratorINS6_10device_ptrIjEEEENSD_INSE_IS9_EEEEjNS1_19radix_merge_compareILb0ELb0EjNS0_19identity_decomposerEEEEE10hipError_tT0_T1_T2_jT3_P12ihipStream_tbPNSt15iterator_traitsISN_E10value_typeEPNST_ISO_E10value_typeEPSP_NS1_7vsmem_tEENKUlT_SN_SO_SP_E_clISG_PjSI_PS9_EESM_S12_SN_SO_SP_EUlS12_E0_NS1_11comp_targetILNS1_3genE5ELNS1_11target_archE942ELNS1_3gpuE9ELNS1_3repE0EEENS1_38merge_mergepath_config_static_selectorELNS0_4arch9wavefront6targetE1EEEvSO_,comdat
.Lfunc_end59:
	.size	_ZN7rocprim17ROCPRIM_400000_NS6detail17trampoline_kernelINS0_14default_configENS1_38merge_sort_block_merge_config_selectorIjN6thrust23THRUST_200600_302600_NS5tupleIffNS6_9null_typeES8_S8_S8_S8_S8_S8_S8_EEEEZZNS1_27merge_sort_block_merge_implIS3_NS6_6detail15normal_iteratorINS6_10device_ptrIjEEEENSD_INSE_IS9_EEEEjNS1_19radix_merge_compareILb0ELb0EjNS0_19identity_decomposerEEEEE10hipError_tT0_T1_T2_jT3_P12ihipStream_tbPNSt15iterator_traitsISN_E10value_typeEPNST_ISO_E10value_typeEPSP_NS1_7vsmem_tEENKUlT_SN_SO_SP_E_clISG_PjSI_PS9_EESM_S12_SN_SO_SP_EUlS12_E0_NS1_11comp_targetILNS1_3genE5ELNS1_11target_archE942ELNS1_3gpuE9ELNS1_3repE0EEENS1_38merge_mergepath_config_static_selectorELNS0_4arch9wavefront6targetE1EEEvSO_, .Lfunc_end59-_ZN7rocprim17ROCPRIM_400000_NS6detail17trampoline_kernelINS0_14default_configENS1_38merge_sort_block_merge_config_selectorIjN6thrust23THRUST_200600_302600_NS5tupleIffNS6_9null_typeES8_S8_S8_S8_S8_S8_S8_EEEEZZNS1_27merge_sort_block_merge_implIS3_NS6_6detail15normal_iteratorINS6_10device_ptrIjEEEENSD_INSE_IS9_EEEEjNS1_19radix_merge_compareILb0ELb0EjNS0_19identity_decomposerEEEEE10hipError_tT0_T1_T2_jT3_P12ihipStream_tbPNSt15iterator_traitsISN_E10value_typeEPNST_ISO_E10value_typeEPSP_NS1_7vsmem_tEENKUlT_SN_SO_SP_E_clISG_PjSI_PS9_EESM_S12_SN_SO_SP_EUlS12_E0_NS1_11comp_targetILNS1_3genE5ELNS1_11target_archE942ELNS1_3gpuE9ELNS1_3repE0EEENS1_38merge_mergepath_config_static_selectorELNS0_4arch9wavefront6targetE1EEEvSO_
                                        ; -- End function
	.section	.AMDGPU.csdata,"",@progbits
; Kernel info:
; codeLenInByte = 0
; NumSgprs: 4
; NumVgprs: 0
; NumAgprs: 0
; TotalNumVgprs: 0
; ScratchSize: 0
; MemoryBound: 0
; FloatMode: 240
; IeeeMode: 1
; LDSByteSize: 0 bytes/workgroup (compile time only)
; SGPRBlocks: 0
; VGPRBlocks: 0
; NumSGPRsForWavesPerEU: 4
; NumVGPRsForWavesPerEU: 1
; AccumOffset: 4
; Occupancy: 8
; WaveLimiterHint : 0
; COMPUTE_PGM_RSRC2:SCRATCH_EN: 0
; COMPUTE_PGM_RSRC2:USER_SGPR: 6
; COMPUTE_PGM_RSRC2:TRAP_HANDLER: 0
; COMPUTE_PGM_RSRC2:TGID_X_EN: 1
; COMPUTE_PGM_RSRC2:TGID_Y_EN: 0
; COMPUTE_PGM_RSRC2:TGID_Z_EN: 0
; COMPUTE_PGM_RSRC2:TIDIG_COMP_CNT: 0
; COMPUTE_PGM_RSRC3_GFX90A:ACCUM_OFFSET: 0
; COMPUTE_PGM_RSRC3_GFX90A:TG_SPLIT: 0
	.section	.text._ZN7rocprim17ROCPRIM_400000_NS6detail17trampoline_kernelINS0_14default_configENS1_38merge_sort_block_merge_config_selectorIjN6thrust23THRUST_200600_302600_NS5tupleIffNS6_9null_typeES8_S8_S8_S8_S8_S8_S8_EEEEZZNS1_27merge_sort_block_merge_implIS3_NS6_6detail15normal_iteratorINS6_10device_ptrIjEEEENSD_INSE_IS9_EEEEjNS1_19radix_merge_compareILb0ELb0EjNS0_19identity_decomposerEEEEE10hipError_tT0_T1_T2_jT3_P12ihipStream_tbPNSt15iterator_traitsISN_E10value_typeEPNST_ISO_E10value_typeEPSP_NS1_7vsmem_tEENKUlT_SN_SO_SP_E_clISG_PjSI_PS9_EESM_S12_SN_SO_SP_EUlS12_E0_NS1_11comp_targetILNS1_3genE4ELNS1_11target_archE910ELNS1_3gpuE8ELNS1_3repE0EEENS1_38merge_mergepath_config_static_selectorELNS0_4arch9wavefront6targetE1EEEvSO_,"axG",@progbits,_ZN7rocprim17ROCPRIM_400000_NS6detail17trampoline_kernelINS0_14default_configENS1_38merge_sort_block_merge_config_selectorIjN6thrust23THRUST_200600_302600_NS5tupleIffNS6_9null_typeES8_S8_S8_S8_S8_S8_S8_EEEEZZNS1_27merge_sort_block_merge_implIS3_NS6_6detail15normal_iteratorINS6_10device_ptrIjEEEENSD_INSE_IS9_EEEEjNS1_19radix_merge_compareILb0ELb0EjNS0_19identity_decomposerEEEEE10hipError_tT0_T1_T2_jT3_P12ihipStream_tbPNSt15iterator_traitsISN_E10value_typeEPNST_ISO_E10value_typeEPSP_NS1_7vsmem_tEENKUlT_SN_SO_SP_E_clISG_PjSI_PS9_EESM_S12_SN_SO_SP_EUlS12_E0_NS1_11comp_targetILNS1_3genE4ELNS1_11target_archE910ELNS1_3gpuE8ELNS1_3repE0EEENS1_38merge_mergepath_config_static_selectorELNS0_4arch9wavefront6targetE1EEEvSO_,comdat
	.protected	_ZN7rocprim17ROCPRIM_400000_NS6detail17trampoline_kernelINS0_14default_configENS1_38merge_sort_block_merge_config_selectorIjN6thrust23THRUST_200600_302600_NS5tupleIffNS6_9null_typeES8_S8_S8_S8_S8_S8_S8_EEEEZZNS1_27merge_sort_block_merge_implIS3_NS6_6detail15normal_iteratorINS6_10device_ptrIjEEEENSD_INSE_IS9_EEEEjNS1_19radix_merge_compareILb0ELb0EjNS0_19identity_decomposerEEEEE10hipError_tT0_T1_T2_jT3_P12ihipStream_tbPNSt15iterator_traitsISN_E10value_typeEPNST_ISO_E10value_typeEPSP_NS1_7vsmem_tEENKUlT_SN_SO_SP_E_clISG_PjSI_PS9_EESM_S12_SN_SO_SP_EUlS12_E0_NS1_11comp_targetILNS1_3genE4ELNS1_11target_archE910ELNS1_3gpuE8ELNS1_3repE0EEENS1_38merge_mergepath_config_static_selectorELNS0_4arch9wavefront6targetE1EEEvSO_ ; -- Begin function _ZN7rocprim17ROCPRIM_400000_NS6detail17trampoline_kernelINS0_14default_configENS1_38merge_sort_block_merge_config_selectorIjN6thrust23THRUST_200600_302600_NS5tupleIffNS6_9null_typeES8_S8_S8_S8_S8_S8_S8_EEEEZZNS1_27merge_sort_block_merge_implIS3_NS6_6detail15normal_iteratorINS6_10device_ptrIjEEEENSD_INSE_IS9_EEEEjNS1_19radix_merge_compareILb0ELb0EjNS0_19identity_decomposerEEEEE10hipError_tT0_T1_T2_jT3_P12ihipStream_tbPNSt15iterator_traitsISN_E10value_typeEPNST_ISO_E10value_typeEPSP_NS1_7vsmem_tEENKUlT_SN_SO_SP_E_clISG_PjSI_PS9_EESM_S12_SN_SO_SP_EUlS12_E0_NS1_11comp_targetILNS1_3genE4ELNS1_11target_archE910ELNS1_3gpuE8ELNS1_3repE0EEENS1_38merge_mergepath_config_static_selectorELNS0_4arch9wavefront6targetE1EEEvSO_
	.globl	_ZN7rocprim17ROCPRIM_400000_NS6detail17trampoline_kernelINS0_14default_configENS1_38merge_sort_block_merge_config_selectorIjN6thrust23THRUST_200600_302600_NS5tupleIffNS6_9null_typeES8_S8_S8_S8_S8_S8_S8_EEEEZZNS1_27merge_sort_block_merge_implIS3_NS6_6detail15normal_iteratorINS6_10device_ptrIjEEEENSD_INSE_IS9_EEEEjNS1_19radix_merge_compareILb0ELb0EjNS0_19identity_decomposerEEEEE10hipError_tT0_T1_T2_jT3_P12ihipStream_tbPNSt15iterator_traitsISN_E10value_typeEPNST_ISO_E10value_typeEPSP_NS1_7vsmem_tEENKUlT_SN_SO_SP_E_clISG_PjSI_PS9_EESM_S12_SN_SO_SP_EUlS12_E0_NS1_11comp_targetILNS1_3genE4ELNS1_11target_archE910ELNS1_3gpuE8ELNS1_3repE0EEENS1_38merge_mergepath_config_static_selectorELNS0_4arch9wavefront6targetE1EEEvSO_
	.p2align	8
	.type	_ZN7rocprim17ROCPRIM_400000_NS6detail17trampoline_kernelINS0_14default_configENS1_38merge_sort_block_merge_config_selectorIjN6thrust23THRUST_200600_302600_NS5tupleIffNS6_9null_typeES8_S8_S8_S8_S8_S8_S8_EEEEZZNS1_27merge_sort_block_merge_implIS3_NS6_6detail15normal_iteratorINS6_10device_ptrIjEEEENSD_INSE_IS9_EEEEjNS1_19radix_merge_compareILb0ELb0EjNS0_19identity_decomposerEEEEE10hipError_tT0_T1_T2_jT3_P12ihipStream_tbPNSt15iterator_traitsISN_E10value_typeEPNST_ISO_E10value_typeEPSP_NS1_7vsmem_tEENKUlT_SN_SO_SP_E_clISG_PjSI_PS9_EESM_S12_SN_SO_SP_EUlS12_E0_NS1_11comp_targetILNS1_3genE4ELNS1_11target_archE910ELNS1_3gpuE8ELNS1_3repE0EEENS1_38merge_mergepath_config_static_selectorELNS0_4arch9wavefront6targetE1EEEvSO_,@function
_ZN7rocprim17ROCPRIM_400000_NS6detail17trampoline_kernelINS0_14default_configENS1_38merge_sort_block_merge_config_selectorIjN6thrust23THRUST_200600_302600_NS5tupleIffNS6_9null_typeES8_S8_S8_S8_S8_S8_S8_EEEEZZNS1_27merge_sort_block_merge_implIS3_NS6_6detail15normal_iteratorINS6_10device_ptrIjEEEENSD_INSE_IS9_EEEEjNS1_19radix_merge_compareILb0ELb0EjNS0_19identity_decomposerEEEEE10hipError_tT0_T1_T2_jT3_P12ihipStream_tbPNSt15iterator_traitsISN_E10value_typeEPNST_ISO_E10value_typeEPSP_NS1_7vsmem_tEENKUlT_SN_SO_SP_E_clISG_PjSI_PS9_EESM_S12_SN_SO_SP_EUlS12_E0_NS1_11comp_targetILNS1_3genE4ELNS1_11target_archE910ELNS1_3gpuE8ELNS1_3repE0EEENS1_38merge_mergepath_config_static_selectorELNS0_4arch9wavefront6targetE1EEEvSO_: ; @_ZN7rocprim17ROCPRIM_400000_NS6detail17trampoline_kernelINS0_14default_configENS1_38merge_sort_block_merge_config_selectorIjN6thrust23THRUST_200600_302600_NS5tupleIffNS6_9null_typeES8_S8_S8_S8_S8_S8_S8_EEEEZZNS1_27merge_sort_block_merge_implIS3_NS6_6detail15normal_iteratorINS6_10device_ptrIjEEEENSD_INSE_IS9_EEEEjNS1_19radix_merge_compareILb0ELb0EjNS0_19identity_decomposerEEEEE10hipError_tT0_T1_T2_jT3_P12ihipStream_tbPNSt15iterator_traitsISN_E10value_typeEPNST_ISO_E10value_typeEPSP_NS1_7vsmem_tEENKUlT_SN_SO_SP_E_clISG_PjSI_PS9_EESM_S12_SN_SO_SP_EUlS12_E0_NS1_11comp_targetILNS1_3genE4ELNS1_11target_archE910ELNS1_3gpuE8ELNS1_3repE0EEENS1_38merge_mergepath_config_static_selectorELNS0_4arch9wavefront6targetE1EEEvSO_
; %bb.0:
	s_load_dwordx2 s[24:25], s[4:5], 0x40
	s_load_dword s0, s[4:5], 0x30
	s_add_u32 s20, s4, 64
	s_addc_u32 s21, s5, 0
	s_waitcnt lgkmcnt(0)
	s_mul_i32 s1, s25, s8
	s_add_i32 s1, s1, s7
	s_mul_i32 s1, s1, s24
	s_add_i32 s22, s1, s6
	s_cmp_ge_u32 s22, s0
	s_cbranch_scc1 .LBB60_47
; %bb.1:
	s_load_dwordx8 s[8:15], s[4:5], 0x10
	s_load_dwordx2 s[28:29], s[4:5], 0x8
	s_load_dwordx2 s[0:1], s[4:5], 0x38
	s_mov_b32 s23, 0
	v_mov_b32_e32 v5, 0
	s_waitcnt lgkmcnt(0)
	s_lshr_b32 s7, s14, 10
	s_cmp_lg_u32 s22, s7
	s_cselect_b64 s[18:19], -1, 0
	s_lshl_b64 s[2:3], s[22:23], 2
	s_add_u32 s0, s0, s2
	s_addc_u32 s1, s1, s3
	s_lshr_b32 s2, s15, 9
	s_and_b32 s2, s2, 0x7ffffe
	s_load_dwordx2 s[0:1], s[0:1], 0x0
	s_sub_i32 s3, 0, s2
	s_and_b32 s2, s22, s3
	s_lshl_b32 s4, s2, 10
	s_lshl_b32 s16, s22, 10
	;; [unrolled: 1-line block ×3, first 2 shown]
	s_sub_i32 s5, s16, s4
	s_add_i32 s17, s2, s15
	s_add_i32 s5, s17, s5
	s_waitcnt lgkmcnt(0)
	s_sub_i32 s2, s5, s0
	s_sub_i32 s5, s5, s1
	s_sub_i32 s4, s17, s4
	s_min_u32 s2, s14, s2
	s_addk_i32 s5, 0x400
	s_or_b32 s3, s22, s3
	s_min_u32 s17, s14, s4
	s_add_i32 s4, s4, s15
	s_cmp_eq_u32 s3, -1
	s_cselect_b32 s1, s17, s1
	s_cselect_b32 s3, s4, s5
	s_sub_i32 s15, s1, s0
	s_mov_b32 s1, s23
	s_min_u32 s17, s3, s14
	s_lshl_b64 s[4:5], s[0:1], 2
	s_add_u32 s25, s28, s4
	s_mov_b32 s3, s23
	s_addc_u32 s26, s29, s5
	s_lshl_b64 s[4:5], s[2:3], 2
	s_add_u32 s23, s28, s4
	s_addc_u32 s27, s29, s5
	s_cmp_lt_u32 s6, s24
	s_cselect_b32 s4, 12, 18
	global_load_dword v1, v5, s[20:21] offset:14
	s_add_u32 s4, s20, s4
	s_addc_u32 s5, s21, 0
	global_load_ushort v2, v5, s[4:5]
	s_cmp_eq_u32 s22, s7
	s_waitcnt vmcnt(1)
	v_lshrrev_b32_e32 v3, 16, v1
	v_and_b32_e32 v1, 0xffff, v1
	v_mul_lo_u32 v1, v1, v3
	s_waitcnt vmcnt(0)
	v_mul_lo_u32 v17, v1, v2
	v_add_u32_e32 v10, v17, v0
	v_lshlrev_b32_e32 v1, 2, v0
	v_add_u32_e32 v6, v10, v17
	s_cbranch_scc1 .LBB60_3
; %bb.2:
	v_subrev_u32_e32 v4, s15, v0
	v_lshlrev_b64 v[2:3], 2, v[4:5]
	v_mov_b32_e32 v4, s27
	v_add_co_u32_e32 v2, vcc, s23, v2
	v_addc_co_u32_e32 v3, vcc, v4, v3, vcc
	v_mov_b32_e32 v4, s26
	v_add_co_u32_e32 v7, vcc, s25, v1
	v_addc_co_u32_e32 v4, vcc, 0, v4, vcc
	v_cmp_gt_u32_e32 vcc, s15, v0
	v_cndmask_b32_e32 v3, v3, v4, vcc
	v_subrev_u32_e32 v4, s15, v10
	v_cndmask_b32_e32 v2, v2, v7, vcc
	v_lshlrev_b64 v[8:9], 2, v[4:5]
	global_load_dword v2, v[2:3], off
	v_mov_b32_e32 v3, s27
	v_add_co_u32_e32 v4, vcc, s23, v8
	v_mov_b32_e32 v11, v5
	v_addc_co_u32_e32 v3, vcc, v3, v9, vcc
	v_lshlrev_b64 v[8:9], 2, v[10:11]
	v_mov_b32_e32 v7, s26
	v_add_co_u32_e32 v8, vcc, s25, v8
	v_addc_co_u32_e32 v7, vcc, v7, v9, vcc
	v_cmp_gt_u32_e32 vcc, s15, v10
	v_cndmask_b32_e32 v9, v3, v7, vcc
	v_cndmask_b32_e32 v8, v4, v8, vcc
	v_subrev_u32_e32 v4, s15, v6
	global_load_dword v3, v[8:9], off
	v_lshlrev_b64 v[8:9], 2, v[4:5]
	v_mov_b32_e32 v4, s27
	v_add_co_u32_e32 v8, vcc, s23, v8
	v_mov_b32_e32 v7, v5
	v_addc_co_u32_e32 v9, vcc, v4, v9, vcc
	v_lshlrev_b64 v[4:5], 2, v[6:7]
	v_mov_b32_e32 v7, s26
	v_add_co_u32_e32 v4, vcc, s25, v4
	v_addc_co_u32_e32 v5, vcc, v7, v5, vcc
	v_cmp_gt_u32_e32 vcc, s15, v6
	v_cndmask_b32_e32 v5, v9, v5, vcc
	v_cndmask_b32_e32 v4, v8, v4, vcc
	global_load_dword v4, v[4:5], off
	v_add_u32_e32 v8, v6, v17
	s_mov_b64 s[4:5], -1
	s_sub_i32 s17, s17, s2
	s_cbranch_execz .LBB60_4
	s_branch .LBB60_9
.LBB60_3:
	s_mov_b64 s[4:5], 0
                                        ; implicit-def: $vgpr8
                                        ; implicit-def: $vgpr2_vgpr3_vgpr4_vgpr5
	s_sub_i32 s17, s17, s2
.LBB60_4:
	s_add_i32 s6, s17, s15
	v_cmp_gt_u32_e32 vcc, s6, v0
                                        ; implicit-def: $vgpr2_vgpr3_vgpr4_vgpr5
	s_and_saveexec_b64 s[4:5], vcc
	s_cbranch_execnz .LBB60_48
; %bb.5:
	s_or_b64 exec, exec, s[4:5]
	v_cmp_gt_u32_e32 vcc, s6, v10
	s_and_saveexec_b64 s[4:5], vcc
	s_cbranch_execnz .LBB60_49
.LBB60_6:
	s_or_b64 exec, exec, s[4:5]
	v_cmp_gt_u32_e32 vcc, s6, v6
	s_and_saveexec_b64 s[4:5], vcc
	s_cbranch_execz .LBB60_8
.LBB60_7:
	v_mov_b32_e32 v7, 0
	v_lshlrev_b64 v[8:9], 2, v[6:7]
	s_waitcnt vmcnt(0)
	v_mov_b32_e32 v4, s26
	v_add_co_u32_e32 v11, vcc, s25, v8
	v_addc_co_u32_e32 v4, vcc, v4, v9, vcc
	v_subrev_u32_e32 v8, s15, v6
	v_mov_b32_e32 v9, v7
	v_lshlrev_b64 v[8:9], 2, v[8:9]
	v_mov_b32_e32 v7, s27
	v_add_co_u32_e32 v8, vcc, s23, v8
	v_addc_co_u32_e32 v7, vcc, v7, v9, vcc
	v_cmp_gt_u32_e32 vcc, s15, v6
	v_cndmask_b32_e32 v9, v7, v4, vcc
	v_cndmask_b32_e32 v8, v8, v11, vcc
	global_load_dword v4, v[8:9], off
.LBB60_8:
	s_or_b64 exec, exec, s[4:5]
	v_add_u32_e32 v8, v6, v17
	v_cmp_gt_u32_e64 s[4:5], s6, v8
.LBB60_9:
	s_and_saveexec_b64 s[6:7], s[4:5]
	s_cbranch_execz .LBB60_11
; %bb.10:
	v_subrev_u32_e32 v12, s15, v8
	v_mov_b32_e32 v13, 0
	v_lshlrev_b64 v[14:15], 2, v[12:13]
	v_mov_b32_e32 v5, s27
	v_add_co_u32_e32 v7, vcc, s23, v14
	v_mov_b32_e32 v9, v13
	v_addc_co_u32_e32 v5, vcc, v5, v15, vcc
	v_lshlrev_b64 v[12:13], 2, v[8:9]
	v_mov_b32_e32 v9, s26
	v_add_co_u32_e32 v11, vcc, s25, v12
	v_addc_co_u32_e32 v9, vcc, v9, v13, vcc
	v_cmp_gt_u32_e32 vcc, s15, v8
	v_cndmask_b32_e32 v9, v5, v9, vcc
	v_cndmask_b32_e32 v8, v7, v11, vcc
	global_load_dword v5, v[8:9], off
.LBB60_11:
	s_or_b64 exec, exec, s[6:7]
	s_lshl_b64 s[0:1], s[0:1], 3
	s_add_u32 s4, s10, s0
	s_addc_u32 s5, s11, s1
	s_lshl_b64 s[0:1], s[2:3], 3
	s_add_u32 s6, s10, s0
	s_addc_u32 s7, s11, s1
	s_andn2_b64 vcc, exec, s[18:19]
	v_lshlrev_b32_e32 v18, 3, v0
	s_waitcnt vmcnt(0)
	ds_write2st64_b32 v1, v2, v3 offset1:4
	ds_write2st64_b32 v1, v4, v5 offset0:8 offset1:12
	s_cbranch_vccnz .LBB60_14
; %bb.12:
	v_subrev_u32_e32 v14, s15, v0
	v_mov_b32_e32 v15, 0
	v_lshlrev_b64 v[8:9], 3, v[14:15]
	v_mov_b32_e32 v7, s7
	v_add_co_u32_e32 v8, vcc, s6, v8
	v_addc_co_u32_e32 v7, vcc, v7, v9, vcc
	v_mov_b32_e32 v9, s5
	v_add_co_u32_e32 v11, vcc, s4, v18
	v_addc_co_u32_e32 v9, vcc, 0, v9, vcc
	v_subrev_u32_e32 v14, s15, v10
	v_cmp_gt_u32_e32 vcc, s15, v0
	v_lshlrev_b64 v[12:13], 3, v[14:15]
	v_cndmask_b32_e32 v9, v7, v9, vcc
	v_cndmask_b32_e32 v8, v8, v11, vcc
	v_mov_b32_e32 v7, s7
	v_add_co_u32_e32 v14, vcc, s6, v12
	v_mov_b32_e32 v11, v15
	v_addc_co_u32_e32 v7, vcc, v7, v13, vcc
	v_lshlrev_b64 v[12:13], 3, v[10:11]
	v_mov_b32_e32 v11, s5
	v_add_co_u32_e32 v12, vcc, s4, v12
	v_addc_co_u32_e32 v11, vcc, v11, v13, vcc
	v_cmp_gt_u32_e32 vcc, s15, v10
	v_cndmask_b32_e32 v12, v14, v12, vcc
	v_subrev_u32_e32 v14, s15, v6
	v_lshlrev_b64 v[20:21], 3, v[14:15]
	v_cndmask_b32_e32 v13, v7, v11, vcc
	v_mov_b32_e32 v7, s7
	v_add_co_u32_e32 v11, vcc, s6, v20
	v_addc_co_u32_e32 v16, vcc, v7, v21, vcc
	v_mov_b32_e32 v7, v15
	v_lshlrev_b64 v[14:15], 3, v[6:7]
	v_mov_b32_e32 v7, s5
	v_add_co_u32_e32 v14, vcc, s4, v14
	v_addc_co_u32_e32 v7, vcc, v7, v15, vcc
	v_cmp_gt_u32_e32 vcc, s15, v6
	v_cndmask_b32_e32 v15, v16, v7, vcc
	v_cndmask_b32_e32 v14, v11, v14, vcc
	global_load_dwordx2 v[8:9], v[8:9], off
	v_add_u32_e32 v16, v6, v17
	global_load_dwordx2 v[12:13], v[12:13], off
	s_add_i32 s10, s17, s15
	global_load_dwordx2 v[14:15], v[14:15], off
	s_mov_b64 s[0:1], -1
	s_cbranch_execz .LBB60_15
; %bb.13:
                                        ; implicit-def: $sgpr2
	s_branch .LBB60_22
.LBB60_14:
	s_mov_b64 s[0:1], 0
                                        ; implicit-def: $vgpr14_vgpr15
                                        ; implicit-def: $vgpr12_vgpr13
                                        ; implicit-def: $vgpr8_vgpr9
                                        ; implicit-def: $vgpr16
                                        ; implicit-def: $sgpr10
.LBB60_15:
	s_mov_b32 s0, 0
	s_add_i32 s10, s17, s15
	s_mov_b32 s1, s0
	v_cmp_gt_u32_e32 vcc, s10, v0
	s_waitcnt vmcnt(2)
	v_pk_mov_b32 v[8:9], s[0:1], s[0:1] op_sel:[0,1]
	s_and_saveexec_b64 s[2:3], vcc
	s_cbranch_execz .LBB60_17
; %bb.16:
	v_mov_b32_e32 v9, 0
	v_mov_b32_e32 v7, s5
	v_add_co_u32_e32 v11, vcc, s4, v18
	v_subrev_u32_e32 v8, s15, v0
	v_addc_co_u32_e32 v7, vcc, 0, v7, vcc
	v_lshlrev_b64 v[8:9], 3, v[8:9]
	s_waitcnt vmcnt(1)
	v_mov_b32_e32 v12, s7
	v_add_co_u32_e32 v8, vcc, s6, v8
	v_addc_co_u32_e32 v9, vcc, v12, v9, vcc
	v_cmp_gt_u32_e32 vcc, s15, v0
	v_cndmask_b32_e32 v9, v9, v7, vcc
	v_cndmask_b32_e32 v8, v8, v11, vcc
	global_load_dwordx2 v[8:9], v[8:9], off
.LBB60_17:
	s_or_b64 exec, exec, s[2:3]
	v_cmp_gt_u32_e32 vcc, s10, v10
	s_waitcnt vmcnt(1)
	v_pk_mov_b32 v[12:13], s[0:1], s[0:1] op_sel:[0,1]
	s_and_saveexec_b64 s[2:3], vcc
	s_cbranch_execz .LBB60_19
; %bb.18:
	v_mov_b32_e32 v11, 0
	v_lshlrev_b64 v[12:13], 3, v[10:11]
	v_mov_b32_e32 v7, s5
	v_add_co_u32_e32 v12, vcc, s4, v12
	v_addc_co_u32_e32 v7, vcc, v7, v13, vcc
	v_cmp_gt_u32_e32 vcc, s15, v10
	v_subrev_u32_e32 v10, s15, v10
	v_lshlrev_b64 v[10:11], 3, v[10:11]
	v_mov_b32_e32 v13, s7
	v_add_co_u32_e64 v10, s[0:1], s6, v10
	v_addc_co_u32_e64 v11, s[0:1], v13, v11, s[0:1]
	v_cndmask_b32_e32 v11, v11, v7, vcc
	v_cndmask_b32_e32 v10, v10, v12, vcc
	global_load_dwordx2 v[12:13], v[10:11], off
.LBB60_19:
	s_or_b64 exec, exec, s[2:3]
	s_mov_b32 s2, 0
	s_mov_b32 s3, s2
	v_cmp_gt_u32_e32 vcc, s10, v6
	s_waitcnt vmcnt(0)
	v_pk_mov_b32 v[14:15], s[2:3], s[2:3] op_sel:[0,1]
	s_and_saveexec_b64 s[0:1], vcc
	s_cbranch_execz .LBB60_21
; %bb.20:
	v_mov_b32_e32 v7, 0
	v_lshlrev_b64 v[10:11], 3, v[6:7]
	v_mov_b32_e32 v14, s5
	v_add_co_u32_e32 v15, vcc, s4, v10
	v_addc_co_u32_e32 v14, vcc, v14, v11, vcc
	v_subrev_u32_e32 v10, s15, v6
	v_mov_b32_e32 v11, v7
	v_lshlrev_b64 v[10:11], 3, v[10:11]
	v_mov_b32_e32 v7, s7
	v_add_co_u32_e32 v10, vcc, s6, v10
	v_addc_co_u32_e32 v7, vcc, v7, v11, vcc
	v_cmp_gt_u32_e32 vcc, s15, v6
	v_cndmask_b32_e32 v11, v7, v14, vcc
	v_cndmask_b32_e32 v10, v10, v15, vcc
	global_load_dwordx2 v[14:15], v[10:11], off
.LBB60_21:
	s_or_b64 exec, exec, s[0:1]
	v_add_u32_e32 v16, v6, v17
	v_cmp_gt_u32_e64 s[0:1], s10, v16
.LBB60_22:
	v_mov_b32_e32 v10, s10
	v_mov_b32_e32 v6, s2
	;; [unrolled: 1-line block ×3, first 2 shown]
	s_and_saveexec_b64 s[2:3], s[0:1]
	s_cbranch_execz .LBB60_24
; %bb.23:
	v_subrev_u32_e32 v6, s15, v16
	v_mov_b32_e32 v7, 0
	v_lshlrev_b64 v[10:11], 3, v[6:7]
	v_mov_b32_e32 v6, s7
	v_add_co_u32_e32 v10, vcc, s6, v10
	v_mov_b32_e32 v17, v7
	v_addc_co_u32_e32 v11, vcc, v6, v11, vcc
	v_lshlrev_b64 v[6:7], 3, v[16:17]
	v_mov_b32_e32 v17, s5
	v_add_co_u32_e32 v6, vcc, s4, v6
	v_addc_co_u32_e32 v7, vcc, v17, v7, vcc
	v_cmp_gt_u32_e32 vcc, s15, v16
	v_cndmask_b32_e32 v7, v11, v7, vcc
	v_cndmask_b32_e32 v6, v10, v6, vcc
	global_load_dwordx2 v[6:7], v[6:7], off
	v_mov_b32_e32 v10, s10
.LBB60_24:
	s_or_b64 exec, exec, s[2:3]
	v_min_u32_e32 v16, v10, v1
	v_sub_u32_e64 v11, v16, s17 clamp
	v_min_u32_e32 v17, s15, v16
	v_cmp_lt_u32_e32 vcc, v11, v17
	s_waitcnt lgkmcnt(0)
	s_barrier
	s_and_saveexec_b64 s[0:1], vcc
	s_cbranch_execz .LBB60_28
; %bb.25:
	v_lshlrev_b32_e32 v19, 2, v16
	v_lshl_add_u32 v19, s15, 2, v19
	s_mov_b64 s[2:3], 0
.LBB60_26:                              ; =>This Inner Loop Header: Depth=1
	v_add_u32_e32 v20, v17, v11
	v_lshrrev_b32_e32 v20, 1, v20
	v_not_b32_e32 v21, v20
	v_lshlrev_b32_e32 v22, 2, v20
	v_lshl_add_u32 v21, v21, 2, v19
	ds_read_b32 v22, v22
	ds_read_b32 v21, v21
	v_add_u32_e32 v23, 1, v20
	s_waitcnt lgkmcnt(0)
	v_cmp_gt_u32_e32 vcc, v22, v21
	v_cndmask_b32_e32 v17, v17, v20, vcc
	v_cndmask_b32_e32 v11, v23, v11, vcc
	v_cmp_ge_u32_e32 vcc, v11, v17
	s_or_b64 s[2:3], vcc, s[2:3]
	s_andn2_b64 exec, exec, s[2:3]
	s_cbranch_execnz .LBB60_26
; %bb.27:
	s_or_b64 exec, exec, s[2:3]
.LBB60_28:
	s_or_b64 exec, exec, s[0:1]
	v_sub_u32_e32 v16, v16, v11
	v_add_u32_e32 v20, s15, v16
	v_cmp_ge_u32_e32 vcc, s15, v11
	v_cmp_le_u32_e64 s[0:1], v20, v10
	s_or_b64 s[0:1], vcc, s[0:1]
                                        ; implicit-def: $vgpr21
                                        ; implicit-def: $vgpr19
                                        ; implicit-def: $vgpr17
                                        ; implicit-def: $vgpr16
	s_and_saveexec_b64 s[10:11], s[0:1]
	s_cbranch_execz .LBB60_34
; %bb.29:
	v_cmp_gt_u32_e32 vcc, s15, v11
                                        ; implicit-def: $vgpr2
	s_and_saveexec_b64 s[0:1], vcc
	s_cbranch_execz .LBB60_31
; %bb.30:
	v_lshlrev_b32_e32 v2, 2, v11
	ds_read_b32 v2, v2
.LBB60_31:
	s_or_b64 exec, exec, s[0:1]
	v_cmp_ge_u32_e64 s[0:1], v20, v10
	v_cmp_lt_u32_e64 s[2:3], v20, v10
                                        ; implicit-def: $vgpr3
	s_and_saveexec_b64 s[4:5], s[2:3]
	s_cbranch_execz .LBB60_33
; %bb.32:
	v_lshlrev_b32_e32 v3, 2, v20
	ds_read_b32 v3, v3
.LBB60_33:
	s_or_b64 exec, exec, s[4:5]
	s_waitcnt lgkmcnt(0)
	v_cmp_le_u32_e64 s[2:3], v2, v3
	s_and_b64 s[2:3], vcc, s[2:3]
	s_or_b64 vcc, s[0:1], s[2:3]
	v_mov_b32_e32 v4, s15
	v_cndmask_b32_e32 v16, v20, v11, vcc
	v_cndmask_b32_e32 v5, v10, v4, vcc
	v_add_u32_e32 v17, 1, v16
	v_add_u32_e32 v5, -1, v5
	v_min_u32_e32 v5, v17, v5
	v_lshlrev_b32_e32 v5, 2, v5
	ds_read_b32 v5, v5
	v_cndmask_b32_e32 v11, v11, v17, vcc
	v_cndmask_b32_e32 v19, v17, v20, vcc
	v_cmp_gt_u32_e64 s[2:3], s15, v11
	v_cmp_ge_u32_e64 s[0:1], v19, v10
	s_waitcnt lgkmcnt(0)
	v_cndmask_b32_e32 v21, v5, v3, vcc
	v_cndmask_b32_e32 v5, v2, v5, vcc
	v_cmp_le_u32_e64 s[4:5], v5, v21
	s_and_b64 s[2:3], s[2:3], s[4:5]
	s_or_b64 s[0:1], s[0:1], s[2:3]
	v_cndmask_b32_e64 v17, v19, v11, s[0:1]
	v_cndmask_b32_e64 v20, v10, v4, s[0:1]
	v_add_u32_e32 v22, 1, v17
	v_add_u32_e32 v20, -1, v20
	v_min_u32_e32 v20, v22, v20
	v_lshlrev_b32_e32 v20, 2, v20
	ds_read_b32 v20, v20
	v_cndmask_b32_e64 v11, v11, v22, s[0:1]
	v_cndmask_b32_e64 v24, v22, v19, s[0:1]
	v_cmp_gt_u32_e64 s[4:5], s15, v11
	v_cmp_ge_u32_e64 s[2:3], v24, v10
	s_waitcnt lgkmcnt(0)
	v_cndmask_b32_e64 v23, v20, v21, s[0:1]
	v_cndmask_b32_e64 v20, v5, v20, s[0:1]
	v_cmp_le_u32_e64 s[6:7], v20, v23
	s_and_b64 s[4:5], s[4:5], s[6:7]
	s_or_b64 s[2:3], s[2:3], s[4:5]
	v_cndmask_b32_e64 v19, v24, v11, s[2:3]
	v_cndmask_b32_e64 v4, v10, v4, s[2:3]
	v_add_u32_e32 v22, 1, v19
	v_add_u32_e32 v4, -1, v4
	v_min_u32_e32 v4, v22, v4
	v_lshlrev_b32_e32 v4, 2, v4
	ds_read_b32 v25, v4
	v_cndmask_b32_e32 v2, v3, v2, vcc
	v_cndmask_b32_e64 v3, v21, v5, s[0:1]
	v_cndmask_b32_e64 v4, v23, v20, s[2:3]
	;; [unrolled: 1-line block ×3, first 2 shown]
	s_waitcnt lgkmcnt(0)
	v_cndmask_b32_e64 v5, v25, v23, s[2:3]
	v_cndmask_b32_e64 v20, v20, v25, s[2:3]
	;; [unrolled: 1-line block ×3, first 2 shown]
	v_cmp_gt_u32_e64 s[0:1], s15, v11
	v_cmp_le_u32_e64 s[2:3], v20, v5
	v_cmp_ge_u32_e32 vcc, v21, v10
	s_and_b64 s[0:1], s[0:1], s[2:3]
	s_or_b64 vcc, vcc, s[0:1]
	v_cndmask_b32_e32 v21, v21, v11, vcc
	v_cndmask_b32_e32 v5, v5, v20, vcc
.LBB60_34:
	s_or_b64 exec, exec, s[10:11]
	v_add_u32_e32 v22, v1, v1
	s_barrier
	s_waitcnt vmcnt(1)
	ds_write2st64_b64 v22, v[8:9], v[12:13] offset1:4
	s_waitcnt vmcnt(0)
	ds_write2st64_b64 v22, v[14:15], v[6:7] offset0:8 offset1:12
	v_lshlrev_b32_e32 v6, 3, v16
	v_lshlrev_b32_e32 v7, 3, v17
	;; [unrolled: 1-line block ×4, first 2 shown]
	s_waitcnt lgkmcnt(0)
	s_barrier
	ds_read_b64 v[10:11], v6
	ds_read_b64 v[12:13], v7
	;; [unrolled: 1-line block ×4, first 2 shown]
	s_mov_b32 s17, 0
	s_lshl_b64 s[0:1], s[16:17], 2
	v_lshrrev_b32_e32 v14, 3, v0
	s_add_u32 s0, s8, s0
	v_add_u32_e32 v16, v14, v1
	s_addc_u32 s1, s9, s1
	v_lshlrev_b32_e32 v17, 2, v16
	s_waitcnt lgkmcnt(0)
	s_barrier
	s_barrier
	ds_write2_b32 v17, v2, v3 offset1:1
	ds_write2_b32 v17, v4, v5 offset0:2 offset1:3
	v_or_b32_e32 v21, 0x100, v0
	v_or_b32_e32 v20, 0x200, v0
	;; [unrolled: 1-line block ×3, first 2 shown]
	v_mov_b32_e32 v3, s1
	v_add_co_u32_e32 v2, vcc, s0, v1
	v_lshrrev_b32_e32 v14, 5, v0
	v_lshrrev_b32_e32 v4, 5, v21
	;; [unrolled: 1-line block ×4, first 2 shown]
	v_addc_co_u32_e32 v3, vcc, 0, v3, vcc
	v_lshl_add_u32 v15, v14, 2, v1
	v_lshl_add_u32 v23, v4, 2, v1
	;; [unrolled: 1-line block ×4, first 2 shown]
	s_mov_b64 s[0:1], -1
	s_and_b64 vcc, exec, s[18:19]
	v_lshl_add_u32 v1, v4, 3, v22
	v_lshl_add_u32 v4, v5, 3, v22
	;; [unrolled: 1-line block ×3, first 2 shown]
	s_waitcnt lgkmcnt(0)
	s_cbranch_vccz .LBB60_36
; %bb.35:
	s_barrier
	ds_read_b32 v26, v15
	ds_read_b32 v27, v23 offset:1024
	ds_read_b32 v28, v24 offset:2048
	;; [unrolled: 1-line block ×3, first 2 shown]
	s_lshl_b64 s[0:1], s[16:17], 3
	s_add_u32 s0, s12, s0
	s_waitcnt lgkmcnt(3)
	global_store_dword v[2:3], v26, off
	s_waitcnt lgkmcnt(2)
	global_store_dword v[2:3], v27, off offset:1024
	s_waitcnt lgkmcnt(1)
	global_store_dword v[2:3], v28, off offset:2048
	;; [unrolled: 2-line block ×3, first 2 shown]
	v_lshlrev_b32_e32 v26, 3, v16
	v_lshl_add_u32 v22, v14, 3, v22
	s_barrier
	s_addc_u32 s1, s13, s1
	ds_write2_b64 v26, v[10:11], v[12:13] offset1:1
	ds_write2_b64 v26, v[6:7], v[8:9] offset0:2 offset1:3
	s_waitcnt lgkmcnt(0)
	s_barrier
	ds_read_b64 v[26:27], v22
	ds_read_b64 v[28:29], v1 offset:2048
	v_mov_b32_e32 v30, s1
	v_add_co_u32_e32 v22, vcc, s0, v18
	v_addc_co_u32_e32 v34, vcc, 0, v30, vcc
	ds_read_b64 v[30:31], v4 offset:4096
	ds_read_b64 v[32:33], v5 offset:6144
	s_waitcnt lgkmcnt(3)
	global_store_dwordx2 v18, v[26:27], s[0:1]
	s_waitcnt lgkmcnt(2)
	global_store_dwordx2 v18, v[28:29], s[0:1] offset:2048
	v_add_co_u32_e32 v26, vcc, 0x1000, v22
	v_addc_co_u32_e32 v27, vcc, 0, v34, vcc
	s_waitcnt lgkmcnt(1)
	global_store_dwordx2 v[26:27], v[30:31], off
	s_waitcnt lgkmcnt(0)
	global_store_dwordx2 v[26:27], v[32:33], off offset:2048
	s_mov_b64 s[0:1], 0
.LBB60_36:
	s_andn2_b64 vcc, exec, s[0:1]
	s_cbranch_vccnz .LBB60_47
; %bb.37:
	s_barrier
	ds_read_b32 v26, v23 offset:1024
	ds_read_b32 v23, v24 offset:2048
	;; [unrolled: 1-line block ×3, first 2 shown]
	s_sub_i32 s6, s14, s16
	v_cmp_gt_u32_e32 vcc, s6, v0
	s_and_saveexec_b64 s[0:1], vcc
	s_cbranch_execnz .LBB60_50
; %bb.38:
	s_or_b64 exec, exec, s[0:1]
	v_cmp_gt_u32_e64 s[2:3], s6, v21
	s_and_saveexec_b64 s[0:1], s[2:3]
	s_cbranch_execnz .LBB60_51
.LBB60_39:
	s_or_b64 exec, exec, s[0:1]
	v_cmp_gt_u32_e64 s[4:5], s6, v20
	s_and_saveexec_b64 s[0:1], s[4:5]
	s_cbranch_execnz .LBB60_52
.LBB60_40:
	s_or_b64 exec, exec, s[0:1]
	v_cmp_gt_u32_e64 s[0:1], s6, v19
	s_and_saveexec_b64 s[6:7], s[0:1]
	s_cbranch_execz .LBB60_42
.LBB60_41:
	s_waitcnt lgkmcnt(0)
	global_store_dword v[2:3], v22, off offset:3072
.LBB60_42:
	s_or_b64 exec, exec, s[6:7]
	v_lshl_add_u32 v2, v16, 2, v17
	s_waitcnt lgkmcnt(0)
	s_barrier
	ds_write2_b64 v2, v[10:11], v[12:13] offset1:1
	ds_write2_b64 v2, v[6:7], v[8:9] offset0:2 offset1:3
	s_waitcnt lgkmcnt(0)
	s_barrier
	ds_read_b64 v[8:9], v1 offset:2048
	ds_read_b64 v[6:7], v4 offset:4096
	;; [unrolled: 1-line block ×3, first 2 shown]
	s_lshl_b64 s[6:7], s[16:17], 3
	s_add_u32 s6, s12, s6
	s_addc_u32 s7, s13, s7
	v_mov_b32_e32 v1, s7
	v_add_co_u32_e64 v4, s[6:7], s6, v18
	v_addc_co_u32_e64 v5, s[6:7], 0, v1, s[6:7]
	s_and_saveexec_b64 s[6:7], vcc
	s_cbranch_execnz .LBB60_53
; %bb.43:
	s_or_b64 exec, exec, s[6:7]
	s_and_saveexec_b64 s[6:7], s[2:3]
	s_cbranch_execnz .LBB60_54
.LBB60_44:
	s_or_b64 exec, exec, s[6:7]
	s_and_saveexec_b64 s[2:3], s[4:5]
	s_cbranch_execnz .LBB60_55
.LBB60_45:
	s_or_b64 exec, exec, s[2:3]
	s_and_saveexec_b64 s[2:3], s[0:1]
	s_cbranch_execz .LBB60_47
.LBB60_46:
	v_add_co_u32_e32 v0, vcc, 0x1000, v4
	v_addc_co_u32_e32 v1, vcc, 0, v5, vcc
	s_waitcnt lgkmcnt(0)
	global_store_dwordx2 v[0:1], v[2:3], off offset:2048
.LBB60_47:
	s_endpgm
.LBB60_48:
	s_waitcnt vmcnt(2)
	v_mov_b32_e32 v2, s26
	s_waitcnt vmcnt(0)
	v_add_co_u32_e32 v4, vcc, s25, v1
	v_mov_b32_e32 v3, 0
	v_addc_co_u32_e32 v5, vcc, 0, v2, vcc
	v_subrev_u32_e32 v2, s15, v0
	v_lshlrev_b64 v[2:3], 2, v[2:3]
	v_mov_b32_e32 v7, s27
	v_add_co_u32_e32 v2, vcc, s23, v2
	v_addc_co_u32_e32 v3, vcc, v7, v3, vcc
	v_cmp_gt_u32_e32 vcc, s15, v0
	v_cndmask_b32_e32 v3, v3, v5, vcc
	v_cndmask_b32_e32 v2, v2, v4, vcc
	global_load_dword v2, v[2:3], off
	s_or_b64 exec, exec, s[4:5]
	v_cmp_gt_u32_e32 vcc, s6, v10
	s_and_saveexec_b64 s[4:5], vcc
	s_cbranch_execz .LBB60_6
.LBB60_49:
	v_mov_b32_e32 v11, 0
	v_lshlrev_b64 v[8:9], 2, v[10:11]
	s_waitcnt vmcnt(1)
	v_mov_b32_e32 v3, s26
	v_add_co_u32_e32 v7, vcc, s25, v8
	v_addc_co_u32_e32 v3, vcc, v3, v9, vcc
	v_subrev_u32_e32 v8, s15, v10
	v_mov_b32_e32 v9, v11
	v_lshlrev_b64 v[8:9], 2, v[8:9]
	v_mov_b32_e32 v11, s27
	v_add_co_u32_e32 v8, vcc, s23, v8
	v_addc_co_u32_e32 v9, vcc, v11, v9, vcc
	v_cmp_gt_u32_e32 vcc, s15, v10
	v_cndmask_b32_e32 v9, v9, v3, vcc
	v_cndmask_b32_e32 v8, v8, v7, vcc
	global_load_dword v3, v[8:9], off
	s_or_b64 exec, exec, s[4:5]
	v_cmp_gt_u32_e32 vcc, s6, v6
	s_and_saveexec_b64 s[4:5], vcc
	s_cbranch_execnz .LBB60_7
	s_branch .LBB60_8
.LBB60_50:
	ds_read_b32 v24, v15
	s_waitcnt lgkmcnt(0)
	global_store_dword v[2:3], v24, off
	s_or_b64 exec, exec, s[0:1]
	v_cmp_gt_u32_e64 s[2:3], s6, v21
	s_and_saveexec_b64 s[0:1], s[2:3]
	s_cbranch_execz .LBB60_39
.LBB60_51:
	s_waitcnt lgkmcnt(2)
	global_store_dword v[2:3], v26, off offset:1024
	s_or_b64 exec, exec, s[0:1]
	v_cmp_gt_u32_e64 s[4:5], s6, v20
	s_and_saveexec_b64 s[0:1], s[4:5]
	s_cbranch_execz .LBB60_40
.LBB60_52:
	s_waitcnt lgkmcnt(1)
	global_store_dword v[2:3], v23, off offset:2048
	s_or_b64 exec, exec, s[0:1]
	v_cmp_gt_u32_e64 s[0:1], s6, v19
	s_and_saveexec_b64 s[6:7], s[0:1]
	s_cbranch_execnz .LBB60_41
	s_branch .LBB60_42
.LBB60_53:
	v_add_u32_e32 v0, v14, v0
	v_lshl_add_u32 v0, v0, 2, v15
	ds_read_b64 v[0:1], v0
	s_waitcnt lgkmcnt(0)
	global_store_dwordx2 v[4:5], v[0:1], off
	s_or_b64 exec, exec, s[6:7]
	s_and_saveexec_b64 s[6:7], s[2:3]
	s_cbranch_execz .LBB60_44
.LBB60_54:
	s_waitcnt lgkmcnt(2)
	global_store_dwordx2 v[4:5], v[8:9], off offset:2048
	s_or_b64 exec, exec, s[6:7]
	s_and_saveexec_b64 s[2:3], s[4:5]
	s_cbranch_execz .LBB60_45
.LBB60_55:
	v_add_co_u32_e32 v0, vcc, 0x1000, v4
	v_addc_co_u32_e32 v1, vcc, 0, v5, vcc
	s_waitcnt lgkmcnt(1)
	global_store_dwordx2 v[0:1], v[6:7], off
	s_or_b64 exec, exec, s[2:3]
	s_and_saveexec_b64 s[2:3], s[0:1]
	s_cbranch_execnz .LBB60_46
	s_branch .LBB60_47
	.section	.rodata,"a",@progbits
	.p2align	6, 0x0
	.amdhsa_kernel _ZN7rocprim17ROCPRIM_400000_NS6detail17trampoline_kernelINS0_14default_configENS1_38merge_sort_block_merge_config_selectorIjN6thrust23THRUST_200600_302600_NS5tupleIffNS6_9null_typeES8_S8_S8_S8_S8_S8_S8_EEEEZZNS1_27merge_sort_block_merge_implIS3_NS6_6detail15normal_iteratorINS6_10device_ptrIjEEEENSD_INSE_IS9_EEEEjNS1_19radix_merge_compareILb0ELb0EjNS0_19identity_decomposerEEEEE10hipError_tT0_T1_T2_jT3_P12ihipStream_tbPNSt15iterator_traitsISN_E10value_typeEPNST_ISO_E10value_typeEPSP_NS1_7vsmem_tEENKUlT_SN_SO_SP_E_clISG_PjSI_PS9_EESM_S12_SN_SO_SP_EUlS12_E0_NS1_11comp_targetILNS1_3genE4ELNS1_11target_archE910ELNS1_3gpuE8ELNS1_3repE0EEENS1_38merge_mergepath_config_static_selectorELNS0_4arch9wavefront6targetE1EEEvSO_
		.amdhsa_group_segment_fixed_size 8448
		.amdhsa_private_segment_fixed_size 0
		.amdhsa_kernarg_size 320
		.amdhsa_user_sgpr_count 6
		.amdhsa_user_sgpr_private_segment_buffer 1
		.amdhsa_user_sgpr_dispatch_ptr 0
		.amdhsa_user_sgpr_queue_ptr 0
		.amdhsa_user_sgpr_kernarg_segment_ptr 1
		.amdhsa_user_sgpr_dispatch_id 0
		.amdhsa_user_sgpr_flat_scratch_init 0
		.amdhsa_user_sgpr_kernarg_preload_length 0
		.amdhsa_user_sgpr_kernarg_preload_offset 0
		.amdhsa_user_sgpr_private_segment_size 0
		.amdhsa_uses_dynamic_stack 0
		.amdhsa_system_sgpr_private_segment_wavefront_offset 0
		.amdhsa_system_sgpr_workgroup_id_x 1
		.amdhsa_system_sgpr_workgroup_id_y 1
		.amdhsa_system_sgpr_workgroup_id_z 1
		.amdhsa_system_sgpr_workgroup_info 0
		.amdhsa_system_vgpr_workitem_id 0
		.amdhsa_next_free_vgpr 35
		.amdhsa_next_free_sgpr 30
		.amdhsa_accum_offset 36
		.amdhsa_reserve_vcc 1
		.amdhsa_reserve_flat_scratch 0
		.amdhsa_float_round_mode_32 0
		.amdhsa_float_round_mode_16_64 0
		.amdhsa_float_denorm_mode_32 3
		.amdhsa_float_denorm_mode_16_64 3
		.amdhsa_dx10_clamp 1
		.amdhsa_ieee_mode 1
		.amdhsa_fp16_overflow 0
		.amdhsa_tg_split 0
		.amdhsa_exception_fp_ieee_invalid_op 0
		.amdhsa_exception_fp_denorm_src 0
		.amdhsa_exception_fp_ieee_div_zero 0
		.amdhsa_exception_fp_ieee_overflow 0
		.amdhsa_exception_fp_ieee_underflow 0
		.amdhsa_exception_fp_ieee_inexact 0
		.amdhsa_exception_int_div_zero 0
	.end_amdhsa_kernel
	.section	.text._ZN7rocprim17ROCPRIM_400000_NS6detail17trampoline_kernelINS0_14default_configENS1_38merge_sort_block_merge_config_selectorIjN6thrust23THRUST_200600_302600_NS5tupleIffNS6_9null_typeES8_S8_S8_S8_S8_S8_S8_EEEEZZNS1_27merge_sort_block_merge_implIS3_NS6_6detail15normal_iteratorINS6_10device_ptrIjEEEENSD_INSE_IS9_EEEEjNS1_19radix_merge_compareILb0ELb0EjNS0_19identity_decomposerEEEEE10hipError_tT0_T1_T2_jT3_P12ihipStream_tbPNSt15iterator_traitsISN_E10value_typeEPNST_ISO_E10value_typeEPSP_NS1_7vsmem_tEENKUlT_SN_SO_SP_E_clISG_PjSI_PS9_EESM_S12_SN_SO_SP_EUlS12_E0_NS1_11comp_targetILNS1_3genE4ELNS1_11target_archE910ELNS1_3gpuE8ELNS1_3repE0EEENS1_38merge_mergepath_config_static_selectorELNS0_4arch9wavefront6targetE1EEEvSO_,"axG",@progbits,_ZN7rocprim17ROCPRIM_400000_NS6detail17trampoline_kernelINS0_14default_configENS1_38merge_sort_block_merge_config_selectorIjN6thrust23THRUST_200600_302600_NS5tupleIffNS6_9null_typeES8_S8_S8_S8_S8_S8_S8_EEEEZZNS1_27merge_sort_block_merge_implIS3_NS6_6detail15normal_iteratorINS6_10device_ptrIjEEEENSD_INSE_IS9_EEEEjNS1_19radix_merge_compareILb0ELb0EjNS0_19identity_decomposerEEEEE10hipError_tT0_T1_T2_jT3_P12ihipStream_tbPNSt15iterator_traitsISN_E10value_typeEPNST_ISO_E10value_typeEPSP_NS1_7vsmem_tEENKUlT_SN_SO_SP_E_clISG_PjSI_PS9_EESM_S12_SN_SO_SP_EUlS12_E0_NS1_11comp_targetILNS1_3genE4ELNS1_11target_archE910ELNS1_3gpuE8ELNS1_3repE0EEENS1_38merge_mergepath_config_static_selectorELNS0_4arch9wavefront6targetE1EEEvSO_,comdat
.Lfunc_end60:
	.size	_ZN7rocprim17ROCPRIM_400000_NS6detail17trampoline_kernelINS0_14default_configENS1_38merge_sort_block_merge_config_selectorIjN6thrust23THRUST_200600_302600_NS5tupleIffNS6_9null_typeES8_S8_S8_S8_S8_S8_S8_EEEEZZNS1_27merge_sort_block_merge_implIS3_NS6_6detail15normal_iteratorINS6_10device_ptrIjEEEENSD_INSE_IS9_EEEEjNS1_19radix_merge_compareILb0ELb0EjNS0_19identity_decomposerEEEEE10hipError_tT0_T1_T2_jT3_P12ihipStream_tbPNSt15iterator_traitsISN_E10value_typeEPNST_ISO_E10value_typeEPSP_NS1_7vsmem_tEENKUlT_SN_SO_SP_E_clISG_PjSI_PS9_EESM_S12_SN_SO_SP_EUlS12_E0_NS1_11comp_targetILNS1_3genE4ELNS1_11target_archE910ELNS1_3gpuE8ELNS1_3repE0EEENS1_38merge_mergepath_config_static_selectorELNS0_4arch9wavefront6targetE1EEEvSO_, .Lfunc_end60-_ZN7rocprim17ROCPRIM_400000_NS6detail17trampoline_kernelINS0_14default_configENS1_38merge_sort_block_merge_config_selectorIjN6thrust23THRUST_200600_302600_NS5tupleIffNS6_9null_typeES8_S8_S8_S8_S8_S8_S8_EEEEZZNS1_27merge_sort_block_merge_implIS3_NS6_6detail15normal_iteratorINS6_10device_ptrIjEEEENSD_INSE_IS9_EEEEjNS1_19radix_merge_compareILb0ELb0EjNS0_19identity_decomposerEEEEE10hipError_tT0_T1_T2_jT3_P12ihipStream_tbPNSt15iterator_traitsISN_E10value_typeEPNST_ISO_E10value_typeEPSP_NS1_7vsmem_tEENKUlT_SN_SO_SP_E_clISG_PjSI_PS9_EESM_S12_SN_SO_SP_EUlS12_E0_NS1_11comp_targetILNS1_3genE4ELNS1_11target_archE910ELNS1_3gpuE8ELNS1_3repE0EEENS1_38merge_mergepath_config_static_selectorELNS0_4arch9wavefront6targetE1EEEvSO_
                                        ; -- End function
	.section	.AMDGPU.csdata,"",@progbits
; Kernel info:
; codeLenInByte = 3280
; NumSgprs: 34
; NumVgprs: 35
; NumAgprs: 0
; TotalNumVgprs: 35
; ScratchSize: 0
; MemoryBound: 0
; FloatMode: 240
; IeeeMode: 1
; LDSByteSize: 8448 bytes/workgroup (compile time only)
; SGPRBlocks: 4
; VGPRBlocks: 4
; NumSGPRsForWavesPerEU: 34
; NumVGPRsForWavesPerEU: 35
; AccumOffset: 36
; Occupancy: 7
; WaveLimiterHint : 1
; COMPUTE_PGM_RSRC2:SCRATCH_EN: 0
; COMPUTE_PGM_RSRC2:USER_SGPR: 6
; COMPUTE_PGM_RSRC2:TRAP_HANDLER: 0
; COMPUTE_PGM_RSRC2:TGID_X_EN: 1
; COMPUTE_PGM_RSRC2:TGID_Y_EN: 1
; COMPUTE_PGM_RSRC2:TGID_Z_EN: 1
; COMPUTE_PGM_RSRC2:TIDIG_COMP_CNT: 0
; COMPUTE_PGM_RSRC3_GFX90A:ACCUM_OFFSET: 8
; COMPUTE_PGM_RSRC3_GFX90A:TG_SPLIT: 0
	.section	.text._ZN7rocprim17ROCPRIM_400000_NS6detail17trampoline_kernelINS0_14default_configENS1_38merge_sort_block_merge_config_selectorIjN6thrust23THRUST_200600_302600_NS5tupleIffNS6_9null_typeES8_S8_S8_S8_S8_S8_S8_EEEEZZNS1_27merge_sort_block_merge_implIS3_NS6_6detail15normal_iteratorINS6_10device_ptrIjEEEENSD_INSE_IS9_EEEEjNS1_19radix_merge_compareILb0ELb0EjNS0_19identity_decomposerEEEEE10hipError_tT0_T1_T2_jT3_P12ihipStream_tbPNSt15iterator_traitsISN_E10value_typeEPNST_ISO_E10value_typeEPSP_NS1_7vsmem_tEENKUlT_SN_SO_SP_E_clISG_PjSI_PS9_EESM_S12_SN_SO_SP_EUlS12_E0_NS1_11comp_targetILNS1_3genE3ELNS1_11target_archE908ELNS1_3gpuE7ELNS1_3repE0EEENS1_38merge_mergepath_config_static_selectorELNS0_4arch9wavefront6targetE1EEEvSO_,"axG",@progbits,_ZN7rocprim17ROCPRIM_400000_NS6detail17trampoline_kernelINS0_14default_configENS1_38merge_sort_block_merge_config_selectorIjN6thrust23THRUST_200600_302600_NS5tupleIffNS6_9null_typeES8_S8_S8_S8_S8_S8_S8_EEEEZZNS1_27merge_sort_block_merge_implIS3_NS6_6detail15normal_iteratorINS6_10device_ptrIjEEEENSD_INSE_IS9_EEEEjNS1_19radix_merge_compareILb0ELb0EjNS0_19identity_decomposerEEEEE10hipError_tT0_T1_T2_jT3_P12ihipStream_tbPNSt15iterator_traitsISN_E10value_typeEPNST_ISO_E10value_typeEPSP_NS1_7vsmem_tEENKUlT_SN_SO_SP_E_clISG_PjSI_PS9_EESM_S12_SN_SO_SP_EUlS12_E0_NS1_11comp_targetILNS1_3genE3ELNS1_11target_archE908ELNS1_3gpuE7ELNS1_3repE0EEENS1_38merge_mergepath_config_static_selectorELNS0_4arch9wavefront6targetE1EEEvSO_,comdat
	.protected	_ZN7rocprim17ROCPRIM_400000_NS6detail17trampoline_kernelINS0_14default_configENS1_38merge_sort_block_merge_config_selectorIjN6thrust23THRUST_200600_302600_NS5tupleIffNS6_9null_typeES8_S8_S8_S8_S8_S8_S8_EEEEZZNS1_27merge_sort_block_merge_implIS3_NS6_6detail15normal_iteratorINS6_10device_ptrIjEEEENSD_INSE_IS9_EEEEjNS1_19radix_merge_compareILb0ELb0EjNS0_19identity_decomposerEEEEE10hipError_tT0_T1_T2_jT3_P12ihipStream_tbPNSt15iterator_traitsISN_E10value_typeEPNST_ISO_E10value_typeEPSP_NS1_7vsmem_tEENKUlT_SN_SO_SP_E_clISG_PjSI_PS9_EESM_S12_SN_SO_SP_EUlS12_E0_NS1_11comp_targetILNS1_3genE3ELNS1_11target_archE908ELNS1_3gpuE7ELNS1_3repE0EEENS1_38merge_mergepath_config_static_selectorELNS0_4arch9wavefront6targetE1EEEvSO_ ; -- Begin function _ZN7rocprim17ROCPRIM_400000_NS6detail17trampoline_kernelINS0_14default_configENS1_38merge_sort_block_merge_config_selectorIjN6thrust23THRUST_200600_302600_NS5tupleIffNS6_9null_typeES8_S8_S8_S8_S8_S8_S8_EEEEZZNS1_27merge_sort_block_merge_implIS3_NS6_6detail15normal_iteratorINS6_10device_ptrIjEEEENSD_INSE_IS9_EEEEjNS1_19radix_merge_compareILb0ELb0EjNS0_19identity_decomposerEEEEE10hipError_tT0_T1_T2_jT3_P12ihipStream_tbPNSt15iterator_traitsISN_E10value_typeEPNST_ISO_E10value_typeEPSP_NS1_7vsmem_tEENKUlT_SN_SO_SP_E_clISG_PjSI_PS9_EESM_S12_SN_SO_SP_EUlS12_E0_NS1_11comp_targetILNS1_3genE3ELNS1_11target_archE908ELNS1_3gpuE7ELNS1_3repE0EEENS1_38merge_mergepath_config_static_selectorELNS0_4arch9wavefront6targetE1EEEvSO_
	.globl	_ZN7rocprim17ROCPRIM_400000_NS6detail17trampoline_kernelINS0_14default_configENS1_38merge_sort_block_merge_config_selectorIjN6thrust23THRUST_200600_302600_NS5tupleIffNS6_9null_typeES8_S8_S8_S8_S8_S8_S8_EEEEZZNS1_27merge_sort_block_merge_implIS3_NS6_6detail15normal_iteratorINS6_10device_ptrIjEEEENSD_INSE_IS9_EEEEjNS1_19radix_merge_compareILb0ELb0EjNS0_19identity_decomposerEEEEE10hipError_tT0_T1_T2_jT3_P12ihipStream_tbPNSt15iterator_traitsISN_E10value_typeEPNST_ISO_E10value_typeEPSP_NS1_7vsmem_tEENKUlT_SN_SO_SP_E_clISG_PjSI_PS9_EESM_S12_SN_SO_SP_EUlS12_E0_NS1_11comp_targetILNS1_3genE3ELNS1_11target_archE908ELNS1_3gpuE7ELNS1_3repE0EEENS1_38merge_mergepath_config_static_selectorELNS0_4arch9wavefront6targetE1EEEvSO_
	.p2align	8
	.type	_ZN7rocprim17ROCPRIM_400000_NS6detail17trampoline_kernelINS0_14default_configENS1_38merge_sort_block_merge_config_selectorIjN6thrust23THRUST_200600_302600_NS5tupleIffNS6_9null_typeES8_S8_S8_S8_S8_S8_S8_EEEEZZNS1_27merge_sort_block_merge_implIS3_NS6_6detail15normal_iteratorINS6_10device_ptrIjEEEENSD_INSE_IS9_EEEEjNS1_19radix_merge_compareILb0ELb0EjNS0_19identity_decomposerEEEEE10hipError_tT0_T1_T2_jT3_P12ihipStream_tbPNSt15iterator_traitsISN_E10value_typeEPNST_ISO_E10value_typeEPSP_NS1_7vsmem_tEENKUlT_SN_SO_SP_E_clISG_PjSI_PS9_EESM_S12_SN_SO_SP_EUlS12_E0_NS1_11comp_targetILNS1_3genE3ELNS1_11target_archE908ELNS1_3gpuE7ELNS1_3repE0EEENS1_38merge_mergepath_config_static_selectorELNS0_4arch9wavefront6targetE1EEEvSO_,@function
_ZN7rocprim17ROCPRIM_400000_NS6detail17trampoline_kernelINS0_14default_configENS1_38merge_sort_block_merge_config_selectorIjN6thrust23THRUST_200600_302600_NS5tupleIffNS6_9null_typeES8_S8_S8_S8_S8_S8_S8_EEEEZZNS1_27merge_sort_block_merge_implIS3_NS6_6detail15normal_iteratorINS6_10device_ptrIjEEEENSD_INSE_IS9_EEEEjNS1_19radix_merge_compareILb0ELb0EjNS0_19identity_decomposerEEEEE10hipError_tT0_T1_T2_jT3_P12ihipStream_tbPNSt15iterator_traitsISN_E10value_typeEPNST_ISO_E10value_typeEPSP_NS1_7vsmem_tEENKUlT_SN_SO_SP_E_clISG_PjSI_PS9_EESM_S12_SN_SO_SP_EUlS12_E0_NS1_11comp_targetILNS1_3genE3ELNS1_11target_archE908ELNS1_3gpuE7ELNS1_3repE0EEENS1_38merge_mergepath_config_static_selectorELNS0_4arch9wavefront6targetE1EEEvSO_: ; @_ZN7rocprim17ROCPRIM_400000_NS6detail17trampoline_kernelINS0_14default_configENS1_38merge_sort_block_merge_config_selectorIjN6thrust23THRUST_200600_302600_NS5tupleIffNS6_9null_typeES8_S8_S8_S8_S8_S8_S8_EEEEZZNS1_27merge_sort_block_merge_implIS3_NS6_6detail15normal_iteratorINS6_10device_ptrIjEEEENSD_INSE_IS9_EEEEjNS1_19radix_merge_compareILb0ELb0EjNS0_19identity_decomposerEEEEE10hipError_tT0_T1_T2_jT3_P12ihipStream_tbPNSt15iterator_traitsISN_E10value_typeEPNST_ISO_E10value_typeEPSP_NS1_7vsmem_tEENKUlT_SN_SO_SP_E_clISG_PjSI_PS9_EESM_S12_SN_SO_SP_EUlS12_E0_NS1_11comp_targetILNS1_3genE3ELNS1_11target_archE908ELNS1_3gpuE7ELNS1_3repE0EEENS1_38merge_mergepath_config_static_selectorELNS0_4arch9wavefront6targetE1EEEvSO_
; %bb.0:
	.section	.rodata,"a",@progbits
	.p2align	6, 0x0
	.amdhsa_kernel _ZN7rocprim17ROCPRIM_400000_NS6detail17trampoline_kernelINS0_14default_configENS1_38merge_sort_block_merge_config_selectorIjN6thrust23THRUST_200600_302600_NS5tupleIffNS6_9null_typeES8_S8_S8_S8_S8_S8_S8_EEEEZZNS1_27merge_sort_block_merge_implIS3_NS6_6detail15normal_iteratorINS6_10device_ptrIjEEEENSD_INSE_IS9_EEEEjNS1_19radix_merge_compareILb0ELb0EjNS0_19identity_decomposerEEEEE10hipError_tT0_T1_T2_jT3_P12ihipStream_tbPNSt15iterator_traitsISN_E10value_typeEPNST_ISO_E10value_typeEPSP_NS1_7vsmem_tEENKUlT_SN_SO_SP_E_clISG_PjSI_PS9_EESM_S12_SN_SO_SP_EUlS12_E0_NS1_11comp_targetILNS1_3genE3ELNS1_11target_archE908ELNS1_3gpuE7ELNS1_3repE0EEENS1_38merge_mergepath_config_static_selectorELNS0_4arch9wavefront6targetE1EEEvSO_
		.amdhsa_group_segment_fixed_size 0
		.amdhsa_private_segment_fixed_size 0
		.amdhsa_kernarg_size 64
		.amdhsa_user_sgpr_count 6
		.amdhsa_user_sgpr_private_segment_buffer 1
		.amdhsa_user_sgpr_dispatch_ptr 0
		.amdhsa_user_sgpr_queue_ptr 0
		.amdhsa_user_sgpr_kernarg_segment_ptr 1
		.amdhsa_user_sgpr_dispatch_id 0
		.amdhsa_user_sgpr_flat_scratch_init 0
		.amdhsa_user_sgpr_kernarg_preload_length 0
		.amdhsa_user_sgpr_kernarg_preload_offset 0
		.amdhsa_user_sgpr_private_segment_size 0
		.amdhsa_uses_dynamic_stack 0
		.amdhsa_system_sgpr_private_segment_wavefront_offset 0
		.amdhsa_system_sgpr_workgroup_id_x 1
		.amdhsa_system_sgpr_workgroup_id_y 0
		.amdhsa_system_sgpr_workgroup_id_z 0
		.amdhsa_system_sgpr_workgroup_info 0
		.amdhsa_system_vgpr_workitem_id 0
		.amdhsa_next_free_vgpr 1
		.amdhsa_next_free_sgpr 0
		.amdhsa_accum_offset 4
		.amdhsa_reserve_vcc 0
		.amdhsa_reserve_flat_scratch 0
		.amdhsa_float_round_mode_32 0
		.amdhsa_float_round_mode_16_64 0
		.amdhsa_float_denorm_mode_32 3
		.amdhsa_float_denorm_mode_16_64 3
		.amdhsa_dx10_clamp 1
		.amdhsa_ieee_mode 1
		.amdhsa_fp16_overflow 0
		.amdhsa_tg_split 0
		.amdhsa_exception_fp_ieee_invalid_op 0
		.amdhsa_exception_fp_denorm_src 0
		.amdhsa_exception_fp_ieee_div_zero 0
		.amdhsa_exception_fp_ieee_overflow 0
		.amdhsa_exception_fp_ieee_underflow 0
		.amdhsa_exception_fp_ieee_inexact 0
		.amdhsa_exception_int_div_zero 0
	.end_amdhsa_kernel
	.section	.text._ZN7rocprim17ROCPRIM_400000_NS6detail17trampoline_kernelINS0_14default_configENS1_38merge_sort_block_merge_config_selectorIjN6thrust23THRUST_200600_302600_NS5tupleIffNS6_9null_typeES8_S8_S8_S8_S8_S8_S8_EEEEZZNS1_27merge_sort_block_merge_implIS3_NS6_6detail15normal_iteratorINS6_10device_ptrIjEEEENSD_INSE_IS9_EEEEjNS1_19radix_merge_compareILb0ELb0EjNS0_19identity_decomposerEEEEE10hipError_tT0_T1_T2_jT3_P12ihipStream_tbPNSt15iterator_traitsISN_E10value_typeEPNST_ISO_E10value_typeEPSP_NS1_7vsmem_tEENKUlT_SN_SO_SP_E_clISG_PjSI_PS9_EESM_S12_SN_SO_SP_EUlS12_E0_NS1_11comp_targetILNS1_3genE3ELNS1_11target_archE908ELNS1_3gpuE7ELNS1_3repE0EEENS1_38merge_mergepath_config_static_selectorELNS0_4arch9wavefront6targetE1EEEvSO_,"axG",@progbits,_ZN7rocprim17ROCPRIM_400000_NS6detail17trampoline_kernelINS0_14default_configENS1_38merge_sort_block_merge_config_selectorIjN6thrust23THRUST_200600_302600_NS5tupleIffNS6_9null_typeES8_S8_S8_S8_S8_S8_S8_EEEEZZNS1_27merge_sort_block_merge_implIS3_NS6_6detail15normal_iteratorINS6_10device_ptrIjEEEENSD_INSE_IS9_EEEEjNS1_19radix_merge_compareILb0ELb0EjNS0_19identity_decomposerEEEEE10hipError_tT0_T1_T2_jT3_P12ihipStream_tbPNSt15iterator_traitsISN_E10value_typeEPNST_ISO_E10value_typeEPSP_NS1_7vsmem_tEENKUlT_SN_SO_SP_E_clISG_PjSI_PS9_EESM_S12_SN_SO_SP_EUlS12_E0_NS1_11comp_targetILNS1_3genE3ELNS1_11target_archE908ELNS1_3gpuE7ELNS1_3repE0EEENS1_38merge_mergepath_config_static_selectorELNS0_4arch9wavefront6targetE1EEEvSO_,comdat
.Lfunc_end61:
	.size	_ZN7rocprim17ROCPRIM_400000_NS6detail17trampoline_kernelINS0_14default_configENS1_38merge_sort_block_merge_config_selectorIjN6thrust23THRUST_200600_302600_NS5tupleIffNS6_9null_typeES8_S8_S8_S8_S8_S8_S8_EEEEZZNS1_27merge_sort_block_merge_implIS3_NS6_6detail15normal_iteratorINS6_10device_ptrIjEEEENSD_INSE_IS9_EEEEjNS1_19radix_merge_compareILb0ELb0EjNS0_19identity_decomposerEEEEE10hipError_tT0_T1_T2_jT3_P12ihipStream_tbPNSt15iterator_traitsISN_E10value_typeEPNST_ISO_E10value_typeEPSP_NS1_7vsmem_tEENKUlT_SN_SO_SP_E_clISG_PjSI_PS9_EESM_S12_SN_SO_SP_EUlS12_E0_NS1_11comp_targetILNS1_3genE3ELNS1_11target_archE908ELNS1_3gpuE7ELNS1_3repE0EEENS1_38merge_mergepath_config_static_selectorELNS0_4arch9wavefront6targetE1EEEvSO_, .Lfunc_end61-_ZN7rocprim17ROCPRIM_400000_NS6detail17trampoline_kernelINS0_14default_configENS1_38merge_sort_block_merge_config_selectorIjN6thrust23THRUST_200600_302600_NS5tupleIffNS6_9null_typeES8_S8_S8_S8_S8_S8_S8_EEEEZZNS1_27merge_sort_block_merge_implIS3_NS6_6detail15normal_iteratorINS6_10device_ptrIjEEEENSD_INSE_IS9_EEEEjNS1_19radix_merge_compareILb0ELb0EjNS0_19identity_decomposerEEEEE10hipError_tT0_T1_T2_jT3_P12ihipStream_tbPNSt15iterator_traitsISN_E10value_typeEPNST_ISO_E10value_typeEPSP_NS1_7vsmem_tEENKUlT_SN_SO_SP_E_clISG_PjSI_PS9_EESM_S12_SN_SO_SP_EUlS12_E0_NS1_11comp_targetILNS1_3genE3ELNS1_11target_archE908ELNS1_3gpuE7ELNS1_3repE0EEENS1_38merge_mergepath_config_static_selectorELNS0_4arch9wavefront6targetE1EEEvSO_
                                        ; -- End function
	.section	.AMDGPU.csdata,"",@progbits
; Kernel info:
; codeLenInByte = 0
; NumSgprs: 4
; NumVgprs: 0
; NumAgprs: 0
; TotalNumVgprs: 0
; ScratchSize: 0
; MemoryBound: 0
; FloatMode: 240
; IeeeMode: 1
; LDSByteSize: 0 bytes/workgroup (compile time only)
; SGPRBlocks: 0
; VGPRBlocks: 0
; NumSGPRsForWavesPerEU: 4
; NumVGPRsForWavesPerEU: 1
; AccumOffset: 4
; Occupancy: 8
; WaveLimiterHint : 0
; COMPUTE_PGM_RSRC2:SCRATCH_EN: 0
; COMPUTE_PGM_RSRC2:USER_SGPR: 6
; COMPUTE_PGM_RSRC2:TRAP_HANDLER: 0
; COMPUTE_PGM_RSRC2:TGID_X_EN: 1
; COMPUTE_PGM_RSRC2:TGID_Y_EN: 0
; COMPUTE_PGM_RSRC2:TGID_Z_EN: 0
; COMPUTE_PGM_RSRC2:TIDIG_COMP_CNT: 0
; COMPUTE_PGM_RSRC3_GFX90A:ACCUM_OFFSET: 0
; COMPUTE_PGM_RSRC3_GFX90A:TG_SPLIT: 0
	.section	.text._ZN7rocprim17ROCPRIM_400000_NS6detail17trampoline_kernelINS0_14default_configENS1_38merge_sort_block_merge_config_selectorIjN6thrust23THRUST_200600_302600_NS5tupleIffNS6_9null_typeES8_S8_S8_S8_S8_S8_S8_EEEEZZNS1_27merge_sort_block_merge_implIS3_NS6_6detail15normal_iteratorINS6_10device_ptrIjEEEENSD_INSE_IS9_EEEEjNS1_19radix_merge_compareILb0ELb0EjNS0_19identity_decomposerEEEEE10hipError_tT0_T1_T2_jT3_P12ihipStream_tbPNSt15iterator_traitsISN_E10value_typeEPNST_ISO_E10value_typeEPSP_NS1_7vsmem_tEENKUlT_SN_SO_SP_E_clISG_PjSI_PS9_EESM_S12_SN_SO_SP_EUlS12_E0_NS1_11comp_targetILNS1_3genE2ELNS1_11target_archE906ELNS1_3gpuE6ELNS1_3repE0EEENS1_38merge_mergepath_config_static_selectorELNS0_4arch9wavefront6targetE1EEEvSO_,"axG",@progbits,_ZN7rocprim17ROCPRIM_400000_NS6detail17trampoline_kernelINS0_14default_configENS1_38merge_sort_block_merge_config_selectorIjN6thrust23THRUST_200600_302600_NS5tupleIffNS6_9null_typeES8_S8_S8_S8_S8_S8_S8_EEEEZZNS1_27merge_sort_block_merge_implIS3_NS6_6detail15normal_iteratorINS6_10device_ptrIjEEEENSD_INSE_IS9_EEEEjNS1_19radix_merge_compareILb0ELb0EjNS0_19identity_decomposerEEEEE10hipError_tT0_T1_T2_jT3_P12ihipStream_tbPNSt15iterator_traitsISN_E10value_typeEPNST_ISO_E10value_typeEPSP_NS1_7vsmem_tEENKUlT_SN_SO_SP_E_clISG_PjSI_PS9_EESM_S12_SN_SO_SP_EUlS12_E0_NS1_11comp_targetILNS1_3genE2ELNS1_11target_archE906ELNS1_3gpuE6ELNS1_3repE0EEENS1_38merge_mergepath_config_static_selectorELNS0_4arch9wavefront6targetE1EEEvSO_,comdat
	.protected	_ZN7rocprim17ROCPRIM_400000_NS6detail17trampoline_kernelINS0_14default_configENS1_38merge_sort_block_merge_config_selectorIjN6thrust23THRUST_200600_302600_NS5tupleIffNS6_9null_typeES8_S8_S8_S8_S8_S8_S8_EEEEZZNS1_27merge_sort_block_merge_implIS3_NS6_6detail15normal_iteratorINS6_10device_ptrIjEEEENSD_INSE_IS9_EEEEjNS1_19radix_merge_compareILb0ELb0EjNS0_19identity_decomposerEEEEE10hipError_tT0_T1_T2_jT3_P12ihipStream_tbPNSt15iterator_traitsISN_E10value_typeEPNST_ISO_E10value_typeEPSP_NS1_7vsmem_tEENKUlT_SN_SO_SP_E_clISG_PjSI_PS9_EESM_S12_SN_SO_SP_EUlS12_E0_NS1_11comp_targetILNS1_3genE2ELNS1_11target_archE906ELNS1_3gpuE6ELNS1_3repE0EEENS1_38merge_mergepath_config_static_selectorELNS0_4arch9wavefront6targetE1EEEvSO_ ; -- Begin function _ZN7rocprim17ROCPRIM_400000_NS6detail17trampoline_kernelINS0_14default_configENS1_38merge_sort_block_merge_config_selectorIjN6thrust23THRUST_200600_302600_NS5tupleIffNS6_9null_typeES8_S8_S8_S8_S8_S8_S8_EEEEZZNS1_27merge_sort_block_merge_implIS3_NS6_6detail15normal_iteratorINS6_10device_ptrIjEEEENSD_INSE_IS9_EEEEjNS1_19radix_merge_compareILb0ELb0EjNS0_19identity_decomposerEEEEE10hipError_tT0_T1_T2_jT3_P12ihipStream_tbPNSt15iterator_traitsISN_E10value_typeEPNST_ISO_E10value_typeEPSP_NS1_7vsmem_tEENKUlT_SN_SO_SP_E_clISG_PjSI_PS9_EESM_S12_SN_SO_SP_EUlS12_E0_NS1_11comp_targetILNS1_3genE2ELNS1_11target_archE906ELNS1_3gpuE6ELNS1_3repE0EEENS1_38merge_mergepath_config_static_selectorELNS0_4arch9wavefront6targetE1EEEvSO_
	.globl	_ZN7rocprim17ROCPRIM_400000_NS6detail17trampoline_kernelINS0_14default_configENS1_38merge_sort_block_merge_config_selectorIjN6thrust23THRUST_200600_302600_NS5tupleIffNS6_9null_typeES8_S8_S8_S8_S8_S8_S8_EEEEZZNS1_27merge_sort_block_merge_implIS3_NS6_6detail15normal_iteratorINS6_10device_ptrIjEEEENSD_INSE_IS9_EEEEjNS1_19radix_merge_compareILb0ELb0EjNS0_19identity_decomposerEEEEE10hipError_tT0_T1_T2_jT3_P12ihipStream_tbPNSt15iterator_traitsISN_E10value_typeEPNST_ISO_E10value_typeEPSP_NS1_7vsmem_tEENKUlT_SN_SO_SP_E_clISG_PjSI_PS9_EESM_S12_SN_SO_SP_EUlS12_E0_NS1_11comp_targetILNS1_3genE2ELNS1_11target_archE906ELNS1_3gpuE6ELNS1_3repE0EEENS1_38merge_mergepath_config_static_selectorELNS0_4arch9wavefront6targetE1EEEvSO_
	.p2align	8
	.type	_ZN7rocprim17ROCPRIM_400000_NS6detail17trampoline_kernelINS0_14default_configENS1_38merge_sort_block_merge_config_selectorIjN6thrust23THRUST_200600_302600_NS5tupleIffNS6_9null_typeES8_S8_S8_S8_S8_S8_S8_EEEEZZNS1_27merge_sort_block_merge_implIS3_NS6_6detail15normal_iteratorINS6_10device_ptrIjEEEENSD_INSE_IS9_EEEEjNS1_19radix_merge_compareILb0ELb0EjNS0_19identity_decomposerEEEEE10hipError_tT0_T1_T2_jT3_P12ihipStream_tbPNSt15iterator_traitsISN_E10value_typeEPNST_ISO_E10value_typeEPSP_NS1_7vsmem_tEENKUlT_SN_SO_SP_E_clISG_PjSI_PS9_EESM_S12_SN_SO_SP_EUlS12_E0_NS1_11comp_targetILNS1_3genE2ELNS1_11target_archE906ELNS1_3gpuE6ELNS1_3repE0EEENS1_38merge_mergepath_config_static_selectorELNS0_4arch9wavefront6targetE1EEEvSO_,@function
_ZN7rocprim17ROCPRIM_400000_NS6detail17trampoline_kernelINS0_14default_configENS1_38merge_sort_block_merge_config_selectorIjN6thrust23THRUST_200600_302600_NS5tupleIffNS6_9null_typeES8_S8_S8_S8_S8_S8_S8_EEEEZZNS1_27merge_sort_block_merge_implIS3_NS6_6detail15normal_iteratorINS6_10device_ptrIjEEEENSD_INSE_IS9_EEEEjNS1_19radix_merge_compareILb0ELb0EjNS0_19identity_decomposerEEEEE10hipError_tT0_T1_T2_jT3_P12ihipStream_tbPNSt15iterator_traitsISN_E10value_typeEPNST_ISO_E10value_typeEPSP_NS1_7vsmem_tEENKUlT_SN_SO_SP_E_clISG_PjSI_PS9_EESM_S12_SN_SO_SP_EUlS12_E0_NS1_11comp_targetILNS1_3genE2ELNS1_11target_archE906ELNS1_3gpuE6ELNS1_3repE0EEENS1_38merge_mergepath_config_static_selectorELNS0_4arch9wavefront6targetE1EEEvSO_: ; @_ZN7rocprim17ROCPRIM_400000_NS6detail17trampoline_kernelINS0_14default_configENS1_38merge_sort_block_merge_config_selectorIjN6thrust23THRUST_200600_302600_NS5tupleIffNS6_9null_typeES8_S8_S8_S8_S8_S8_S8_EEEEZZNS1_27merge_sort_block_merge_implIS3_NS6_6detail15normal_iteratorINS6_10device_ptrIjEEEENSD_INSE_IS9_EEEEjNS1_19radix_merge_compareILb0ELb0EjNS0_19identity_decomposerEEEEE10hipError_tT0_T1_T2_jT3_P12ihipStream_tbPNSt15iterator_traitsISN_E10value_typeEPNST_ISO_E10value_typeEPSP_NS1_7vsmem_tEENKUlT_SN_SO_SP_E_clISG_PjSI_PS9_EESM_S12_SN_SO_SP_EUlS12_E0_NS1_11comp_targetILNS1_3genE2ELNS1_11target_archE906ELNS1_3gpuE6ELNS1_3repE0EEENS1_38merge_mergepath_config_static_selectorELNS0_4arch9wavefront6targetE1EEEvSO_
; %bb.0:
	.section	.rodata,"a",@progbits
	.p2align	6, 0x0
	.amdhsa_kernel _ZN7rocprim17ROCPRIM_400000_NS6detail17trampoline_kernelINS0_14default_configENS1_38merge_sort_block_merge_config_selectorIjN6thrust23THRUST_200600_302600_NS5tupleIffNS6_9null_typeES8_S8_S8_S8_S8_S8_S8_EEEEZZNS1_27merge_sort_block_merge_implIS3_NS6_6detail15normal_iteratorINS6_10device_ptrIjEEEENSD_INSE_IS9_EEEEjNS1_19radix_merge_compareILb0ELb0EjNS0_19identity_decomposerEEEEE10hipError_tT0_T1_T2_jT3_P12ihipStream_tbPNSt15iterator_traitsISN_E10value_typeEPNST_ISO_E10value_typeEPSP_NS1_7vsmem_tEENKUlT_SN_SO_SP_E_clISG_PjSI_PS9_EESM_S12_SN_SO_SP_EUlS12_E0_NS1_11comp_targetILNS1_3genE2ELNS1_11target_archE906ELNS1_3gpuE6ELNS1_3repE0EEENS1_38merge_mergepath_config_static_selectorELNS0_4arch9wavefront6targetE1EEEvSO_
		.amdhsa_group_segment_fixed_size 0
		.amdhsa_private_segment_fixed_size 0
		.amdhsa_kernarg_size 64
		.amdhsa_user_sgpr_count 6
		.amdhsa_user_sgpr_private_segment_buffer 1
		.amdhsa_user_sgpr_dispatch_ptr 0
		.amdhsa_user_sgpr_queue_ptr 0
		.amdhsa_user_sgpr_kernarg_segment_ptr 1
		.amdhsa_user_sgpr_dispatch_id 0
		.amdhsa_user_sgpr_flat_scratch_init 0
		.amdhsa_user_sgpr_kernarg_preload_length 0
		.amdhsa_user_sgpr_kernarg_preload_offset 0
		.amdhsa_user_sgpr_private_segment_size 0
		.amdhsa_uses_dynamic_stack 0
		.amdhsa_system_sgpr_private_segment_wavefront_offset 0
		.amdhsa_system_sgpr_workgroup_id_x 1
		.amdhsa_system_sgpr_workgroup_id_y 0
		.amdhsa_system_sgpr_workgroup_id_z 0
		.amdhsa_system_sgpr_workgroup_info 0
		.amdhsa_system_vgpr_workitem_id 0
		.amdhsa_next_free_vgpr 1
		.amdhsa_next_free_sgpr 0
		.amdhsa_accum_offset 4
		.amdhsa_reserve_vcc 0
		.amdhsa_reserve_flat_scratch 0
		.amdhsa_float_round_mode_32 0
		.amdhsa_float_round_mode_16_64 0
		.amdhsa_float_denorm_mode_32 3
		.amdhsa_float_denorm_mode_16_64 3
		.amdhsa_dx10_clamp 1
		.amdhsa_ieee_mode 1
		.amdhsa_fp16_overflow 0
		.amdhsa_tg_split 0
		.amdhsa_exception_fp_ieee_invalid_op 0
		.amdhsa_exception_fp_denorm_src 0
		.amdhsa_exception_fp_ieee_div_zero 0
		.amdhsa_exception_fp_ieee_overflow 0
		.amdhsa_exception_fp_ieee_underflow 0
		.amdhsa_exception_fp_ieee_inexact 0
		.amdhsa_exception_int_div_zero 0
	.end_amdhsa_kernel
	.section	.text._ZN7rocprim17ROCPRIM_400000_NS6detail17trampoline_kernelINS0_14default_configENS1_38merge_sort_block_merge_config_selectorIjN6thrust23THRUST_200600_302600_NS5tupleIffNS6_9null_typeES8_S8_S8_S8_S8_S8_S8_EEEEZZNS1_27merge_sort_block_merge_implIS3_NS6_6detail15normal_iteratorINS6_10device_ptrIjEEEENSD_INSE_IS9_EEEEjNS1_19radix_merge_compareILb0ELb0EjNS0_19identity_decomposerEEEEE10hipError_tT0_T1_T2_jT3_P12ihipStream_tbPNSt15iterator_traitsISN_E10value_typeEPNST_ISO_E10value_typeEPSP_NS1_7vsmem_tEENKUlT_SN_SO_SP_E_clISG_PjSI_PS9_EESM_S12_SN_SO_SP_EUlS12_E0_NS1_11comp_targetILNS1_3genE2ELNS1_11target_archE906ELNS1_3gpuE6ELNS1_3repE0EEENS1_38merge_mergepath_config_static_selectorELNS0_4arch9wavefront6targetE1EEEvSO_,"axG",@progbits,_ZN7rocprim17ROCPRIM_400000_NS6detail17trampoline_kernelINS0_14default_configENS1_38merge_sort_block_merge_config_selectorIjN6thrust23THRUST_200600_302600_NS5tupleIffNS6_9null_typeES8_S8_S8_S8_S8_S8_S8_EEEEZZNS1_27merge_sort_block_merge_implIS3_NS6_6detail15normal_iteratorINS6_10device_ptrIjEEEENSD_INSE_IS9_EEEEjNS1_19radix_merge_compareILb0ELb0EjNS0_19identity_decomposerEEEEE10hipError_tT0_T1_T2_jT3_P12ihipStream_tbPNSt15iterator_traitsISN_E10value_typeEPNST_ISO_E10value_typeEPSP_NS1_7vsmem_tEENKUlT_SN_SO_SP_E_clISG_PjSI_PS9_EESM_S12_SN_SO_SP_EUlS12_E0_NS1_11comp_targetILNS1_3genE2ELNS1_11target_archE906ELNS1_3gpuE6ELNS1_3repE0EEENS1_38merge_mergepath_config_static_selectorELNS0_4arch9wavefront6targetE1EEEvSO_,comdat
.Lfunc_end62:
	.size	_ZN7rocprim17ROCPRIM_400000_NS6detail17trampoline_kernelINS0_14default_configENS1_38merge_sort_block_merge_config_selectorIjN6thrust23THRUST_200600_302600_NS5tupleIffNS6_9null_typeES8_S8_S8_S8_S8_S8_S8_EEEEZZNS1_27merge_sort_block_merge_implIS3_NS6_6detail15normal_iteratorINS6_10device_ptrIjEEEENSD_INSE_IS9_EEEEjNS1_19radix_merge_compareILb0ELb0EjNS0_19identity_decomposerEEEEE10hipError_tT0_T1_T2_jT3_P12ihipStream_tbPNSt15iterator_traitsISN_E10value_typeEPNST_ISO_E10value_typeEPSP_NS1_7vsmem_tEENKUlT_SN_SO_SP_E_clISG_PjSI_PS9_EESM_S12_SN_SO_SP_EUlS12_E0_NS1_11comp_targetILNS1_3genE2ELNS1_11target_archE906ELNS1_3gpuE6ELNS1_3repE0EEENS1_38merge_mergepath_config_static_selectorELNS0_4arch9wavefront6targetE1EEEvSO_, .Lfunc_end62-_ZN7rocprim17ROCPRIM_400000_NS6detail17trampoline_kernelINS0_14default_configENS1_38merge_sort_block_merge_config_selectorIjN6thrust23THRUST_200600_302600_NS5tupleIffNS6_9null_typeES8_S8_S8_S8_S8_S8_S8_EEEEZZNS1_27merge_sort_block_merge_implIS3_NS6_6detail15normal_iteratorINS6_10device_ptrIjEEEENSD_INSE_IS9_EEEEjNS1_19radix_merge_compareILb0ELb0EjNS0_19identity_decomposerEEEEE10hipError_tT0_T1_T2_jT3_P12ihipStream_tbPNSt15iterator_traitsISN_E10value_typeEPNST_ISO_E10value_typeEPSP_NS1_7vsmem_tEENKUlT_SN_SO_SP_E_clISG_PjSI_PS9_EESM_S12_SN_SO_SP_EUlS12_E0_NS1_11comp_targetILNS1_3genE2ELNS1_11target_archE906ELNS1_3gpuE6ELNS1_3repE0EEENS1_38merge_mergepath_config_static_selectorELNS0_4arch9wavefront6targetE1EEEvSO_
                                        ; -- End function
	.section	.AMDGPU.csdata,"",@progbits
; Kernel info:
; codeLenInByte = 0
; NumSgprs: 4
; NumVgprs: 0
; NumAgprs: 0
; TotalNumVgprs: 0
; ScratchSize: 0
; MemoryBound: 0
; FloatMode: 240
; IeeeMode: 1
; LDSByteSize: 0 bytes/workgroup (compile time only)
; SGPRBlocks: 0
; VGPRBlocks: 0
; NumSGPRsForWavesPerEU: 4
; NumVGPRsForWavesPerEU: 1
; AccumOffset: 4
; Occupancy: 8
; WaveLimiterHint : 0
; COMPUTE_PGM_RSRC2:SCRATCH_EN: 0
; COMPUTE_PGM_RSRC2:USER_SGPR: 6
; COMPUTE_PGM_RSRC2:TRAP_HANDLER: 0
; COMPUTE_PGM_RSRC2:TGID_X_EN: 1
; COMPUTE_PGM_RSRC2:TGID_Y_EN: 0
; COMPUTE_PGM_RSRC2:TGID_Z_EN: 0
; COMPUTE_PGM_RSRC2:TIDIG_COMP_CNT: 0
; COMPUTE_PGM_RSRC3_GFX90A:ACCUM_OFFSET: 0
; COMPUTE_PGM_RSRC3_GFX90A:TG_SPLIT: 0
	.section	.text._ZN7rocprim17ROCPRIM_400000_NS6detail17trampoline_kernelINS0_14default_configENS1_38merge_sort_block_merge_config_selectorIjN6thrust23THRUST_200600_302600_NS5tupleIffNS6_9null_typeES8_S8_S8_S8_S8_S8_S8_EEEEZZNS1_27merge_sort_block_merge_implIS3_NS6_6detail15normal_iteratorINS6_10device_ptrIjEEEENSD_INSE_IS9_EEEEjNS1_19radix_merge_compareILb0ELb0EjNS0_19identity_decomposerEEEEE10hipError_tT0_T1_T2_jT3_P12ihipStream_tbPNSt15iterator_traitsISN_E10value_typeEPNST_ISO_E10value_typeEPSP_NS1_7vsmem_tEENKUlT_SN_SO_SP_E_clISG_PjSI_PS9_EESM_S12_SN_SO_SP_EUlS12_E0_NS1_11comp_targetILNS1_3genE9ELNS1_11target_archE1100ELNS1_3gpuE3ELNS1_3repE0EEENS1_38merge_mergepath_config_static_selectorELNS0_4arch9wavefront6targetE1EEEvSO_,"axG",@progbits,_ZN7rocprim17ROCPRIM_400000_NS6detail17trampoline_kernelINS0_14default_configENS1_38merge_sort_block_merge_config_selectorIjN6thrust23THRUST_200600_302600_NS5tupleIffNS6_9null_typeES8_S8_S8_S8_S8_S8_S8_EEEEZZNS1_27merge_sort_block_merge_implIS3_NS6_6detail15normal_iteratorINS6_10device_ptrIjEEEENSD_INSE_IS9_EEEEjNS1_19radix_merge_compareILb0ELb0EjNS0_19identity_decomposerEEEEE10hipError_tT0_T1_T2_jT3_P12ihipStream_tbPNSt15iterator_traitsISN_E10value_typeEPNST_ISO_E10value_typeEPSP_NS1_7vsmem_tEENKUlT_SN_SO_SP_E_clISG_PjSI_PS9_EESM_S12_SN_SO_SP_EUlS12_E0_NS1_11comp_targetILNS1_3genE9ELNS1_11target_archE1100ELNS1_3gpuE3ELNS1_3repE0EEENS1_38merge_mergepath_config_static_selectorELNS0_4arch9wavefront6targetE1EEEvSO_,comdat
	.protected	_ZN7rocprim17ROCPRIM_400000_NS6detail17trampoline_kernelINS0_14default_configENS1_38merge_sort_block_merge_config_selectorIjN6thrust23THRUST_200600_302600_NS5tupleIffNS6_9null_typeES8_S8_S8_S8_S8_S8_S8_EEEEZZNS1_27merge_sort_block_merge_implIS3_NS6_6detail15normal_iteratorINS6_10device_ptrIjEEEENSD_INSE_IS9_EEEEjNS1_19radix_merge_compareILb0ELb0EjNS0_19identity_decomposerEEEEE10hipError_tT0_T1_T2_jT3_P12ihipStream_tbPNSt15iterator_traitsISN_E10value_typeEPNST_ISO_E10value_typeEPSP_NS1_7vsmem_tEENKUlT_SN_SO_SP_E_clISG_PjSI_PS9_EESM_S12_SN_SO_SP_EUlS12_E0_NS1_11comp_targetILNS1_3genE9ELNS1_11target_archE1100ELNS1_3gpuE3ELNS1_3repE0EEENS1_38merge_mergepath_config_static_selectorELNS0_4arch9wavefront6targetE1EEEvSO_ ; -- Begin function _ZN7rocprim17ROCPRIM_400000_NS6detail17trampoline_kernelINS0_14default_configENS1_38merge_sort_block_merge_config_selectorIjN6thrust23THRUST_200600_302600_NS5tupleIffNS6_9null_typeES8_S8_S8_S8_S8_S8_S8_EEEEZZNS1_27merge_sort_block_merge_implIS3_NS6_6detail15normal_iteratorINS6_10device_ptrIjEEEENSD_INSE_IS9_EEEEjNS1_19radix_merge_compareILb0ELb0EjNS0_19identity_decomposerEEEEE10hipError_tT0_T1_T2_jT3_P12ihipStream_tbPNSt15iterator_traitsISN_E10value_typeEPNST_ISO_E10value_typeEPSP_NS1_7vsmem_tEENKUlT_SN_SO_SP_E_clISG_PjSI_PS9_EESM_S12_SN_SO_SP_EUlS12_E0_NS1_11comp_targetILNS1_3genE9ELNS1_11target_archE1100ELNS1_3gpuE3ELNS1_3repE0EEENS1_38merge_mergepath_config_static_selectorELNS0_4arch9wavefront6targetE1EEEvSO_
	.globl	_ZN7rocprim17ROCPRIM_400000_NS6detail17trampoline_kernelINS0_14default_configENS1_38merge_sort_block_merge_config_selectorIjN6thrust23THRUST_200600_302600_NS5tupleIffNS6_9null_typeES8_S8_S8_S8_S8_S8_S8_EEEEZZNS1_27merge_sort_block_merge_implIS3_NS6_6detail15normal_iteratorINS6_10device_ptrIjEEEENSD_INSE_IS9_EEEEjNS1_19radix_merge_compareILb0ELb0EjNS0_19identity_decomposerEEEEE10hipError_tT0_T1_T2_jT3_P12ihipStream_tbPNSt15iterator_traitsISN_E10value_typeEPNST_ISO_E10value_typeEPSP_NS1_7vsmem_tEENKUlT_SN_SO_SP_E_clISG_PjSI_PS9_EESM_S12_SN_SO_SP_EUlS12_E0_NS1_11comp_targetILNS1_3genE9ELNS1_11target_archE1100ELNS1_3gpuE3ELNS1_3repE0EEENS1_38merge_mergepath_config_static_selectorELNS0_4arch9wavefront6targetE1EEEvSO_
	.p2align	8
	.type	_ZN7rocprim17ROCPRIM_400000_NS6detail17trampoline_kernelINS0_14default_configENS1_38merge_sort_block_merge_config_selectorIjN6thrust23THRUST_200600_302600_NS5tupleIffNS6_9null_typeES8_S8_S8_S8_S8_S8_S8_EEEEZZNS1_27merge_sort_block_merge_implIS3_NS6_6detail15normal_iteratorINS6_10device_ptrIjEEEENSD_INSE_IS9_EEEEjNS1_19radix_merge_compareILb0ELb0EjNS0_19identity_decomposerEEEEE10hipError_tT0_T1_T2_jT3_P12ihipStream_tbPNSt15iterator_traitsISN_E10value_typeEPNST_ISO_E10value_typeEPSP_NS1_7vsmem_tEENKUlT_SN_SO_SP_E_clISG_PjSI_PS9_EESM_S12_SN_SO_SP_EUlS12_E0_NS1_11comp_targetILNS1_3genE9ELNS1_11target_archE1100ELNS1_3gpuE3ELNS1_3repE0EEENS1_38merge_mergepath_config_static_selectorELNS0_4arch9wavefront6targetE1EEEvSO_,@function
_ZN7rocprim17ROCPRIM_400000_NS6detail17trampoline_kernelINS0_14default_configENS1_38merge_sort_block_merge_config_selectorIjN6thrust23THRUST_200600_302600_NS5tupleIffNS6_9null_typeES8_S8_S8_S8_S8_S8_S8_EEEEZZNS1_27merge_sort_block_merge_implIS3_NS6_6detail15normal_iteratorINS6_10device_ptrIjEEEENSD_INSE_IS9_EEEEjNS1_19radix_merge_compareILb0ELb0EjNS0_19identity_decomposerEEEEE10hipError_tT0_T1_T2_jT3_P12ihipStream_tbPNSt15iterator_traitsISN_E10value_typeEPNST_ISO_E10value_typeEPSP_NS1_7vsmem_tEENKUlT_SN_SO_SP_E_clISG_PjSI_PS9_EESM_S12_SN_SO_SP_EUlS12_E0_NS1_11comp_targetILNS1_3genE9ELNS1_11target_archE1100ELNS1_3gpuE3ELNS1_3repE0EEENS1_38merge_mergepath_config_static_selectorELNS0_4arch9wavefront6targetE1EEEvSO_: ; @_ZN7rocprim17ROCPRIM_400000_NS6detail17trampoline_kernelINS0_14default_configENS1_38merge_sort_block_merge_config_selectorIjN6thrust23THRUST_200600_302600_NS5tupleIffNS6_9null_typeES8_S8_S8_S8_S8_S8_S8_EEEEZZNS1_27merge_sort_block_merge_implIS3_NS6_6detail15normal_iteratorINS6_10device_ptrIjEEEENSD_INSE_IS9_EEEEjNS1_19radix_merge_compareILb0ELb0EjNS0_19identity_decomposerEEEEE10hipError_tT0_T1_T2_jT3_P12ihipStream_tbPNSt15iterator_traitsISN_E10value_typeEPNST_ISO_E10value_typeEPSP_NS1_7vsmem_tEENKUlT_SN_SO_SP_E_clISG_PjSI_PS9_EESM_S12_SN_SO_SP_EUlS12_E0_NS1_11comp_targetILNS1_3genE9ELNS1_11target_archE1100ELNS1_3gpuE3ELNS1_3repE0EEENS1_38merge_mergepath_config_static_selectorELNS0_4arch9wavefront6targetE1EEEvSO_
; %bb.0:
	.section	.rodata,"a",@progbits
	.p2align	6, 0x0
	.amdhsa_kernel _ZN7rocprim17ROCPRIM_400000_NS6detail17trampoline_kernelINS0_14default_configENS1_38merge_sort_block_merge_config_selectorIjN6thrust23THRUST_200600_302600_NS5tupleIffNS6_9null_typeES8_S8_S8_S8_S8_S8_S8_EEEEZZNS1_27merge_sort_block_merge_implIS3_NS6_6detail15normal_iteratorINS6_10device_ptrIjEEEENSD_INSE_IS9_EEEEjNS1_19radix_merge_compareILb0ELb0EjNS0_19identity_decomposerEEEEE10hipError_tT0_T1_T2_jT3_P12ihipStream_tbPNSt15iterator_traitsISN_E10value_typeEPNST_ISO_E10value_typeEPSP_NS1_7vsmem_tEENKUlT_SN_SO_SP_E_clISG_PjSI_PS9_EESM_S12_SN_SO_SP_EUlS12_E0_NS1_11comp_targetILNS1_3genE9ELNS1_11target_archE1100ELNS1_3gpuE3ELNS1_3repE0EEENS1_38merge_mergepath_config_static_selectorELNS0_4arch9wavefront6targetE1EEEvSO_
		.amdhsa_group_segment_fixed_size 0
		.amdhsa_private_segment_fixed_size 0
		.amdhsa_kernarg_size 64
		.amdhsa_user_sgpr_count 6
		.amdhsa_user_sgpr_private_segment_buffer 1
		.amdhsa_user_sgpr_dispatch_ptr 0
		.amdhsa_user_sgpr_queue_ptr 0
		.amdhsa_user_sgpr_kernarg_segment_ptr 1
		.amdhsa_user_sgpr_dispatch_id 0
		.amdhsa_user_sgpr_flat_scratch_init 0
		.amdhsa_user_sgpr_kernarg_preload_length 0
		.amdhsa_user_sgpr_kernarg_preload_offset 0
		.amdhsa_user_sgpr_private_segment_size 0
		.amdhsa_uses_dynamic_stack 0
		.amdhsa_system_sgpr_private_segment_wavefront_offset 0
		.amdhsa_system_sgpr_workgroup_id_x 1
		.amdhsa_system_sgpr_workgroup_id_y 0
		.amdhsa_system_sgpr_workgroup_id_z 0
		.amdhsa_system_sgpr_workgroup_info 0
		.amdhsa_system_vgpr_workitem_id 0
		.amdhsa_next_free_vgpr 1
		.amdhsa_next_free_sgpr 0
		.amdhsa_accum_offset 4
		.amdhsa_reserve_vcc 0
		.amdhsa_reserve_flat_scratch 0
		.amdhsa_float_round_mode_32 0
		.amdhsa_float_round_mode_16_64 0
		.amdhsa_float_denorm_mode_32 3
		.amdhsa_float_denorm_mode_16_64 3
		.amdhsa_dx10_clamp 1
		.amdhsa_ieee_mode 1
		.amdhsa_fp16_overflow 0
		.amdhsa_tg_split 0
		.amdhsa_exception_fp_ieee_invalid_op 0
		.amdhsa_exception_fp_denorm_src 0
		.amdhsa_exception_fp_ieee_div_zero 0
		.amdhsa_exception_fp_ieee_overflow 0
		.amdhsa_exception_fp_ieee_underflow 0
		.amdhsa_exception_fp_ieee_inexact 0
		.amdhsa_exception_int_div_zero 0
	.end_amdhsa_kernel
	.section	.text._ZN7rocprim17ROCPRIM_400000_NS6detail17trampoline_kernelINS0_14default_configENS1_38merge_sort_block_merge_config_selectorIjN6thrust23THRUST_200600_302600_NS5tupleIffNS6_9null_typeES8_S8_S8_S8_S8_S8_S8_EEEEZZNS1_27merge_sort_block_merge_implIS3_NS6_6detail15normal_iteratorINS6_10device_ptrIjEEEENSD_INSE_IS9_EEEEjNS1_19radix_merge_compareILb0ELb0EjNS0_19identity_decomposerEEEEE10hipError_tT0_T1_T2_jT3_P12ihipStream_tbPNSt15iterator_traitsISN_E10value_typeEPNST_ISO_E10value_typeEPSP_NS1_7vsmem_tEENKUlT_SN_SO_SP_E_clISG_PjSI_PS9_EESM_S12_SN_SO_SP_EUlS12_E0_NS1_11comp_targetILNS1_3genE9ELNS1_11target_archE1100ELNS1_3gpuE3ELNS1_3repE0EEENS1_38merge_mergepath_config_static_selectorELNS0_4arch9wavefront6targetE1EEEvSO_,"axG",@progbits,_ZN7rocprim17ROCPRIM_400000_NS6detail17trampoline_kernelINS0_14default_configENS1_38merge_sort_block_merge_config_selectorIjN6thrust23THRUST_200600_302600_NS5tupleIffNS6_9null_typeES8_S8_S8_S8_S8_S8_S8_EEEEZZNS1_27merge_sort_block_merge_implIS3_NS6_6detail15normal_iteratorINS6_10device_ptrIjEEEENSD_INSE_IS9_EEEEjNS1_19radix_merge_compareILb0ELb0EjNS0_19identity_decomposerEEEEE10hipError_tT0_T1_T2_jT3_P12ihipStream_tbPNSt15iterator_traitsISN_E10value_typeEPNST_ISO_E10value_typeEPSP_NS1_7vsmem_tEENKUlT_SN_SO_SP_E_clISG_PjSI_PS9_EESM_S12_SN_SO_SP_EUlS12_E0_NS1_11comp_targetILNS1_3genE9ELNS1_11target_archE1100ELNS1_3gpuE3ELNS1_3repE0EEENS1_38merge_mergepath_config_static_selectorELNS0_4arch9wavefront6targetE1EEEvSO_,comdat
.Lfunc_end63:
	.size	_ZN7rocprim17ROCPRIM_400000_NS6detail17trampoline_kernelINS0_14default_configENS1_38merge_sort_block_merge_config_selectorIjN6thrust23THRUST_200600_302600_NS5tupleIffNS6_9null_typeES8_S8_S8_S8_S8_S8_S8_EEEEZZNS1_27merge_sort_block_merge_implIS3_NS6_6detail15normal_iteratorINS6_10device_ptrIjEEEENSD_INSE_IS9_EEEEjNS1_19radix_merge_compareILb0ELb0EjNS0_19identity_decomposerEEEEE10hipError_tT0_T1_T2_jT3_P12ihipStream_tbPNSt15iterator_traitsISN_E10value_typeEPNST_ISO_E10value_typeEPSP_NS1_7vsmem_tEENKUlT_SN_SO_SP_E_clISG_PjSI_PS9_EESM_S12_SN_SO_SP_EUlS12_E0_NS1_11comp_targetILNS1_3genE9ELNS1_11target_archE1100ELNS1_3gpuE3ELNS1_3repE0EEENS1_38merge_mergepath_config_static_selectorELNS0_4arch9wavefront6targetE1EEEvSO_, .Lfunc_end63-_ZN7rocprim17ROCPRIM_400000_NS6detail17trampoline_kernelINS0_14default_configENS1_38merge_sort_block_merge_config_selectorIjN6thrust23THRUST_200600_302600_NS5tupleIffNS6_9null_typeES8_S8_S8_S8_S8_S8_S8_EEEEZZNS1_27merge_sort_block_merge_implIS3_NS6_6detail15normal_iteratorINS6_10device_ptrIjEEEENSD_INSE_IS9_EEEEjNS1_19radix_merge_compareILb0ELb0EjNS0_19identity_decomposerEEEEE10hipError_tT0_T1_T2_jT3_P12ihipStream_tbPNSt15iterator_traitsISN_E10value_typeEPNST_ISO_E10value_typeEPSP_NS1_7vsmem_tEENKUlT_SN_SO_SP_E_clISG_PjSI_PS9_EESM_S12_SN_SO_SP_EUlS12_E0_NS1_11comp_targetILNS1_3genE9ELNS1_11target_archE1100ELNS1_3gpuE3ELNS1_3repE0EEENS1_38merge_mergepath_config_static_selectorELNS0_4arch9wavefront6targetE1EEEvSO_
                                        ; -- End function
	.section	.AMDGPU.csdata,"",@progbits
; Kernel info:
; codeLenInByte = 0
; NumSgprs: 4
; NumVgprs: 0
; NumAgprs: 0
; TotalNumVgprs: 0
; ScratchSize: 0
; MemoryBound: 0
; FloatMode: 240
; IeeeMode: 1
; LDSByteSize: 0 bytes/workgroup (compile time only)
; SGPRBlocks: 0
; VGPRBlocks: 0
; NumSGPRsForWavesPerEU: 4
; NumVGPRsForWavesPerEU: 1
; AccumOffset: 4
; Occupancy: 8
; WaveLimiterHint : 0
; COMPUTE_PGM_RSRC2:SCRATCH_EN: 0
; COMPUTE_PGM_RSRC2:USER_SGPR: 6
; COMPUTE_PGM_RSRC2:TRAP_HANDLER: 0
; COMPUTE_PGM_RSRC2:TGID_X_EN: 1
; COMPUTE_PGM_RSRC2:TGID_Y_EN: 0
; COMPUTE_PGM_RSRC2:TGID_Z_EN: 0
; COMPUTE_PGM_RSRC2:TIDIG_COMP_CNT: 0
; COMPUTE_PGM_RSRC3_GFX90A:ACCUM_OFFSET: 0
; COMPUTE_PGM_RSRC3_GFX90A:TG_SPLIT: 0
	.section	.text._ZN7rocprim17ROCPRIM_400000_NS6detail17trampoline_kernelINS0_14default_configENS1_38merge_sort_block_merge_config_selectorIjN6thrust23THRUST_200600_302600_NS5tupleIffNS6_9null_typeES8_S8_S8_S8_S8_S8_S8_EEEEZZNS1_27merge_sort_block_merge_implIS3_NS6_6detail15normal_iteratorINS6_10device_ptrIjEEEENSD_INSE_IS9_EEEEjNS1_19radix_merge_compareILb0ELb0EjNS0_19identity_decomposerEEEEE10hipError_tT0_T1_T2_jT3_P12ihipStream_tbPNSt15iterator_traitsISN_E10value_typeEPNST_ISO_E10value_typeEPSP_NS1_7vsmem_tEENKUlT_SN_SO_SP_E_clISG_PjSI_PS9_EESM_S12_SN_SO_SP_EUlS12_E0_NS1_11comp_targetILNS1_3genE8ELNS1_11target_archE1030ELNS1_3gpuE2ELNS1_3repE0EEENS1_38merge_mergepath_config_static_selectorELNS0_4arch9wavefront6targetE1EEEvSO_,"axG",@progbits,_ZN7rocprim17ROCPRIM_400000_NS6detail17trampoline_kernelINS0_14default_configENS1_38merge_sort_block_merge_config_selectorIjN6thrust23THRUST_200600_302600_NS5tupleIffNS6_9null_typeES8_S8_S8_S8_S8_S8_S8_EEEEZZNS1_27merge_sort_block_merge_implIS3_NS6_6detail15normal_iteratorINS6_10device_ptrIjEEEENSD_INSE_IS9_EEEEjNS1_19radix_merge_compareILb0ELb0EjNS0_19identity_decomposerEEEEE10hipError_tT0_T1_T2_jT3_P12ihipStream_tbPNSt15iterator_traitsISN_E10value_typeEPNST_ISO_E10value_typeEPSP_NS1_7vsmem_tEENKUlT_SN_SO_SP_E_clISG_PjSI_PS9_EESM_S12_SN_SO_SP_EUlS12_E0_NS1_11comp_targetILNS1_3genE8ELNS1_11target_archE1030ELNS1_3gpuE2ELNS1_3repE0EEENS1_38merge_mergepath_config_static_selectorELNS0_4arch9wavefront6targetE1EEEvSO_,comdat
	.protected	_ZN7rocprim17ROCPRIM_400000_NS6detail17trampoline_kernelINS0_14default_configENS1_38merge_sort_block_merge_config_selectorIjN6thrust23THRUST_200600_302600_NS5tupleIffNS6_9null_typeES8_S8_S8_S8_S8_S8_S8_EEEEZZNS1_27merge_sort_block_merge_implIS3_NS6_6detail15normal_iteratorINS6_10device_ptrIjEEEENSD_INSE_IS9_EEEEjNS1_19radix_merge_compareILb0ELb0EjNS0_19identity_decomposerEEEEE10hipError_tT0_T1_T2_jT3_P12ihipStream_tbPNSt15iterator_traitsISN_E10value_typeEPNST_ISO_E10value_typeEPSP_NS1_7vsmem_tEENKUlT_SN_SO_SP_E_clISG_PjSI_PS9_EESM_S12_SN_SO_SP_EUlS12_E0_NS1_11comp_targetILNS1_3genE8ELNS1_11target_archE1030ELNS1_3gpuE2ELNS1_3repE0EEENS1_38merge_mergepath_config_static_selectorELNS0_4arch9wavefront6targetE1EEEvSO_ ; -- Begin function _ZN7rocprim17ROCPRIM_400000_NS6detail17trampoline_kernelINS0_14default_configENS1_38merge_sort_block_merge_config_selectorIjN6thrust23THRUST_200600_302600_NS5tupleIffNS6_9null_typeES8_S8_S8_S8_S8_S8_S8_EEEEZZNS1_27merge_sort_block_merge_implIS3_NS6_6detail15normal_iteratorINS6_10device_ptrIjEEEENSD_INSE_IS9_EEEEjNS1_19radix_merge_compareILb0ELb0EjNS0_19identity_decomposerEEEEE10hipError_tT0_T1_T2_jT3_P12ihipStream_tbPNSt15iterator_traitsISN_E10value_typeEPNST_ISO_E10value_typeEPSP_NS1_7vsmem_tEENKUlT_SN_SO_SP_E_clISG_PjSI_PS9_EESM_S12_SN_SO_SP_EUlS12_E0_NS1_11comp_targetILNS1_3genE8ELNS1_11target_archE1030ELNS1_3gpuE2ELNS1_3repE0EEENS1_38merge_mergepath_config_static_selectorELNS0_4arch9wavefront6targetE1EEEvSO_
	.globl	_ZN7rocprim17ROCPRIM_400000_NS6detail17trampoline_kernelINS0_14default_configENS1_38merge_sort_block_merge_config_selectorIjN6thrust23THRUST_200600_302600_NS5tupleIffNS6_9null_typeES8_S8_S8_S8_S8_S8_S8_EEEEZZNS1_27merge_sort_block_merge_implIS3_NS6_6detail15normal_iteratorINS6_10device_ptrIjEEEENSD_INSE_IS9_EEEEjNS1_19radix_merge_compareILb0ELb0EjNS0_19identity_decomposerEEEEE10hipError_tT0_T1_T2_jT3_P12ihipStream_tbPNSt15iterator_traitsISN_E10value_typeEPNST_ISO_E10value_typeEPSP_NS1_7vsmem_tEENKUlT_SN_SO_SP_E_clISG_PjSI_PS9_EESM_S12_SN_SO_SP_EUlS12_E0_NS1_11comp_targetILNS1_3genE8ELNS1_11target_archE1030ELNS1_3gpuE2ELNS1_3repE0EEENS1_38merge_mergepath_config_static_selectorELNS0_4arch9wavefront6targetE1EEEvSO_
	.p2align	8
	.type	_ZN7rocprim17ROCPRIM_400000_NS6detail17trampoline_kernelINS0_14default_configENS1_38merge_sort_block_merge_config_selectorIjN6thrust23THRUST_200600_302600_NS5tupleIffNS6_9null_typeES8_S8_S8_S8_S8_S8_S8_EEEEZZNS1_27merge_sort_block_merge_implIS3_NS6_6detail15normal_iteratorINS6_10device_ptrIjEEEENSD_INSE_IS9_EEEEjNS1_19radix_merge_compareILb0ELb0EjNS0_19identity_decomposerEEEEE10hipError_tT0_T1_T2_jT3_P12ihipStream_tbPNSt15iterator_traitsISN_E10value_typeEPNST_ISO_E10value_typeEPSP_NS1_7vsmem_tEENKUlT_SN_SO_SP_E_clISG_PjSI_PS9_EESM_S12_SN_SO_SP_EUlS12_E0_NS1_11comp_targetILNS1_3genE8ELNS1_11target_archE1030ELNS1_3gpuE2ELNS1_3repE0EEENS1_38merge_mergepath_config_static_selectorELNS0_4arch9wavefront6targetE1EEEvSO_,@function
_ZN7rocprim17ROCPRIM_400000_NS6detail17trampoline_kernelINS0_14default_configENS1_38merge_sort_block_merge_config_selectorIjN6thrust23THRUST_200600_302600_NS5tupleIffNS6_9null_typeES8_S8_S8_S8_S8_S8_S8_EEEEZZNS1_27merge_sort_block_merge_implIS3_NS6_6detail15normal_iteratorINS6_10device_ptrIjEEEENSD_INSE_IS9_EEEEjNS1_19radix_merge_compareILb0ELb0EjNS0_19identity_decomposerEEEEE10hipError_tT0_T1_T2_jT3_P12ihipStream_tbPNSt15iterator_traitsISN_E10value_typeEPNST_ISO_E10value_typeEPSP_NS1_7vsmem_tEENKUlT_SN_SO_SP_E_clISG_PjSI_PS9_EESM_S12_SN_SO_SP_EUlS12_E0_NS1_11comp_targetILNS1_3genE8ELNS1_11target_archE1030ELNS1_3gpuE2ELNS1_3repE0EEENS1_38merge_mergepath_config_static_selectorELNS0_4arch9wavefront6targetE1EEEvSO_: ; @_ZN7rocprim17ROCPRIM_400000_NS6detail17trampoline_kernelINS0_14default_configENS1_38merge_sort_block_merge_config_selectorIjN6thrust23THRUST_200600_302600_NS5tupleIffNS6_9null_typeES8_S8_S8_S8_S8_S8_S8_EEEEZZNS1_27merge_sort_block_merge_implIS3_NS6_6detail15normal_iteratorINS6_10device_ptrIjEEEENSD_INSE_IS9_EEEEjNS1_19radix_merge_compareILb0ELb0EjNS0_19identity_decomposerEEEEE10hipError_tT0_T1_T2_jT3_P12ihipStream_tbPNSt15iterator_traitsISN_E10value_typeEPNST_ISO_E10value_typeEPSP_NS1_7vsmem_tEENKUlT_SN_SO_SP_E_clISG_PjSI_PS9_EESM_S12_SN_SO_SP_EUlS12_E0_NS1_11comp_targetILNS1_3genE8ELNS1_11target_archE1030ELNS1_3gpuE2ELNS1_3repE0EEENS1_38merge_mergepath_config_static_selectorELNS0_4arch9wavefront6targetE1EEEvSO_
; %bb.0:
	.section	.rodata,"a",@progbits
	.p2align	6, 0x0
	.amdhsa_kernel _ZN7rocprim17ROCPRIM_400000_NS6detail17trampoline_kernelINS0_14default_configENS1_38merge_sort_block_merge_config_selectorIjN6thrust23THRUST_200600_302600_NS5tupleIffNS6_9null_typeES8_S8_S8_S8_S8_S8_S8_EEEEZZNS1_27merge_sort_block_merge_implIS3_NS6_6detail15normal_iteratorINS6_10device_ptrIjEEEENSD_INSE_IS9_EEEEjNS1_19radix_merge_compareILb0ELb0EjNS0_19identity_decomposerEEEEE10hipError_tT0_T1_T2_jT3_P12ihipStream_tbPNSt15iterator_traitsISN_E10value_typeEPNST_ISO_E10value_typeEPSP_NS1_7vsmem_tEENKUlT_SN_SO_SP_E_clISG_PjSI_PS9_EESM_S12_SN_SO_SP_EUlS12_E0_NS1_11comp_targetILNS1_3genE8ELNS1_11target_archE1030ELNS1_3gpuE2ELNS1_3repE0EEENS1_38merge_mergepath_config_static_selectorELNS0_4arch9wavefront6targetE1EEEvSO_
		.amdhsa_group_segment_fixed_size 0
		.amdhsa_private_segment_fixed_size 0
		.amdhsa_kernarg_size 64
		.amdhsa_user_sgpr_count 6
		.amdhsa_user_sgpr_private_segment_buffer 1
		.amdhsa_user_sgpr_dispatch_ptr 0
		.amdhsa_user_sgpr_queue_ptr 0
		.amdhsa_user_sgpr_kernarg_segment_ptr 1
		.amdhsa_user_sgpr_dispatch_id 0
		.amdhsa_user_sgpr_flat_scratch_init 0
		.amdhsa_user_sgpr_kernarg_preload_length 0
		.amdhsa_user_sgpr_kernarg_preload_offset 0
		.amdhsa_user_sgpr_private_segment_size 0
		.amdhsa_uses_dynamic_stack 0
		.amdhsa_system_sgpr_private_segment_wavefront_offset 0
		.amdhsa_system_sgpr_workgroup_id_x 1
		.amdhsa_system_sgpr_workgroup_id_y 0
		.amdhsa_system_sgpr_workgroup_id_z 0
		.amdhsa_system_sgpr_workgroup_info 0
		.amdhsa_system_vgpr_workitem_id 0
		.amdhsa_next_free_vgpr 1
		.amdhsa_next_free_sgpr 0
		.amdhsa_accum_offset 4
		.amdhsa_reserve_vcc 0
		.amdhsa_reserve_flat_scratch 0
		.amdhsa_float_round_mode_32 0
		.amdhsa_float_round_mode_16_64 0
		.amdhsa_float_denorm_mode_32 3
		.amdhsa_float_denorm_mode_16_64 3
		.amdhsa_dx10_clamp 1
		.amdhsa_ieee_mode 1
		.amdhsa_fp16_overflow 0
		.amdhsa_tg_split 0
		.amdhsa_exception_fp_ieee_invalid_op 0
		.amdhsa_exception_fp_denorm_src 0
		.amdhsa_exception_fp_ieee_div_zero 0
		.amdhsa_exception_fp_ieee_overflow 0
		.amdhsa_exception_fp_ieee_underflow 0
		.amdhsa_exception_fp_ieee_inexact 0
		.amdhsa_exception_int_div_zero 0
	.end_amdhsa_kernel
	.section	.text._ZN7rocprim17ROCPRIM_400000_NS6detail17trampoline_kernelINS0_14default_configENS1_38merge_sort_block_merge_config_selectorIjN6thrust23THRUST_200600_302600_NS5tupleIffNS6_9null_typeES8_S8_S8_S8_S8_S8_S8_EEEEZZNS1_27merge_sort_block_merge_implIS3_NS6_6detail15normal_iteratorINS6_10device_ptrIjEEEENSD_INSE_IS9_EEEEjNS1_19radix_merge_compareILb0ELb0EjNS0_19identity_decomposerEEEEE10hipError_tT0_T1_T2_jT3_P12ihipStream_tbPNSt15iterator_traitsISN_E10value_typeEPNST_ISO_E10value_typeEPSP_NS1_7vsmem_tEENKUlT_SN_SO_SP_E_clISG_PjSI_PS9_EESM_S12_SN_SO_SP_EUlS12_E0_NS1_11comp_targetILNS1_3genE8ELNS1_11target_archE1030ELNS1_3gpuE2ELNS1_3repE0EEENS1_38merge_mergepath_config_static_selectorELNS0_4arch9wavefront6targetE1EEEvSO_,"axG",@progbits,_ZN7rocprim17ROCPRIM_400000_NS6detail17trampoline_kernelINS0_14default_configENS1_38merge_sort_block_merge_config_selectorIjN6thrust23THRUST_200600_302600_NS5tupleIffNS6_9null_typeES8_S8_S8_S8_S8_S8_S8_EEEEZZNS1_27merge_sort_block_merge_implIS3_NS6_6detail15normal_iteratorINS6_10device_ptrIjEEEENSD_INSE_IS9_EEEEjNS1_19radix_merge_compareILb0ELb0EjNS0_19identity_decomposerEEEEE10hipError_tT0_T1_T2_jT3_P12ihipStream_tbPNSt15iterator_traitsISN_E10value_typeEPNST_ISO_E10value_typeEPSP_NS1_7vsmem_tEENKUlT_SN_SO_SP_E_clISG_PjSI_PS9_EESM_S12_SN_SO_SP_EUlS12_E0_NS1_11comp_targetILNS1_3genE8ELNS1_11target_archE1030ELNS1_3gpuE2ELNS1_3repE0EEENS1_38merge_mergepath_config_static_selectorELNS0_4arch9wavefront6targetE1EEEvSO_,comdat
.Lfunc_end64:
	.size	_ZN7rocprim17ROCPRIM_400000_NS6detail17trampoline_kernelINS0_14default_configENS1_38merge_sort_block_merge_config_selectorIjN6thrust23THRUST_200600_302600_NS5tupleIffNS6_9null_typeES8_S8_S8_S8_S8_S8_S8_EEEEZZNS1_27merge_sort_block_merge_implIS3_NS6_6detail15normal_iteratorINS6_10device_ptrIjEEEENSD_INSE_IS9_EEEEjNS1_19radix_merge_compareILb0ELb0EjNS0_19identity_decomposerEEEEE10hipError_tT0_T1_T2_jT3_P12ihipStream_tbPNSt15iterator_traitsISN_E10value_typeEPNST_ISO_E10value_typeEPSP_NS1_7vsmem_tEENKUlT_SN_SO_SP_E_clISG_PjSI_PS9_EESM_S12_SN_SO_SP_EUlS12_E0_NS1_11comp_targetILNS1_3genE8ELNS1_11target_archE1030ELNS1_3gpuE2ELNS1_3repE0EEENS1_38merge_mergepath_config_static_selectorELNS0_4arch9wavefront6targetE1EEEvSO_, .Lfunc_end64-_ZN7rocprim17ROCPRIM_400000_NS6detail17trampoline_kernelINS0_14default_configENS1_38merge_sort_block_merge_config_selectorIjN6thrust23THRUST_200600_302600_NS5tupleIffNS6_9null_typeES8_S8_S8_S8_S8_S8_S8_EEEEZZNS1_27merge_sort_block_merge_implIS3_NS6_6detail15normal_iteratorINS6_10device_ptrIjEEEENSD_INSE_IS9_EEEEjNS1_19radix_merge_compareILb0ELb0EjNS0_19identity_decomposerEEEEE10hipError_tT0_T1_T2_jT3_P12ihipStream_tbPNSt15iterator_traitsISN_E10value_typeEPNST_ISO_E10value_typeEPSP_NS1_7vsmem_tEENKUlT_SN_SO_SP_E_clISG_PjSI_PS9_EESM_S12_SN_SO_SP_EUlS12_E0_NS1_11comp_targetILNS1_3genE8ELNS1_11target_archE1030ELNS1_3gpuE2ELNS1_3repE0EEENS1_38merge_mergepath_config_static_selectorELNS0_4arch9wavefront6targetE1EEEvSO_
                                        ; -- End function
	.section	.AMDGPU.csdata,"",@progbits
; Kernel info:
; codeLenInByte = 0
; NumSgprs: 4
; NumVgprs: 0
; NumAgprs: 0
; TotalNumVgprs: 0
; ScratchSize: 0
; MemoryBound: 0
; FloatMode: 240
; IeeeMode: 1
; LDSByteSize: 0 bytes/workgroup (compile time only)
; SGPRBlocks: 0
; VGPRBlocks: 0
; NumSGPRsForWavesPerEU: 4
; NumVGPRsForWavesPerEU: 1
; AccumOffset: 4
; Occupancy: 8
; WaveLimiterHint : 0
; COMPUTE_PGM_RSRC2:SCRATCH_EN: 0
; COMPUTE_PGM_RSRC2:USER_SGPR: 6
; COMPUTE_PGM_RSRC2:TRAP_HANDLER: 0
; COMPUTE_PGM_RSRC2:TGID_X_EN: 1
; COMPUTE_PGM_RSRC2:TGID_Y_EN: 0
; COMPUTE_PGM_RSRC2:TGID_Z_EN: 0
; COMPUTE_PGM_RSRC2:TIDIG_COMP_CNT: 0
; COMPUTE_PGM_RSRC3_GFX90A:ACCUM_OFFSET: 0
; COMPUTE_PGM_RSRC3_GFX90A:TG_SPLIT: 0
	.section	.text._ZN7rocprim17ROCPRIM_400000_NS6detail17trampoline_kernelINS0_14default_configENS1_38merge_sort_block_merge_config_selectorIjN6thrust23THRUST_200600_302600_NS5tupleIffNS6_9null_typeES8_S8_S8_S8_S8_S8_S8_EEEEZZNS1_27merge_sort_block_merge_implIS3_NS6_6detail15normal_iteratorINS6_10device_ptrIjEEEENSD_INSE_IS9_EEEEjNS1_19radix_merge_compareILb0ELb0EjNS0_19identity_decomposerEEEEE10hipError_tT0_T1_T2_jT3_P12ihipStream_tbPNSt15iterator_traitsISN_E10value_typeEPNST_ISO_E10value_typeEPSP_NS1_7vsmem_tEENKUlT_SN_SO_SP_E_clISG_PjSI_PS9_EESM_S12_SN_SO_SP_EUlS12_E1_NS1_11comp_targetILNS1_3genE0ELNS1_11target_archE4294967295ELNS1_3gpuE0ELNS1_3repE0EEENS1_36merge_oddeven_config_static_selectorELNS0_4arch9wavefront6targetE1EEEvSO_,"axG",@progbits,_ZN7rocprim17ROCPRIM_400000_NS6detail17trampoline_kernelINS0_14default_configENS1_38merge_sort_block_merge_config_selectorIjN6thrust23THRUST_200600_302600_NS5tupleIffNS6_9null_typeES8_S8_S8_S8_S8_S8_S8_EEEEZZNS1_27merge_sort_block_merge_implIS3_NS6_6detail15normal_iteratorINS6_10device_ptrIjEEEENSD_INSE_IS9_EEEEjNS1_19radix_merge_compareILb0ELb0EjNS0_19identity_decomposerEEEEE10hipError_tT0_T1_T2_jT3_P12ihipStream_tbPNSt15iterator_traitsISN_E10value_typeEPNST_ISO_E10value_typeEPSP_NS1_7vsmem_tEENKUlT_SN_SO_SP_E_clISG_PjSI_PS9_EESM_S12_SN_SO_SP_EUlS12_E1_NS1_11comp_targetILNS1_3genE0ELNS1_11target_archE4294967295ELNS1_3gpuE0ELNS1_3repE0EEENS1_36merge_oddeven_config_static_selectorELNS0_4arch9wavefront6targetE1EEEvSO_,comdat
	.protected	_ZN7rocprim17ROCPRIM_400000_NS6detail17trampoline_kernelINS0_14default_configENS1_38merge_sort_block_merge_config_selectorIjN6thrust23THRUST_200600_302600_NS5tupleIffNS6_9null_typeES8_S8_S8_S8_S8_S8_S8_EEEEZZNS1_27merge_sort_block_merge_implIS3_NS6_6detail15normal_iteratorINS6_10device_ptrIjEEEENSD_INSE_IS9_EEEEjNS1_19radix_merge_compareILb0ELb0EjNS0_19identity_decomposerEEEEE10hipError_tT0_T1_T2_jT3_P12ihipStream_tbPNSt15iterator_traitsISN_E10value_typeEPNST_ISO_E10value_typeEPSP_NS1_7vsmem_tEENKUlT_SN_SO_SP_E_clISG_PjSI_PS9_EESM_S12_SN_SO_SP_EUlS12_E1_NS1_11comp_targetILNS1_3genE0ELNS1_11target_archE4294967295ELNS1_3gpuE0ELNS1_3repE0EEENS1_36merge_oddeven_config_static_selectorELNS0_4arch9wavefront6targetE1EEEvSO_ ; -- Begin function _ZN7rocprim17ROCPRIM_400000_NS6detail17trampoline_kernelINS0_14default_configENS1_38merge_sort_block_merge_config_selectorIjN6thrust23THRUST_200600_302600_NS5tupleIffNS6_9null_typeES8_S8_S8_S8_S8_S8_S8_EEEEZZNS1_27merge_sort_block_merge_implIS3_NS6_6detail15normal_iteratorINS6_10device_ptrIjEEEENSD_INSE_IS9_EEEEjNS1_19radix_merge_compareILb0ELb0EjNS0_19identity_decomposerEEEEE10hipError_tT0_T1_T2_jT3_P12ihipStream_tbPNSt15iterator_traitsISN_E10value_typeEPNST_ISO_E10value_typeEPSP_NS1_7vsmem_tEENKUlT_SN_SO_SP_E_clISG_PjSI_PS9_EESM_S12_SN_SO_SP_EUlS12_E1_NS1_11comp_targetILNS1_3genE0ELNS1_11target_archE4294967295ELNS1_3gpuE0ELNS1_3repE0EEENS1_36merge_oddeven_config_static_selectorELNS0_4arch9wavefront6targetE1EEEvSO_
	.globl	_ZN7rocprim17ROCPRIM_400000_NS6detail17trampoline_kernelINS0_14default_configENS1_38merge_sort_block_merge_config_selectorIjN6thrust23THRUST_200600_302600_NS5tupleIffNS6_9null_typeES8_S8_S8_S8_S8_S8_S8_EEEEZZNS1_27merge_sort_block_merge_implIS3_NS6_6detail15normal_iteratorINS6_10device_ptrIjEEEENSD_INSE_IS9_EEEEjNS1_19radix_merge_compareILb0ELb0EjNS0_19identity_decomposerEEEEE10hipError_tT0_T1_T2_jT3_P12ihipStream_tbPNSt15iterator_traitsISN_E10value_typeEPNST_ISO_E10value_typeEPSP_NS1_7vsmem_tEENKUlT_SN_SO_SP_E_clISG_PjSI_PS9_EESM_S12_SN_SO_SP_EUlS12_E1_NS1_11comp_targetILNS1_3genE0ELNS1_11target_archE4294967295ELNS1_3gpuE0ELNS1_3repE0EEENS1_36merge_oddeven_config_static_selectorELNS0_4arch9wavefront6targetE1EEEvSO_
	.p2align	8
	.type	_ZN7rocprim17ROCPRIM_400000_NS6detail17trampoline_kernelINS0_14default_configENS1_38merge_sort_block_merge_config_selectorIjN6thrust23THRUST_200600_302600_NS5tupleIffNS6_9null_typeES8_S8_S8_S8_S8_S8_S8_EEEEZZNS1_27merge_sort_block_merge_implIS3_NS6_6detail15normal_iteratorINS6_10device_ptrIjEEEENSD_INSE_IS9_EEEEjNS1_19radix_merge_compareILb0ELb0EjNS0_19identity_decomposerEEEEE10hipError_tT0_T1_T2_jT3_P12ihipStream_tbPNSt15iterator_traitsISN_E10value_typeEPNST_ISO_E10value_typeEPSP_NS1_7vsmem_tEENKUlT_SN_SO_SP_E_clISG_PjSI_PS9_EESM_S12_SN_SO_SP_EUlS12_E1_NS1_11comp_targetILNS1_3genE0ELNS1_11target_archE4294967295ELNS1_3gpuE0ELNS1_3repE0EEENS1_36merge_oddeven_config_static_selectorELNS0_4arch9wavefront6targetE1EEEvSO_,@function
_ZN7rocprim17ROCPRIM_400000_NS6detail17trampoline_kernelINS0_14default_configENS1_38merge_sort_block_merge_config_selectorIjN6thrust23THRUST_200600_302600_NS5tupleIffNS6_9null_typeES8_S8_S8_S8_S8_S8_S8_EEEEZZNS1_27merge_sort_block_merge_implIS3_NS6_6detail15normal_iteratorINS6_10device_ptrIjEEEENSD_INSE_IS9_EEEEjNS1_19radix_merge_compareILb0ELb0EjNS0_19identity_decomposerEEEEE10hipError_tT0_T1_T2_jT3_P12ihipStream_tbPNSt15iterator_traitsISN_E10value_typeEPNST_ISO_E10value_typeEPSP_NS1_7vsmem_tEENKUlT_SN_SO_SP_E_clISG_PjSI_PS9_EESM_S12_SN_SO_SP_EUlS12_E1_NS1_11comp_targetILNS1_3genE0ELNS1_11target_archE4294967295ELNS1_3gpuE0ELNS1_3repE0EEENS1_36merge_oddeven_config_static_selectorELNS0_4arch9wavefront6targetE1EEEvSO_: ; @_ZN7rocprim17ROCPRIM_400000_NS6detail17trampoline_kernelINS0_14default_configENS1_38merge_sort_block_merge_config_selectorIjN6thrust23THRUST_200600_302600_NS5tupleIffNS6_9null_typeES8_S8_S8_S8_S8_S8_S8_EEEEZZNS1_27merge_sort_block_merge_implIS3_NS6_6detail15normal_iteratorINS6_10device_ptrIjEEEENSD_INSE_IS9_EEEEjNS1_19radix_merge_compareILb0ELb0EjNS0_19identity_decomposerEEEEE10hipError_tT0_T1_T2_jT3_P12ihipStream_tbPNSt15iterator_traitsISN_E10value_typeEPNST_ISO_E10value_typeEPSP_NS1_7vsmem_tEENKUlT_SN_SO_SP_E_clISG_PjSI_PS9_EESM_S12_SN_SO_SP_EUlS12_E1_NS1_11comp_targetILNS1_3genE0ELNS1_11target_archE4294967295ELNS1_3gpuE0ELNS1_3repE0EEENS1_36merge_oddeven_config_static_selectorELNS0_4arch9wavefront6targetE1EEEvSO_
; %bb.0:
	.section	.rodata,"a",@progbits
	.p2align	6, 0x0
	.amdhsa_kernel _ZN7rocprim17ROCPRIM_400000_NS6detail17trampoline_kernelINS0_14default_configENS1_38merge_sort_block_merge_config_selectorIjN6thrust23THRUST_200600_302600_NS5tupleIffNS6_9null_typeES8_S8_S8_S8_S8_S8_S8_EEEEZZNS1_27merge_sort_block_merge_implIS3_NS6_6detail15normal_iteratorINS6_10device_ptrIjEEEENSD_INSE_IS9_EEEEjNS1_19radix_merge_compareILb0ELb0EjNS0_19identity_decomposerEEEEE10hipError_tT0_T1_T2_jT3_P12ihipStream_tbPNSt15iterator_traitsISN_E10value_typeEPNST_ISO_E10value_typeEPSP_NS1_7vsmem_tEENKUlT_SN_SO_SP_E_clISG_PjSI_PS9_EESM_S12_SN_SO_SP_EUlS12_E1_NS1_11comp_targetILNS1_3genE0ELNS1_11target_archE4294967295ELNS1_3gpuE0ELNS1_3repE0EEENS1_36merge_oddeven_config_static_selectorELNS0_4arch9wavefront6targetE1EEEvSO_
		.amdhsa_group_segment_fixed_size 0
		.amdhsa_private_segment_fixed_size 0
		.amdhsa_kernarg_size 48
		.amdhsa_user_sgpr_count 6
		.amdhsa_user_sgpr_private_segment_buffer 1
		.amdhsa_user_sgpr_dispatch_ptr 0
		.amdhsa_user_sgpr_queue_ptr 0
		.amdhsa_user_sgpr_kernarg_segment_ptr 1
		.amdhsa_user_sgpr_dispatch_id 0
		.amdhsa_user_sgpr_flat_scratch_init 0
		.amdhsa_user_sgpr_kernarg_preload_length 0
		.amdhsa_user_sgpr_kernarg_preload_offset 0
		.amdhsa_user_sgpr_private_segment_size 0
		.amdhsa_uses_dynamic_stack 0
		.amdhsa_system_sgpr_private_segment_wavefront_offset 0
		.amdhsa_system_sgpr_workgroup_id_x 1
		.amdhsa_system_sgpr_workgroup_id_y 0
		.amdhsa_system_sgpr_workgroup_id_z 0
		.amdhsa_system_sgpr_workgroup_info 0
		.amdhsa_system_vgpr_workitem_id 0
		.amdhsa_next_free_vgpr 1
		.amdhsa_next_free_sgpr 0
		.amdhsa_accum_offset 4
		.amdhsa_reserve_vcc 0
		.amdhsa_reserve_flat_scratch 0
		.amdhsa_float_round_mode_32 0
		.amdhsa_float_round_mode_16_64 0
		.amdhsa_float_denorm_mode_32 3
		.amdhsa_float_denorm_mode_16_64 3
		.amdhsa_dx10_clamp 1
		.amdhsa_ieee_mode 1
		.amdhsa_fp16_overflow 0
		.amdhsa_tg_split 0
		.amdhsa_exception_fp_ieee_invalid_op 0
		.amdhsa_exception_fp_denorm_src 0
		.amdhsa_exception_fp_ieee_div_zero 0
		.amdhsa_exception_fp_ieee_overflow 0
		.amdhsa_exception_fp_ieee_underflow 0
		.amdhsa_exception_fp_ieee_inexact 0
		.amdhsa_exception_int_div_zero 0
	.end_amdhsa_kernel
	.section	.text._ZN7rocprim17ROCPRIM_400000_NS6detail17trampoline_kernelINS0_14default_configENS1_38merge_sort_block_merge_config_selectorIjN6thrust23THRUST_200600_302600_NS5tupleIffNS6_9null_typeES8_S8_S8_S8_S8_S8_S8_EEEEZZNS1_27merge_sort_block_merge_implIS3_NS6_6detail15normal_iteratorINS6_10device_ptrIjEEEENSD_INSE_IS9_EEEEjNS1_19radix_merge_compareILb0ELb0EjNS0_19identity_decomposerEEEEE10hipError_tT0_T1_T2_jT3_P12ihipStream_tbPNSt15iterator_traitsISN_E10value_typeEPNST_ISO_E10value_typeEPSP_NS1_7vsmem_tEENKUlT_SN_SO_SP_E_clISG_PjSI_PS9_EESM_S12_SN_SO_SP_EUlS12_E1_NS1_11comp_targetILNS1_3genE0ELNS1_11target_archE4294967295ELNS1_3gpuE0ELNS1_3repE0EEENS1_36merge_oddeven_config_static_selectorELNS0_4arch9wavefront6targetE1EEEvSO_,"axG",@progbits,_ZN7rocprim17ROCPRIM_400000_NS6detail17trampoline_kernelINS0_14default_configENS1_38merge_sort_block_merge_config_selectorIjN6thrust23THRUST_200600_302600_NS5tupleIffNS6_9null_typeES8_S8_S8_S8_S8_S8_S8_EEEEZZNS1_27merge_sort_block_merge_implIS3_NS6_6detail15normal_iteratorINS6_10device_ptrIjEEEENSD_INSE_IS9_EEEEjNS1_19radix_merge_compareILb0ELb0EjNS0_19identity_decomposerEEEEE10hipError_tT0_T1_T2_jT3_P12ihipStream_tbPNSt15iterator_traitsISN_E10value_typeEPNST_ISO_E10value_typeEPSP_NS1_7vsmem_tEENKUlT_SN_SO_SP_E_clISG_PjSI_PS9_EESM_S12_SN_SO_SP_EUlS12_E1_NS1_11comp_targetILNS1_3genE0ELNS1_11target_archE4294967295ELNS1_3gpuE0ELNS1_3repE0EEENS1_36merge_oddeven_config_static_selectorELNS0_4arch9wavefront6targetE1EEEvSO_,comdat
.Lfunc_end65:
	.size	_ZN7rocprim17ROCPRIM_400000_NS6detail17trampoline_kernelINS0_14default_configENS1_38merge_sort_block_merge_config_selectorIjN6thrust23THRUST_200600_302600_NS5tupleIffNS6_9null_typeES8_S8_S8_S8_S8_S8_S8_EEEEZZNS1_27merge_sort_block_merge_implIS3_NS6_6detail15normal_iteratorINS6_10device_ptrIjEEEENSD_INSE_IS9_EEEEjNS1_19radix_merge_compareILb0ELb0EjNS0_19identity_decomposerEEEEE10hipError_tT0_T1_T2_jT3_P12ihipStream_tbPNSt15iterator_traitsISN_E10value_typeEPNST_ISO_E10value_typeEPSP_NS1_7vsmem_tEENKUlT_SN_SO_SP_E_clISG_PjSI_PS9_EESM_S12_SN_SO_SP_EUlS12_E1_NS1_11comp_targetILNS1_3genE0ELNS1_11target_archE4294967295ELNS1_3gpuE0ELNS1_3repE0EEENS1_36merge_oddeven_config_static_selectorELNS0_4arch9wavefront6targetE1EEEvSO_, .Lfunc_end65-_ZN7rocprim17ROCPRIM_400000_NS6detail17trampoline_kernelINS0_14default_configENS1_38merge_sort_block_merge_config_selectorIjN6thrust23THRUST_200600_302600_NS5tupleIffNS6_9null_typeES8_S8_S8_S8_S8_S8_S8_EEEEZZNS1_27merge_sort_block_merge_implIS3_NS6_6detail15normal_iteratorINS6_10device_ptrIjEEEENSD_INSE_IS9_EEEEjNS1_19radix_merge_compareILb0ELb0EjNS0_19identity_decomposerEEEEE10hipError_tT0_T1_T2_jT3_P12ihipStream_tbPNSt15iterator_traitsISN_E10value_typeEPNST_ISO_E10value_typeEPSP_NS1_7vsmem_tEENKUlT_SN_SO_SP_E_clISG_PjSI_PS9_EESM_S12_SN_SO_SP_EUlS12_E1_NS1_11comp_targetILNS1_3genE0ELNS1_11target_archE4294967295ELNS1_3gpuE0ELNS1_3repE0EEENS1_36merge_oddeven_config_static_selectorELNS0_4arch9wavefront6targetE1EEEvSO_
                                        ; -- End function
	.section	.AMDGPU.csdata,"",@progbits
; Kernel info:
; codeLenInByte = 0
; NumSgprs: 4
; NumVgprs: 0
; NumAgprs: 0
; TotalNumVgprs: 0
; ScratchSize: 0
; MemoryBound: 0
; FloatMode: 240
; IeeeMode: 1
; LDSByteSize: 0 bytes/workgroup (compile time only)
; SGPRBlocks: 0
; VGPRBlocks: 0
; NumSGPRsForWavesPerEU: 4
; NumVGPRsForWavesPerEU: 1
; AccumOffset: 4
; Occupancy: 8
; WaveLimiterHint : 0
; COMPUTE_PGM_RSRC2:SCRATCH_EN: 0
; COMPUTE_PGM_RSRC2:USER_SGPR: 6
; COMPUTE_PGM_RSRC2:TRAP_HANDLER: 0
; COMPUTE_PGM_RSRC2:TGID_X_EN: 1
; COMPUTE_PGM_RSRC2:TGID_Y_EN: 0
; COMPUTE_PGM_RSRC2:TGID_Z_EN: 0
; COMPUTE_PGM_RSRC2:TIDIG_COMP_CNT: 0
; COMPUTE_PGM_RSRC3_GFX90A:ACCUM_OFFSET: 0
; COMPUTE_PGM_RSRC3_GFX90A:TG_SPLIT: 0
	.section	.text._ZN7rocprim17ROCPRIM_400000_NS6detail17trampoline_kernelINS0_14default_configENS1_38merge_sort_block_merge_config_selectorIjN6thrust23THRUST_200600_302600_NS5tupleIffNS6_9null_typeES8_S8_S8_S8_S8_S8_S8_EEEEZZNS1_27merge_sort_block_merge_implIS3_NS6_6detail15normal_iteratorINS6_10device_ptrIjEEEENSD_INSE_IS9_EEEEjNS1_19radix_merge_compareILb0ELb0EjNS0_19identity_decomposerEEEEE10hipError_tT0_T1_T2_jT3_P12ihipStream_tbPNSt15iterator_traitsISN_E10value_typeEPNST_ISO_E10value_typeEPSP_NS1_7vsmem_tEENKUlT_SN_SO_SP_E_clISG_PjSI_PS9_EESM_S12_SN_SO_SP_EUlS12_E1_NS1_11comp_targetILNS1_3genE10ELNS1_11target_archE1201ELNS1_3gpuE5ELNS1_3repE0EEENS1_36merge_oddeven_config_static_selectorELNS0_4arch9wavefront6targetE1EEEvSO_,"axG",@progbits,_ZN7rocprim17ROCPRIM_400000_NS6detail17trampoline_kernelINS0_14default_configENS1_38merge_sort_block_merge_config_selectorIjN6thrust23THRUST_200600_302600_NS5tupleIffNS6_9null_typeES8_S8_S8_S8_S8_S8_S8_EEEEZZNS1_27merge_sort_block_merge_implIS3_NS6_6detail15normal_iteratorINS6_10device_ptrIjEEEENSD_INSE_IS9_EEEEjNS1_19radix_merge_compareILb0ELb0EjNS0_19identity_decomposerEEEEE10hipError_tT0_T1_T2_jT3_P12ihipStream_tbPNSt15iterator_traitsISN_E10value_typeEPNST_ISO_E10value_typeEPSP_NS1_7vsmem_tEENKUlT_SN_SO_SP_E_clISG_PjSI_PS9_EESM_S12_SN_SO_SP_EUlS12_E1_NS1_11comp_targetILNS1_3genE10ELNS1_11target_archE1201ELNS1_3gpuE5ELNS1_3repE0EEENS1_36merge_oddeven_config_static_selectorELNS0_4arch9wavefront6targetE1EEEvSO_,comdat
	.protected	_ZN7rocprim17ROCPRIM_400000_NS6detail17trampoline_kernelINS0_14default_configENS1_38merge_sort_block_merge_config_selectorIjN6thrust23THRUST_200600_302600_NS5tupleIffNS6_9null_typeES8_S8_S8_S8_S8_S8_S8_EEEEZZNS1_27merge_sort_block_merge_implIS3_NS6_6detail15normal_iteratorINS6_10device_ptrIjEEEENSD_INSE_IS9_EEEEjNS1_19radix_merge_compareILb0ELb0EjNS0_19identity_decomposerEEEEE10hipError_tT0_T1_T2_jT3_P12ihipStream_tbPNSt15iterator_traitsISN_E10value_typeEPNST_ISO_E10value_typeEPSP_NS1_7vsmem_tEENKUlT_SN_SO_SP_E_clISG_PjSI_PS9_EESM_S12_SN_SO_SP_EUlS12_E1_NS1_11comp_targetILNS1_3genE10ELNS1_11target_archE1201ELNS1_3gpuE5ELNS1_3repE0EEENS1_36merge_oddeven_config_static_selectorELNS0_4arch9wavefront6targetE1EEEvSO_ ; -- Begin function _ZN7rocprim17ROCPRIM_400000_NS6detail17trampoline_kernelINS0_14default_configENS1_38merge_sort_block_merge_config_selectorIjN6thrust23THRUST_200600_302600_NS5tupleIffNS6_9null_typeES8_S8_S8_S8_S8_S8_S8_EEEEZZNS1_27merge_sort_block_merge_implIS3_NS6_6detail15normal_iteratorINS6_10device_ptrIjEEEENSD_INSE_IS9_EEEEjNS1_19radix_merge_compareILb0ELb0EjNS0_19identity_decomposerEEEEE10hipError_tT0_T1_T2_jT3_P12ihipStream_tbPNSt15iterator_traitsISN_E10value_typeEPNST_ISO_E10value_typeEPSP_NS1_7vsmem_tEENKUlT_SN_SO_SP_E_clISG_PjSI_PS9_EESM_S12_SN_SO_SP_EUlS12_E1_NS1_11comp_targetILNS1_3genE10ELNS1_11target_archE1201ELNS1_3gpuE5ELNS1_3repE0EEENS1_36merge_oddeven_config_static_selectorELNS0_4arch9wavefront6targetE1EEEvSO_
	.globl	_ZN7rocprim17ROCPRIM_400000_NS6detail17trampoline_kernelINS0_14default_configENS1_38merge_sort_block_merge_config_selectorIjN6thrust23THRUST_200600_302600_NS5tupleIffNS6_9null_typeES8_S8_S8_S8_S8_S8_S8_EEEEZZNS1_27merge_sort_block_merge_implIS3_NS6_6detail15normal_iteratorINS6_10device_ptrIjEEEENSD_INSE_IS9_EEEEjNS1_19radix_merge_compareILb0ELb0EjNS0_19identity_decomposerEEEEE10hipError_tT0_T1_T2_jT3_P12ihipStream_tbPNSt15iterator_traitsISN_E10value_typeEPNST_ISO_E10value_typeEPSP_NS1_7vsmem_tEENKUlT_SN_SO_SP_E_clISG_PjSI_PS9_EESM_S12_SN_SO_SP_EUlS12_E1_NS1_11comp_targetILNS1_3genE10ELNS1_11target_archE1201ELNS1_3gpuE5ELNS1_3repE0EEENS1_36merge_oddeven_config_static_selectorELNS0_4arch9wavefront6targetE1EEEvSO_
	.p2align	8
	.type	_ZN7rocprim17ROCPRIM_400000_NS6detail17trampoline_kernelINS0_14default_configENS1_38merge_sort_block_merge_config_selectorIjN6thrust23THRUST_200600_302600_NS5tupleIffNS6_9null_typeES8_S8_S8_S8_S8_S8_S8_EEEEZZNS1_27merge_sort_block_merge_implIS3_NS6_6detail15normal_iteratorINS6_10device_ptrIjEEEENSD_INSE_IS9_EEEEjNS1_19radix_merge_compareILb0ELb0EjNS0_19identity_decomposerEEEEE10hipError_tT0_T1_T2_jT3_P12ihipStream_tbPNSt15iterator_traitsISN_E10value_typeEPNST_ISO_E10value_typeEPSP_NS1_7vsmem_tEENKUlT_SN_SO_SP_E_clISG_PjSI_PS9_EESM_S12_SN_SO_SP_EUlS12_E1_NS1_11comp_targetILNS1_3genE10ELNS1_11target_archE1201ELNS1_3gpuE5ELNS1_3repE0EEENS1_36merge_oddeven_config_static_selectorELNS0_4arch9wavefront6targetE1EEEvSO_,@function
_ZN7rocprim17ROCPRIM_400000_NS6detail17trampoline_kernelINS0_14default_configENS1_38merge_sort_block_merge_config_selectorIjN6thrust23THRUST_200600_302600_NS5tupleIffNS6_9null_typeES8_S8_S8_S8_S8_S8_S8_EEEEZZNS1_27merge_sort_block_merge_implIS3_NS6_6detail15normal_iteratorINS6_10device_ptrIjEEEENSD_INSE_IS9_EEEEjNS1_19radix_merge_compareILb0ELb0EjNS0_19identity_decomposerEEEEE10hipError_tT0_T1_T2_jT3_P12ihipStream_tbPNSt15iterator_traitsISN_E10value_typeEPNST_ISO_E10value_typeEPSP_NS1_7vsmem_tEENKUlT_SN_SO_SP_E_clISG_PjSI_PS9_EESM_S12_SN_SO_SP_EUlS12_E1_NS1_11comp_targetILNS1_3genE10ELNS1_11target_archE1201ELNS1_3gpuE5ELNS1_3repE0EEENS1_36merge_oddeven_config_static_selectorELNS0_4arch9wavefront6targetE1EEEvSO_: ; @_ZN7rocprim17ROCPRIM_400000_NS6detail17trampoline_kernelINS0_14default_configENS1_38merge_sort_block_merge_config_selectorIjN6thrust23THRUST_200600_302600_NS5tupleIffNS6_9null_typeES8_S8_S8_S8_S8_S8_S8_EEEEZZNS1_27merge_sort_block_merge_implIS3_NS6_6detail15normal_iteratorINS6_10device_ptrIjEEEENSD_INSE_IS9_EEEEjNS1_19radix_merge_compareILb0ELb0EjNS0_19identity_decomposerEEEEE10hipError_tT0_T1_T2_jT3_P12ihipStream_tbPNSt15iterator_traitsISN_E10value_typeEPNST_ISO_E10value_typeEPSP_NS1_7vsmem_tEENKUlT_SN_SO_SP_E_clISG_PjSI_PS9_EESM_S12_SN_SO_SP_EUlS12_E1_NS1_11comp_targetILNS1_3genE10ELNS1_11target_archE1201ELNS1_3gpuE5ELNS1_3repE0EEENS1_36merge_oddeven_config_static_selectorELNS0_4arch9wavefront6targetE1EEEvSO_
; %bb.0:
	.section	.rodata,"a",@progbits
	.p2align	6, 0x0
	.amdhsa_kernel _ZN7rocprim17ROCPRIM_400000_NS6detail17trampoline_kernelINS0_14default_configENS1_38merge_sort_block_merge_config_selectorIjN6thrust23THRUST_200600_302600_NS5tupleIffNS6_9null_typeES8_S8_S8_S8_S8_S8_S8_EEEEZZNS1_27merge_sort_block_merge_implIS3_NS6_6detail15normal_iteratorINS6_10device_ptrIjEEEENSD_INSE_IS9_EEEEjNS1_19radix_merge_compareILb0ELb0EjNS0_19identity_decomposerEEEEE10hipError_tT0_T1_T2_jT3_P12ihipStream_tbPNSt15iterator_traitsISN_E10value_typeEPNST_ISO_E10value_typeEPSP_NS1_7vsmem_tEENKUlT_SN_SO_SP_E_clISG_PjSI_PS9_EESM_S12_SN_SO_SP_EUlS12_E1_NS1_11comp_targetILNS1_3genE10ELNS1_11target_archE1201ELNS1_3gpuE5ELNS1_3repE0EEENS1_36merge_oddeven_config_static_selectorELNS0_4arch9wavefront6targetE1EEEvSO_
		.amdhsa_group_segment_fixed_size 0
		.amdhsa_private_segment_fixed_size 0
		.amdhsa_kernarg_size 48
		.amdhsa_user_sgpr_count 6
		.amdhsa_user_sgpr_private_segment_buffer 1
		.amdhsa_user_sgpr_dispatch_ptr 0
		.amdhsa_user_sgpr_queue_ptr 0
		.amdhsa_user_sgpr_kernarg_segment_ptr 1
		.amdhsa_user_sgpr_dispatch_id 0
		.amdhsa_user_sgpr_flat_scratch_init 0
		.amdhsa_user_sgpr_kernarg_preload_length 0
		.amdhsa_user_sgpr_kernarg_preload_offset 0
		.amdhsa_user_sgpr_private_segment_size 0
		.amdhsa_uses_dynamic_stack 0
		.amdhsa_system_sgpr_private_segment_wavefront_offset 0
		.amdhsa_system_sgpr_workgroup_id_x 1
		.amdhsa_system_sgpr_workgroup_id_y 0
		.amdhsa_system_sgpr_workgroup_id_z 0
		.amdhsa_system_sgpr_workgroup_info 0
		.amdhsa_system_vgpr_workitem_id 0
		.amdhsa_next_free_vgpr 1
		.amdhsa_next_free_sgpr 0
		.amdhsa_accum_offset 4
		.amdhsa_reserve_vcc 0
		.amdhsa_reserve_flat_scratch 0
		.amdhsa_float_round_mode_32 0
		.amdhsa_float_round_mode_16_64 0
		.amdhsa_float_denorm_mode_32 3
		.amdhsa_float_denorm_mode_16_64 3
		.amdhsa_dx10_clamp 1
		.amdhsa_ieee_mode 1
		.amdhsa_fp16_overflow 0
		.amdhsa_tg_split 0
		.amdhsa_exception_fp_ieee_invalid_op 0
		.amdhsa_exception_fp_denorm_src 0
		.amdhsa_exception_fp_ieee_div_zero 0
		.amdhsa_exception_fp_ieee_overflow 0
		.amdhsa_exception_fp_ieee_underflow 0
		.amdhsa_exception_fp_ieee_inexact 0
		.amdhsa_exception_int_div_zero 0
	.end_amdhsa_kernel
	.section	.text._ZN7rocprim17ROCPRIM_400000_NS6detail17trampoline_kernelINS0_14default_configENS1_38merge_sort_block_merge_config_selectorIjN6thrust23THRUST_200600_302600_NS5tupleIffNS6_9null_typeES8_S8_S8_S8_S8_S8_S8_EEEEZZNS1_27merge_sort_block_merge_implIS3_NS6_6detail15normal_iteratorINS6_10device_ptrIjEEEENSD_INSE_IS9_EEEEjNS1_19radix_merge_compareILb0ELb0EjNS0_19identity_decomposerEEEEE10hipError_tT0_T1_T2_jT3_P12ihipStream_tbPNSt15iterator_traitsISN_E10value_typeEPNST_ISO_E10value_typeEPSP_NS1_7vsmem_tEENKUlT_SN_SO_SP_E_clISG_PjSI_PS9_EESM_S12_SN_SO_SP_EUlS12_E1_NS1_11comp_targetILNS1_3genE10ELNS1_11target_archE1201ELNS1_3gpuE5ELNS1_3repE0EEENS1_36merge_oddeven_config_static_selectorELNS0_4arch9wavefront6targetE1EEEvSO_,"axG",@progbits,_ZN7rocprim17ROCPRIM_400000_NS6detail17trampoline_kernelINS0_14default_configENS1_38merge_sort_block_merge_config_selectorIjN6thrust23THRUST_200600_302600_NS5tupleIffNS6_9null_typeES8_S8_S8_S8_S8_S8_S8_EEEEZZNS1_27merge_sort_block_merge_implIS3_NS6_6detail15normal_iteratorINS6_10device_ptrIjEEEENSD_INSE_IS9_EEEEjNS1_19radix_merge_compareILb0ELb0EjNS0_19identity_decomposerEEEEE10hipError_tT0_T1_T2_jT3_P12ihipStream_tbPNSt15iterator_traitsISN_E10value_typeEPNST_ISO_E10value_typeEPSP_NS1_7vsmem_tEENKUlT_SN_SO_SP_E_clISG_PjSI_PS9_EESM_S12_SN_SO_SP_EUlS12_E1_NS1_11comp_targetILNS1_3genE10ELNS1_11target_archE1201ELNS1_3gpuE5ELNS1_3repE0EEENS1_36merge_oddeven_config_static_selectorELNS0_4arch9wavefront6targetE1EEEvSO_,comdat
.Lfunc_end66:
	.size	_ZN7rocprim17ROCPRIM_400000_NS6detail17trampoline_kernelINS0_14default_configENS1_38merge_sort_block_merge_config_selectorIjN6thrust23THRUST_200600_302600_NS5tupleIffNS6_9null_typeES8_S8_S8_S8_S8_S8_S8_EEEEZZNS1_27merge_sort_block_merge_implIS3_NS6_6detail15normal_iteratorINS6_10device_ptrIjEEEENSD_INSE_IS9_EEEEjNS1_19radix_merge_compareILb0ELb0EjNS0_19identity_decomposerEEEEE10hipError_tT0_T1_T2_jT3_P12ihipStream_tbPNSt15iterator_traitsISN_E10value_typeEPNST_ISO_E10value_typeEPSP_NS1_7vsmem_tEENKUlT_SN_SO_SP_E_clISG_PjSI_PS9_EESM_S12_SN_SO_SP_EUlS12_E1_NS1_11comp_targetILNS1_3genE10ELNS1_11target_archE1201ELNS1_3gpuE5ELNS1_3repE0EEENS1_36merge_oddeven_config_static_selectorELNS0_4arch9wavefront6targetE1EEEvSO_, .Lfunc_end66-_ZN7rocprim17ROCPRIM_400000_NS6detail17trampoline_kernelINS0_14default_configENS1_38merge_sort_block_merge_config_selectorIjN6thrust23THRUST_200600_302600_NS5tupleIffNS6_9null_typeES8_S8_S8_S8_S8_S8_S8_EEEEZZNS1_27merge_sort_block_merge_implIS3_NS6_6detail15normal_iteratorINS6_10device_ptrIjEEEENSD_INSE_IS9_EEEEjNS1_19radix_merge_compareILb0ELb0EjNS0_19identity_decomposerEEEEE10hipError_tT0_T1_T2_jT3_P12ihipStream_tbPNSt15iterator_traitsISN_E10value_typeEPNST_ISO_E10value_typeEPSP_NS1_7vsmem_tEENKUlT_SN_SO_SP_E_clISG_PjSI_PS9_EESM_S12_SN_SO_SP_EUlS12_E1_NS1_11comp_targetILNS1_3genE10ELNS1_11target_archE1201ELNS1_3gpuE5ELNS1_3repE0EEENS1_36merge_oddeven_config_static_selectorELNS0_4arch9wavefront6targetE1EEEvSO_
                                        ; -- End function
	.section	.AMDGPU.csdata,"",@progbits
; Kernel info:
; codeLenInByte = 0
; NumSgprs: 4
; NumVgprs: 0
; NumAgprs: 0
; TotalNumVgprs: 0
; ScratchSize: 0
; MemoryBound: 0
; FloatMode: 240
; IeeeMode: 1
; LDSByteSize: 0 bytes/workgroup (compile time only)
; SGPRBlocks: 0
; VGPRBlocks: 0
; NumSGPRsForWavesPerEU: 4
; NumVGPRsForWavesPerEU: 1
; AccumOffset: 4
; Occupancy: 8
; WaveLimiterHint : 0
; COMPUTE_PGM_RSRC2:SCRATCH_EN: 0
; COMPUTE_PGM_RSRC2:USER_SGPR: 6
; COMPUTE_PGM_RSRC2:TRAP_HANDLER: 0
; COMPUTE_PGM_RSRC2:TGID_X_EN: 1
; COMPUTE_PGM_RSRC2:TGID_Y_EN: 0
; COMPUTE_PGM_RSRC2:TGID_Z_EN: 0
; COMPUTE_PGM_RSRC2:TIDIG_COMP_CNT: 0
; COMPUTE_PGM_RSRC3_GFX90A:ACCUM_OFFSET: 0
; COMPUTE_PGM_RSRC3_GFX90A:TG_SPLIT: 0
	.section	.text._ZN7rocprim17ROCPRIM_400000_NS6detail17trampoline_kernelINS0_14default_configENS1_38merge_sort_block_merge_config_selectorIjN6thrust23THRUST_200600_302600_NS5tupleIffNS6_9null_typeES8_S8_S8_S8_S8_S8_S8_EEEEZZNS1_27merge_sort_block_merge_implIS3_NS6_6detail15normal_iteratorINS6_10device_ptrIjEEEENSD_INSE_IS9_EEEEjNS1_19radix_merge_compareILb0ELb0EjNS0_19identity_decomposerEEEEE10hipError_tT0_T1_T2_jT3_P12ihipStream_tbPNSt15iterator_traitsISN_E10value_typeEPNST_ISO_E10value_typeEPSP_NS1_7vsmem_tEENKUlT_SN_SO_SP_E_clISG_PjSI_PS9_EESM_S12_SN_SO_SP_EUlS12_E1_NS1_11comp_targetILNS1_3genE5ELNS1_11target_archE942ELNS1_3gpuE9ELNS1_3repE0EEENS1_36merge_oddeven_config_static_selectorELNS0_4arch9wavefront6targetE1EEEvSO_,"axG",@progbits,_ZN7rocprim17ROCPRIM_400000_NS6detail17trampoline_kernelINS0_14default_configENS1_38merge_sort_block_merge_config_selectorIjN6thrust23THRUST_200600_302600_NS5tupleIffNS6_9null_typeES8_S8_S8_S8_S8_S8_S8_EEEEZZNS1_27merge_sort_block_merge_implIS3_NS6_6detail15normal_iteratorINS6_10device_ptrIjEEEENSD_INSE_IS9_EEEEjNS1_19radix_merge_compareILb0ELb0EjNS0_19identity_decomposerEEEEE10hipError_tT0_T1_T2_jT3_P12ihipStream_tbPNSt15iterator_traitsISN_E10value_typeEPNST_ISO_E10value_typeEPSP_NS1_7vsmem_tEENKUlT_SN_SO_SP_E_clISG_PjSI_PS9_EESM_S12_SN_SO_SP_EUlS12_E1_NS1_11comp_targetILNS1_3genE5ELNS1_11target_archE942ELNS1_3gpuE9ELNS1_3repE0EEENS1_36merge_oddeven_config_static_selectorELNS0_4arch9wavefront6targetE1EEEvSO_,comdat
	.protected	_ZN7rocprim17ROCPRIM_400000_NS6detail17trampoline_kernelINS0_14default_configENS1_38merge_sort_block_merge_config_selectorIjN6thrust23THRUST_200600_302600_NS5tupleIffNS6_9null_typeES8_S8_S8_S8_S8_S8_S8_EEEEZZNS1_27merge_sort_block_merge_implIS3_NS6_6detail15normal_iteratorINS6_10device_ptrIjEEEENSD_INSE_IS9_EEEEjNS1_19radix_merge_compareILb0ELb0EjNS0_19identity_decomposerEEEEE10hipError_tT0_T1_T2_jT3_P12ihipStream_tbPNSt15iterator_traitsISN_E10value_typeEPNST_ISO_E10value_typeEPSP_NS1_7vsmem_tEENKUlT_SN_SO_SP_E_clISG_PjSI_PS9_EESM_S12_SN_SO_SP_EUlS12_E1_NS1_11comp_targetILNS1_3genE5ELNS1_11target_archE942ELNS1_3gpuE9ELNS1_3repE0EEENS1_36merge_oddeven_config_static_selectorELNS0_4arch9wavefront6targetE1EEEvSO_ ; -- Begin function _ZN7rocprim17ROCPRIM_400000_NS6detail17trampoline_kernelINS0_14default_configENS1_38merge_sort_block_merge_config_selectorIjN6thrust23THRUST_200600_302600_NS5tupleIffNS6_9null_typeES8_S8_S8_S8_S8_S8_S8_EEEEZZNS1_27merge_sort_block_merge_implIS3_NS6_6detail15normal_iteratorINS6_10device_ptrIjEEEENSD_INSE_IS9_EEEEjNS1_19radix_merge_compareILb0ELb0EjNS0_19identity_decomposerEEEEE10hipError_tT0_T1_T2_jT3_P12ihipStream_tbPNSt15iterator_traitsISN_E10value_typeEPNST_ISO_E10value_typeEPSP_NS1_7vsmem_tEENKUlT_SN_SO_SP_E_clISG_PjSI_PS9_EESM_S12_SN_SO_SP_EUlS12_E1_NS1_11comp_targetILNS1_3genE5ELNS1_11target_archE942ELNS1_3gpuE9ELNS1_3repE0EEENS1_36merge_oddeven_config_static_selectorELNS0_4arch9wavefront6targetE1EEEvSO_
	.globl	_ZN7rocprim17ROCPRIM_400000_NS6detail17trampoline_kernelINS0_14default_configENS1_38merge_sort_block_merge_config_selectorIjN6thrust23THRUST_200600_302600_NS5tupleIffNS6_9null_typeES8_S8_S8_S8_S8_S8_S8_EEEEZZNS1_27merge_sort_block_merge_implIS3_NS6_6detail15normal_iteratorINS6_10device_ptrIjEEEENSD_INSE_IS9_EEEEjNS1_19radix_merge_compareILb0ELb0EjNS0_19identity_decomposerEEEEE10hipError_tT0_T1_T2_jT3_P12ihipStream_tbPNSt15iterator_traitsISN_E10value_typeEPNST_ISO_E10value_typeEPSP_NS1_7vsmem_tEENKUlT_SN_SO_SP_E_clISG_PjSI_PS9_EESM_S12_SN_SO_SP_EUlS12_E1_NS1_11comp_targetILNS1_3genE5ELNS1_11target_archE942ELNS1_3gpuE9ELNS1_3repE0EEENS1_36merge_oddeven_config_static_selectorELNS0_4arch9wavefront6targetE1EEEvSO_
	.p2align	8
	.type	_ZN7rocprim17ROCPRIM_400000_NS6detail17trampoline_kernelINS0_14default_configENS1_38merge_sort_block_merge_config_selectorIjN6thrust23THRUST_200600_302600_NS5tupleIffNS6_9null_typeES8_S8_S8_S8_S8_S8_S8_EEEEZZNS1_27merge_sort_block_merge_implIS3_NS6_6detail15normal_iteratorINS6_10device_ptrIjEEEENSD_INSE_IS9_EEEEjNS1_19radix_merge_compareILb0ELb0EjNS0_19identity_decomposerEEEEE10hipError_tT0_T1_T2_jT3_P12ihipStream_tbPNSt15iterator_traitsISN_E10value_typeEPNST_ISO_E10value_typeEPSP_NS1_7vsmem_tEENKUlT_SN_SO_SP_E_clISG_PjSI_PS9_EESM_S12_SN_SO_SP_EUlS12_E1_NS1_11comp_targetILNS1_3genE5ELNS1_11target_archE942ELNS1_3gpuE9ELNS1_3repE0EEENS1_36merge_oddeven_config_static_selectorELNS0_4arch9wavefront6targetE1EEEvSO_,@function
_ZN7rocprim17ROCPRIM_400000_NS6detail17trampoline_kernelINS0_14default_configENS1_38merge_sort_block_merge_config_selectorIjN6thrust23THRUST_200600_302600_NS5tupleIffNS6_9null_typeES8_S8_S8_S8_S8_S8_S8_EEEEZZNS1_27merge_sort_block_merge_implIS3_NS6_6detail15normal_iteratorINS6_10device_ptrIjEEEENSD_INSE_IS9_EEEEjNS1_19radix_merge_compareILb0ELb0EjNS0_19identity_decomposerEEEEE10hipError_tT0_T1_T2_jT3_P12ihipStream_tbPNSt15iterator_traitsISN_E10value_typeEPNST_ISO_E10value_typeEPSP_NS1_7vsmem_tEENKUlT_SN_SO_SP_E_clISG_PjSI_PS9_EESM_S12_SN_SO_SP_EUlS12_E1_NS1_11comp_targetILNS1_3genE5ELNS1_11target_archE942ELNS1_3gpuE9ELNS1_3repE0EEENS1_36merge_oddeven_config_static_selectorELNS0_4arch9wavefront6targetE1EEEvSO_: ; @_ZN7rocprim17ROCPRIM_400000_NS6detail17trampoline_kernelINS0_14default_configENS1_38merge_sort_block_merge_config_selectorIjN6thrust23THRUST_200600_302600_NS5tupleIffNS6_9null_typeES8_S8_S8_S8_S8_S8_S8_EEEEZZNS1_27merge_sort_block_merge_implIS3_NS6_6detail15normal_iteratorINS6_10device_ptrIjEEEENSD_INSE_IS9_EEEEjNS1_19radix_merge_compareILb0ELb0EjNS0_19identity_decomposerEEEEE10hipError_tT0_T1_T2_jT3_P12ihipStream_tbPNSt15iterator_traitsISN_E10value_typeEPNST_ISO_E10value_typeEPSP_NS1_7vsmem_tEENKUlT_SN_SO_SP_E_clISG_PjSI_PS9_EESM_S12_SN_SO_SP_EUlS12_E1_NS1_11comp_targetILNS1_3genE5ELNS1_11target_archE942ELNS1_3gpuE9ELNS1_3repE0EEENS1_36merge_oddeven_config_static_selectorELNS0_4arch9wavefront6targetE1EEEvSO_
; %bb.0:
	.section	.rodata,"a",@progbits
	.p2align	6, 0x0
	.amdhsa_kernel _ZN7rocprim17ROCPRIM_400000_NS6detail17trampoline_kernelINS0_14default_configENS1_38merge_sort_block_merge_config_selectorIjN6thrust23THRUST_200600_302600_NS5tupleIffNS6_9null_typeES8_S8_S8_S8_S8_S8_S8_EEEEZZNS1_27merge_sort_block_merge_implIS3_NS6_6detail15normal_iteratorINS6_10device_ptrIjEEEENSD_INSE_IS9_EEEEjNS1_19radix_merge_compareILb0ELb0EjNS0_19identity_decomposerEEEEE10hipError_tT0_T1_T2_jT3_P12ihipStream_tbPNSt15iterator_traitsISN_E10value_typeEPNST_ISO_E10value_typeEPSP_NS1_7vsmem_tEENKUlT_SN_SO_SP_E_clISG_PjSI_PS9_EESM_S12_SN_SO_SP_EUlS12_E1_NS1_11comp_targetILNS1_3genE5ELNS1_11target_archE942ELNS1_3gpuE9ELNS1_3repE0EEENS1_36merge_oddeven_config_static_selectorELNS0_4arch9wavefront6targetE1EEEvSO_
		.amdhsa_group_segment_fixed_size 0
		.amdhsa_private_segment_fixed_size 0
		.amdhsa_kernarg_size 48
		.amdhsa_user_sgpr_count 6
		.amdhsa_user_sgpr_private_segment_buffer 1
		.amdhsa_user_sgpr_dispatch_ptr 0
		.amdhsa_user_sgpr_queue_ptr 0
		.amdhsa_user_sgpr_kernarg_segment_ptr 1
		.amdhsa_user_sgpr_dispatch_id 0
		.amdhsa_user_sgpr_flat_scratch_init 0
		.amdhsa_user_sgpr_kernarg_preload_length 0
		.amdhsa_user_sgpr_kernarg_preload_offset 0
		.amdhsa_user_sgpr_private_segment_size 0
		.amdhsa_uses_dynamic_stack 0
		.amdhsa_system_sgpr_private_segment_wavefront_offset 0
		.amdhsa_system_sgpr_workgroup_id_x 1
		.amdhsa_system_sgpr_workgroup_id_y 0
		.amdhsa_system_sgpr_workgroup_id_z 0
		.amdhsa_system_sgpr_workgroup_info 0
		.amdhsa_system_vgpr_workitem_id 0
		.amdhsa_next_free_vgpr 1
		.amdhsa_next_free_sgpr 0
		.amdhsa_accum_offset 4
		.amdhsa_reserve_vcc 0
		.amdhsa_reserve_flat_scratch 0
		.amdhsa_float_round_mode_32 0
		.amdhsa_float_round_mode_16_64 0
		.amdhsa_float_denorm_mode_32 3
		.amdhsa_float_denorm_mode_16_64 3
		.amdhsa_dx10_clamp 1
		.amdhsa_ieee_mode 1
		.amdhsa_fp16_overflow 0
		.amdhsa_tg_split 0
		.amdhsa_exception_fp_ieee_invalid_op 0
		.amdhsa_exception_fp_denorm_src 0
		.amdhsa_exception_fp_ieee_div_zero 0
		.amdhsa_exception_fp_ieee_overflow 0
		.amdhsa_exception_fp_ieee_underflow 0
		.amdhsa_exception_fp_ieee_inexact 0
		.amdhsa_exception_int_div_zero 0
	.end_amdhsa_kernel
	.section	.text._ZN7rocprim17ROCPRIM_400000_NS6detail17trampoline_kernelINS0_14default_configENS1_38merge_sort_block_merge_config_selectorIjN6thrust23THRUST_200600_302600_NS5tupleIffNS6_9null_typeES8_S8_S8_S8_S8_S8_S8_EEEEZZNS1_27merge_sort_block_merge_implIS3_NS6_6detail15normal_iteratorINS6_10device_ptrIjEEEENSD_INSE_IS9_EEEEjNS1_19radix_merge_compareILb0ELb0EjNS0_19identity_decomposerEEEEE10hipError_tT0_T1_T2_jT3_P12ihipStream_tbPNSt15iterator_traitsISN_E10value_typeEPNST_ISO_E10value_typeEPSP_NS1_7vsmem_tEENKUlT_SN_SO_SP_E_clISG_PjSI_PS9_EESM_S12_SN_SO_SP_EUlS12_E1_NS1_11comp_targetILNS1_3genE5ELNS1_11target_archE942ELNS1_3gpuE9ELNS1_3repE0EEENS1_36merge_oddeven_config_static_selectorELNS0_4arch9wavefront6targetE1EEEvSO_,"axG",@progbits,_ZN7rocprim17ROCPRIM_400000_NS6detail17trampoline_kernelINS0_14default_configENS1_38merge_sort_block_merge_config_selectorIjN6thrust23THRUST_200600_302600_NS5tupleIffNS6_9null_typeES8_S8_S8_S8_S8_S8_S8_EEEEZZNS1_27merge_sort_block_merge_implIS3_NS6_6detail15normal_iteratorINS6_10device_ptrIjEEEENSD_INSE_IS9_EEEEjNS1_19radix_merge_compareILb0ELb0EjNS0_19identity_decomposerEEEEE10hipError_tT0_T1_T2_jT3_P12ihipStream_tbPNSt15iterator_traitsISN_E10value_typeEPNST_ISO_E10value_typeEPSP_NS1_7vsmem_tEENKUlT_SN_SO_SP_E_clISG_PjSI_PS9_EESM_S12_SN_SO_SP_EUlS12_E1_NS1_11comp_targetILNS1_3genE5ELNS1_11target_archE942ELNS1_3gpuE9ELNS1_3repE0EEENS1_36merge_oddeven_config_static_selectorELNS0_4arch9wavefront6targetE1EEEvSO_,comdat
.Lfunc_end67:
	.size	_ZN7rocprim17ROCPRIM_400000_NS6detail17trampoline_kernelINS0_14default_configENS1_38merge_sort_block_merge_config_selectorIjN6thrust23THRUST_200600_302600_NS5tupleIffNS6_9null_typeES8_S8_S8_S8_S8_S8_S8_EEEEZZNS1_27merge_sort_block_merge_implIS3_NS6_6detail15normal_iteratorINS6_10device_ptrIjEEEENSD_INSE_IS9_EEEEjNS1_19radix_merge_compareILb0ELb0EjNS0_19identity_decomposerEEEEE10hipError_tT0_T1_T2_jT3_P12ihipStream_tbPNSt15iterator_traitsISN_E10value_typeEPNST_ISO_E10value_typeEPSP_NS1_7vsmem_tEENKUlT_SN_SO_SP_E_clISG_PjSI_PS9_EESM_S12_SN_SO_SP_EUlS12_E1_NS1_11comp_targetILNS1_3genE5ELNS1_11target_archE942ELNS1_3gpuE9ELNS1_3repE0EEENS1_36merge_oddeven_config_static_selectorELNS0_4arch9wavefront6targetE1EEEvSO_, .Lfunc_end67-_ZN7rocprim17ROCPRIM_400000_NS6detail17trampoline_kernelINS0_14default_configENS1_38merge_sort_block_merge_config_selectorIjN6thrust23THRUST_200600_302600_NS5tupleIffNS6_9null_typeES8_S8_S8_S8_S8_S8_S8_EEEEZZNS1_27merge_sort_block_merge_implIS3_NS6_6detail15normal_iteratorINS6_10device_ptrIjEEEENSD_INSE_IS9_EEEEjNS1_19radix_merge_compareILb0ELb0EjNS0_19identity_decomposerEEEEE10hipError_tT0_T1_T2_jT3_P12ihipStream_tbPNSt15iterator_traitsISN_E10value_typeEPNST_ISO_E10value_typeEPSP_NS1_7vsmem_tEENKUlT_SN_SO_SP_E_clISG_PjSI_PS9_EESM_S12_SN_SO_SP_EUlS12_E1_NS1_11comp_targetILNS1_3genE5ELNS1_11target_archE942ELNS1_3gpuE9ELNS1_3repE0EEENS1_36merge_oddeven_config_static_selectorELNS0_4arch9wavefront6targetE1EEEvSO_
                                        ; -- End function
	.section	.AMDGPU.csdata,"",@progbits
; Kernel info:
; codeLenInByte = 0
; NumSgprs: 4
; NumVgprs: 0
; NumAgprs: 0
; TotalNumVgprs: 0
; ScratchSize: 0
; MemoryBound: 0
; FloatMode: 240
; IeeeMode: 1
; LDSByteSize: 0 bytes/workgroup (compile time only)
; SGPRBlocks: 0
; VGPRBlocks: 0
; NumSGPRsForWavesPerEU: 4
; NumVGPRsForWavesPerEU: 1
; AccumOffset: 4
; Occupancy: 8
; WaveLimiterHint : 0
; COMPUTE_PGM_RSRC2:SCRATCH_EN: 0
; COMPUTE_PGM_RSRC2:USER_SGPR: 6
; COMPUTE_PGM_RSRC2:TRAP_HANDLER: 0
; COMPUTE_PGM_RSRC2:TGID_X_EN: 1
; COMPUTE_PGM_RSRC2:TGID_Y_EN: 0
; COMPUTE_PGM_RSRC2:TGID_Z_EN: 0
; COMPUTE_PGM_RSRC2:TIDIG_COMP_CNT: 0
; COMPUTE_PGM_RSRC3_GFX90A:ACCUM_OFFSET: 0
; COMPUTE_PGM_RSRC3_GFX90A:TG_SPLIT: 0
	.section	.text._ZN7rocprim17ROCPRIM_400000_NS6detail17trampoline_kernelINS0_14default_configENS1_38merge_sort_block_merge_config_selectorIjN6thrust23THRUST_200600_302600_NS5tupleIffNS6_9null_typeES8_S8_S8_S8_S8_S8_S8_EEEEZZNS1_27merge_sort_block_merge_implIS3_NS6_6detail15normal_iteratorINS6_10device_ptrIjEEEENSD_INSE_IS9_EEEEjNS1_19radix_merge_compareILb0ELb0EjNS0_19identity_decomposerEEEEE10hipError_tT0_T1_T2_jT3_P12ihipStream_tbPNSt15iterator_traitsISN_E10value_typeEPNST_ISO_E10value_typeEPSP_NS1_7vsmem_tEENKUlT_SN_SO_SP_E_clISG_PjSI_PS9_EESM_S12_SN_SO_SP_EUlS12_E1_NS1_11comp_targetILNS1_3genE4ELNS1_11target_archE910ELNS1_3gpuE8ELNS1_3repE0EEENS1_36merge_oddeven_config_static_selectorELNS0_4arch9wavefront6targetE1EEEvSO_,"axG",@progbits,_ZN7rocprim17ROCPRIM_400000_NS6detail17trampoline_kernelINS0_14default_configENS1_38merge_sort_block_merge_config_selectorIjN6thrust23THRUST_200600_302600_NS5tupleIffNS6_9null_typeES8_S8_S8_S8_S8_S8_S8_EEEEZZNS1_27merge_sort_block_merge_implIS3_NS6_6detail15normal_iteratorINS6_10device_ptrIjEEEENSD_INSE_IS9_EEEEjNS1_19radix_merge_compareILb0ELb0EjNS0_19identity_decomposerEEEEE10hipError_tT0_T1_T2_jT3_P12ihipStream_tbPNSt15iterator_traitsISN_E10value_typeEPNST_ISO_E10value_typeEPSP_NS1_7vsmem_tEENKUlT_SN_SO_SP_E_clISG_PjSI_PS9_EESM_S12_SN_SO_SP_EUlS12_E1_NS1_11comp_targetILNS1_3genE4ELNS1_11target_archE910ELNS1_3gpuE8ELNS1_3repE0EEENS1_36merge_oddeven_config_static_selectorELNS0_4arch9wavefront6targetE1EEEvSO_,comdat
	.protected	_ZN7rocprim17ROCPRIM_400000_NS6detail17trampoline_kernelINS0_14default_configENS1_38merge_sort_block_merge_config_selectorIjN6thrust23THRUST_200600_302600_NS5tupleIffNS6_9null_typeES8_S8_S8_S8_S8_S8_S8_EEEEZZNS1_27merge_sort_block_merge_implIS3_NS6_6detail15normal_iteratorINS6_10device_ptrIjEEEENSD_INSE_IS9_EEEEjNS1_19radix_merge_compareILb0ELb0EjNS0_19identity_decomposerEEEEE10hipError_tT0_T1_T2_jT3_P12ihipStream_tbPNSt15iterator_traitsISN_E10value_typeEPNST_ISO_E10value_typeEPSP_NS1_7vsmem_tEENKUlT_SN_SO_SP_E_clISG_PjSI_PS9_EESM_S12_SN_SO_SP_EUlS12_E1_NS1_11comp_targetILNS1_3genE4ELNS1_11target_archE910ELNS1_3gpuE8ELNS1_3repE0EEENS1_36merge_oddeven_config_static_selectorELNS0_4arch9wavefront6targetE1EEEvSO_ ; -- Begin function _ZN7rocprim17ROCPRIM_400000_NS6detail17trampoline_kernelINS0_14default_configENS1_38merge_sort_block_merge_config_selectorIjN6thrust23THRUST_200600_302600_NS5tupleIffNS6_9null_typeES8_S8_S8_S8_S8_S8_S8_EEEEZZNS1_27merge_sort_block_merge_implIS3_NS6_6detail15normal_iteratorINS6_10device_ptrIjEEEENSD_INSE_IS9_EEEEjNS1_19radix_merge_compareILb0ELb0EjNS0_19identity_decomposerEEEEE10hipError_tT0_T1_T2_jT3_P12ihipStream_tbPNSt15iterator_traitsISN_E10value_typeEPNST_ISO_E10value_typeEPSP_NS1_7vsmem_tEENKUlT_SN_SO_SP_E_clISG_PjSI_PS9_EESM_S12_SN_SO_SP_EUlS12_E1_NS1_11comp_targetILNS1_3genE4ELNS1_11target_archE910ELNS1_3gpuE8ELNS1_3repE0EEENS1_36merge_oddeven_config_static_selectorELNS0_4arch9wavefront6targetE1EEEvSO_
	.globl	_ZN7rocprim17ROCPRIM_400000_NS6detail17trampoline_kernelINS0_14default_configENS1_38merge_sort_block_merge_config_selectorIjN6thrust23THRUST_200600_302600_NS5tupleIffNS6_9null_typeES8_S8_S8_S8_S8_S8_S8_EEEEZZNS1_27merge_sort_block_merge_implIS3_NS6_6detail15normal_iteratorINS6_10device_ptrIjEEEENSD_INSE_IS9_EEEEjNS1_19radix_merge_compareILb0ELb0EjNS0_19identity_decomposerEEEEE10hipError_tT0_T1_T2_jT3_P12ihipStream_tbPNSt15iterator_traitsISN_E10value_typeEPNST_ISO_E10value_typeEPSP_NS1_7vsmem_tEENKUlT_SN_SO_SP_E_clISG_PjSI_PS9_EESM_S12_SN_SO_SP_EUlS12_E1_NS1_11comp_targetILNS1_3genE4ELNS1_11target_archE910ELNS1_3gpuE8ELNS1_3repE0EEENS1_36merge_oddeven_config_static_selectorELNS0_4arch9wavefront6targetE1EEEvSO_
	.p2align	8
	.type	_ZN7rocprim17ROCPRIM_400000_NS6detail17trampoline_kernelINS0_14default_configENS1_38merge_sort_block_merge_config_selectorIjN6thrust23THRUST_200600_302600_NS5tupleIffNS6_9null_typeES8_S8_S8_S8_S8_S8_S8_EEEEZZNS1_27merge_sort_block_merge_implIS3_NS6_6detail15normal_iteratorINS6_10device_ptrIjEEEENSD_INSE_IS9_EEEEjNS1_19radix_merge_compareILb0ELb0EjNS0_19identity_decomposerEEEEE10hipError_tT0_T1_T2_jT3_P12ihipStream_tbPNSt15iterator_traitsISN_E10value_typeEPNST_ISO_E10value_typeEPSP_NS1_7vsmem_tEENKUlT_SN_SO_SP_E_clISG_PjSI_PS9_EESM_S12_SN_SO_SP_EUlS12_E1_NS1_11comp_targetILNS1_3genE4ELNS1_11target_archE910ELNS1_3gpuE8ELNS1_3repE0EEENS1_36merge_oddeven_config_static_selectorELNS0_4arch9wavefront6targetE1EEEvSO_,@function
_ZN7rocprim17ROCPRIM_400000_NS6detail17trampoline_kernelINS0_14default_configENS1_38merge_sort_block_merge_config_selectorIjN6thrust23THRUST_200600_302600_NS5tupleIffNS6_9null_typeES8_S8_S8_S8_S8_S8_S8_EEEEZZNS1_27merge_sort_block_merge_implIS3_NS6_6detail15normal_iteratorINS6_10device_ptrIjEEEENSD_INSE_IS9_EEEEjNS1_19radix_merge_compareILb0ELb0EjNS0_19identity_decomposerEEEEE10hipError_tT0_T1_T2_jT3_P12ihipStream_tbPNSt15iterator_traitsISN_E10value_typeEPNST_ISO_E10value_typeEPSP_NS1_7vsmem_tEENKUlT_SN_SO_SP_E_clISG_PjSI_PS9_EESM_S12_SN_SO_SP_EUlS12_E1_NS1_11comp_targetILNS1_3genE4ELNS1_11target_archE910ELNS1_3gpuE8ELNS1_3repE0EEENS1_36merge_oddeven_config_static_selectorELNS0_4arch9wavefront6targetE1EEEvSO_: ; @_ZN7rocprim17ROCPRIM_400000_NS6detail17trampoline_kernelINS0_14default_configENS1_38merge_sort_block_merge_config_selectorIjN6thrust23THRUST_200600_302600_NS5tupleIffNS6_9null_typeES8_S8_S8_S8_S8_S8_S8_EEEEZZNS1_27merge_sort_block_merge_implIS3_NS6_6detail15normal_iteratorINS6_10device_ptrIjEEEENSD_INSE_IS9_EEEEjNS1_19radix_merge_compareILb0ELb0EjNS0_19identity_decomposerEEEEE10hipError_tT0_T1_T2_jT3_P12ihipStream_tbPNSt15iterator_traitsISN_E10value_typeEPNST_ISO_E10value_typeEPSP_NS1_7vsmem_tEENKUlT_SN_SO_SP_E_clISG_PjSI_PS9_EESM_S12_SN_SO_SP_EUlS12_E1_NS1_11comp_targetILNS1_3genE4ELNS1_11target_archE910ELNS1_3gpuE8ELNS1_3repE0EEENS1_36merge_oddeven_config_static_selectorELNS0_4arch9wavefront6targetE1EEEvSO_
; %bb.0:
	s_load_dword s18, s[4:5], 0x20
	s_lshl_b32 s16, s6, 8
	s_waitcnt lgkmcnt(0)
	s_lshr_b32 s0, s18, 8
	s_cmp_lg_u32 s6, s0
	s_cselect_b64 s[14:15], -1, 0
	s_cmp_eq_u32 s6, s0
	s_cselect_b64 s[12:13], -1, 0
	s_sub_i32 s0, s18, s16
	v_cmp_gt_u32_e64 s[2:3], s0, v0
	s_or_b64 s[0:1], s[14:15], s[2:3]
	s_and_saveexec_b64 s[8:9], s[0:1]
	s_cbranch_execz .LBB68_20
; %bb.1:
	s_load_dwordx4 s[8:11], s[4:5], 0x0
	s_load_dwordx2 s[0:1], s[4:5], 0x10
	s_mov_b32 s17, 0
	s_lshl_b64 s[20:21], s[16:17], 2
	v_lshlrev_b32_e32 v1, 2, v0
	s_waitcnt lgkmcnt(0)
	s_add_u32 s20, s8, s20
	s_addc_u32 s21, s9, s21
	s_lshl_b64 s[22:23], s[16:17], 3
	s_add_u32 s0, s0, s22
	s_addc_u32 s1, s1, s23
	v_lshlrev_b32_e32 v5, 3, v0
	global_load_dword v4, v1, s[20:21]
	global_load_dwordx2 v[2:3], v5, s[0:1]
	s_load_dword s19, s[4:5], 0x24
	v_add_u32_e32 v0, s16, v0
	s_waitcnt lgkmcnt(0)
	s_lshr_b32 s0, s19, 8
	s_sub_i32 s1, 0, s0
	s_and_b32 s1, s6, s1
	s_and_b32 s0, s1, s0
	s_lshl_b32 s20, s1, 8
	s_sub_i32 s17, 0, s19
	s_cmp_eq_u32 s0, 0
	s_cselect_b64 s[0:1], -1, 0
	s_and_b64 s[6:7], s[0:1], exec
	s_cselect_b32 s17, s19, s17
	s_add_i32 s17, s17, s20
	s_cmp_lt_u32 s17, s18
	s_cbranch_scc1 .LBB68_3
; %bb.2:
	v_cmp_gt_u32_e32 vcc, s18, v0
	s_or_b64 s[6:7], vcc, s[14:15]
	s_and_b64 s[6:7], s[6:7], exec
	s_cbranch_execz .LBB68_4
	s_branch .LBB68_18
.LBB68_3:
	s_mov_b64 s[6:7], 0
.LBB68_4:
	s_min_u32 s14, s17, s18
	s_min_u32 s16, s20, s14
	s_add_i32 s20, s20, s14
	s_add_i32 s15, s14, s19
	v_subrev_u32_e32 v0, s20, v0
	s_min_u32 s15, s15, s18
	v_add_u32_e32 v5, s16, v0
	s_and_b64 vcc, exec, s[12:13]
	s_cbranch_vccz .LBB68_12
; %bb.5:
                                        ; implicit-def: $vgpr0
	s_and_saveexec_b64 s[12:13], s[2:3]
	s_cbranch_execz .LBB68_11
; %bb.6:
	s_cmp_ge_u32 s17, s15
	v_mov_b32_e32 v6, s14
	s_cbranch_scc1 .LBB68_10
; %bb.7:
	s_mov_b64 s[2:3], 0
	v_mov_b32_e32 v7, s15
	v_mov_b32_e32 v6, s14
	;; [unrolled: 1-line block ×4, first 2 shown]
.LBB68_8:                               ; =>This Inner Loop Header: Depth=1
	v_add_u32_e32 v0, v6, v7
	v_lshrrev_b32_e32 v0, 1, v0
	v_lshlrev_b64 v[10:11], 2, v[0:1]
	v_add_co_u32_e32 v10, vcc, s8, v10
	v_addc_co_u32_e32 v11, vcc, v8, v11, vcc
	global_load_dword v9, v[10:11], off
	v_add_u32_e32 v10, 1, v0
	s_waitcnt vmcnt(0)
	v_cmp_gt_u32_e32 vcc, v4, v9
	v_cndmask_b32_e64 v11, 0, 1, vcc
	v_cmp_le_u32_e32 vcc, v9, v4
	v_cndmask_b32_e64 v9, 0, 1, vcc
	v_cndmask_b32_e64 v9, v9, v11, s[0:1]
	v_and_b32_e32 v9, 1, v9
	v_cmp_eq_u32_e32 vcc, 1, v9
	v_cndmask_b32_e32 v7, v0, v7, vcc
	v_cndmask_b32_e32 v6, v6, v10, vcc
	v_cmp_ge_u32_e32 vcc, v6, v7
	s_or_b64 s[2:3], vcc, s[2:3]
	s_andn2_b64 exec, exec, s[2:3]
	s_cbranch_execnz .LBB68_8
; %bb.9:
	s_or_b64 exec, exec, s[2:3]
.LBB68_10:
	v_add_u32_e32 v0, v6, v5
	s_or_b64 s[6:7], s[6:7], exec
.LBB68_11:
	s_or_b64 exec, exec, s[12:13]
	s_branch .LBB68_18
.LBB68_12:
                                        ; implicit-def: $vgpr0
	s_cbranch_execz .LBB68_18
; %bb.13:
	s_cmp_ge_u32 s17, s15
	v_mov_b32_e32 v6, s14
	s_cbranch_scc1 .LBB68_17
; %bb.14:
	s_mov_b64 s[2:3], 0
	v_mov_b32_e32 v7, s15
	v_mov_b32_e32 v6, s14
	;; [unrolled: 1-line block ×4, first 2 shown]
.LBB68_15:                              ; =>This Inner Loop Header: Depth=1
	v_add_u32_e32 v0, v6, v7
	v_lshrrev_b32_e32 v0, 1, v0
	v_lshlrev_b64 v[10:11], 2, v[0:1]
	v_add_co_u32_e32 v10, vcc, s8, v10
	v_addc_co_u32_e32 v11, vcc, v8, v11, vcc
	global_load_dword v9, v[10:11], off
	v_add_u32_e32 v10, 1, v0
	s_waitcnt vmcnt(0)
	v_cmp_gt_u32_e32 vcc, v4, v9
	v_cndmask_b32_e64 v11, 0, 1, vcc
	v_cmp_le_u32_e32 vcc, v9, v4
	v_cndmask_b32_e64 v9, 0, 1, vcc
	v_cndmask_b32_e64 v9, v9, v11, s[0:1]
	v_and_b32_e32 v9, 1, v9
	v_cmp_eq_u32_e32 vcc, 1, v9
	v_cndmask_b32_e32 v7, v0, v7, vcc
	v_cndmask_b32_e32 v6, v6, v10, vcc
	v_cmp_ge_u32_e32 vcc, v6, v7
	s_or_b64 s[2:3], vcc, s[2:3]
	s_andn2_b64 exec, exec, s[2:3]
	s_cbranch_execnz .LBB68_15
; %bb.16:
	s_or_b64 exec, exec, s[2:3]
.LBB68_17:
	v_add_u32_e32 v0, v6, v5
	s_mov_b64 s[6:7], -1
.LBB68_18:
	s_and_b64 exec, exec, s[6:7]
	s_cbranch_execz .LBB68_20
; %bb.19:
	s_load_dwordx2 s[0:1], s[4:5], 0x18
	v_mov_b32_e32 v1, 0
	v_lshlrev_b64 v[6:7], 2, v[0:1]
	v_mov_b32_e32 v5, s11
	v_add_co_u32_e32 v6, vcc, s10, v6
	v_addc_co_u32_e32 v7, vcc, v5, v7, vcc
	v_lshlrev_b64 v[0:1], 3, v[0:1]
	s_waitcnt vmcnt(1)
	global_store_dword v[6:7], v4, off
	s_waitcnt lgkmcnt(0)
	v_mov_b32_e32 v4, s1
	v_add_co_u32_e32 v0, vcc, s0, v0
	v_addc_co_u32_e32 v1, vcc, v4, v1, vcc
	s_waitcnt vmcnt(1)
	global_store_dwordx2 v[0:1], v[2:3], off
.LBB68_20:
	s_endpgm
	.section	.rodata,"a",@progbits
	.p2align	6, 0x0
	.amdhsa_kernel _ZN7rocprim17ROCPRIM_400000_NS6detail17trampoline_kernelINS0_14default_configENS1_38merge_sort_block_merge_config_selectorIjN6thrust23THRUST_200600_302600_NS5tupleIffNS6_9null_typeES8_S8_S8_S8_S8_S8_S8_EEEEZZNS1_27merge_sort_block_merge_implIS3_NS6_6detail15normal_iteratorINS6_10device_ptrIjEEEENSD_INSE_IS9_EEEEjNS1_19radix_merge_compareILb0ELb0EjNS0_19identity_decomposerEEEEE10hipError_tT0_T1_T2_jT3_P12ihipStream_tbPNSt15iterator_traitsISN_E10value_typeEPNST_ISO_E10value_typeEPSP_NS1_7vsmem_tEENKUlT_SN_SO_SP_E_clISG_PjSI_PS9_EESM_S12_SN_SO_SP_EUlS12_E1_NS1_11comp_targetILNS1_3genE4ELNS1_11target_archE910ELNS1_3gpuE8ELNS1_3repE0EEENS1_36merge_oddeven_config_static_selectorELNS0_4arch9wavefront6targetE1EEEvSO_
		.amdhsa_group_segment_fixed_size 0
		.amdhsa_private_segment_fixed_size 0
		.amdhsa_kernarg_size 48
		.amdhsa_user_sgpr_count 6
		.amdhsa_user_sgpr_private_segment_buffer 1
		.amdhsa_user_sgpr_dispatch_ptr 0
		.amdhsa_user_sgpr_queue_ptr 0
		.amdhsa_user_sgpr_kernarg_segment_ptr 1
		.amdhsa_user_sgpr_dispatch_id 0
		.amdhsa_user_sgpr_flat_scratch_init 0
		.amdhsa_user_sgpr_kernarg_preload_length 0
		.amdhsa_user_sgpr_kernarg_preload_offset 0
		.amdhsa_user_sgpr_private_segment_size 0
		.amdhsa_uses_dynamic_stack 0
		.amdhsa_system_sgpr_private_segment_wavefront_offset 0
		.amdhsa_system_sgpr_workgroup_id_x 1
		.amdhsa_system_sgpr_workgroup_id_y 0
		.amdhsa_system_sgpr_workgroup_id_z 0
		.amdhsa_system_sgpr_workgroup_info 0
		.amdhsa_system_vgpr_workitem_id 0
		.amdhsa_next_free_vgpr 12
		.amdhsa_next_free_sgpr 24
		.amdhsa_accum_offset 12
		.amdhsa_reserve_vcc 1
		.amdhsa_reserve_flat_scratch 0
		.amdhsa_float_round_mode_32 0
		.amdhsa_float_round_mode_16_64 0
		.amdhsa_float_denorm_mode_32 3
		.amdhsa_float_denorm_mode_16_64 3
		.amdhsa_dx10_clamp 1
		.amdhsa_ieee_mode 1
		.amdhsa_fp16_overflow 0
		.amdhsa_tg_split 0
		.amdhsa_exception_fp_ieee_invalid_op 0
		.amdhsa_exception_fp_denorm_src 0
		.amdhsa_exception_fp_ieee_div_zero 0
		.amdhsa_exception_fp_ieee_overflow 0
		.amdhsa_exception_fp_ieee_underflow 0
		.amdhsa_exception_fp_ieee_inexact 0
		.amdhsa_exception_int_div_zero 0
	.end_amdhsa_kernel
	.section	.text._ZN7rocprim17ROCPRIM_400000_NS6detail17trampoline_kernelINS0_14default_configENS1_38merge_sort_block_merge_config_selectorIjN6thrust23THRUST_200600_302600_NS5tupleIffNS6_9null_typeES8_S8_S8_S8_S8_S8_S8_EEEEZZNS1_27merge_sort_block_merge_implIS3_NS6_6detail15normal_iteratorINS6_10device_ptrIjEEEENSD_INSE_IS9_EEEEjNS1_19radix_merge_compareILb0ELb0EjNS0_19identity_decomposerEEEEE10hipError_tT0_T1_T2_jT3_P12ihipStream_tbPNSt15iterator_traitsISN_E10value_typeEPNST_ISO_E10value_typeEPSP_NS1_7vsmem_tEENKUlT_SN_SO_SP_E_clISG_PjSI_PS9_EESM_S12_SN_SO_SP_EUlS12_E1_NS1_11comp_targetILNS1_3genE4ELNS1_11target_archE910ELNS1_3gpuE8ELNS1_3repE0EEENS1_36merge_oddeven_config_static_selectorELNS0_4arch9wavefront6targetE1EEEvSO_,"axG",@progbits,_ZN7rocprim17ROCPRIM_400000_NS6detail17trampoline_kernelINS0_14default_configENS1_38merge_sort_block_merge_config_selectorIjN6thrust23THRUST_200600_302600_NS5tupleIffNS6_9null_typeES8_S8_S8_S8_S8_S8_S8_EEEEZZNS1_27merge_sort_block_merge_implIS3_NS6_6detail15normal_iteratorINS6_10device_ptrIjEEEENSD_INSE_IS9_EEEEjNS1_19radix_merge_compareILb0ELb0EjNS0_19identity_decomposerEEEEE10hipError_tT0_T1_T2_jT3_P12ihipStream_tbPNSt15iterator_traitsISN_E10value_typeEPNST_ISO_E10value_typeEPSP_NS1_7vsmem_tEENKUlT_SN_SO_SP_E_clISG_PjSI_PS9_EESM_S12_SN_SO_SP_EUlS12_E1_NS1_11comp_targetILNS1_3genE4ELNS1_11target_archE910ELNS1_3gpuE8ELNS1_3repE0EEENS1_36merge_oddeven_config_static_selectorELNS0_4arch9wavefront6targetE1EEEvSO_,comdat
.Lfunc_end68:
	.size	_ZN7rocprim17ROCPRIM_400000_NS6detail17trampoline_kernelINS0_14default_configENS1_38merge_sort_block_merge_config_selectorIjN6thrust23THRUST_200600_302600_NS5tupleIffNS6_9null_typeES8_S8_S8_S8_S8_S8_S8_EEEEZZNS1_27merge_sort_block_merge_implIS3_NS6_6detail15normal_iteratorINS6_10device_ptrIjEEEENSD_INSE_IS9_EEEEjNS1_19radix_merge_compareILb0ELb0EjNS0_19identity_decomposerEEEEE10hipError_tT0_T1_T2_jT3_P12ihipStream_tbPNSt15iterator_traitsISN_E10value_typeEPNST_ISO_E10value_typeEPSP_NS1_7vsmem_tEENKUlT_SN_SO_SP_E_clISG_PjSI_PS9_EESM_S12_SN_SO_SP_EUlS12_E1_NS1_11comp_targetILNS1_3genE4ELNS1_11target_archE910ELNS1_3gpuE8ELNS1_3repE0EEENS1_36merge_oddeven_config_static_selectorELNS0_4arch9wavefront6targetE1EEEvSO_, .Lfunc_end68-_ZN7rocprim17ROCPRIM_400000_NS6detail17trampoline_kernelINS0_14default_configENS1_38merge_sort_block_merge_config_selectorIjN6thrust23THRUST_200600_302600_NS5tupleIffNS6_9null_typeES8_S8_S8_S8_S8_S8_S8_EEEEZZNS1_27merge_sort_block_merge_implIS3_NS6_6detail15normal_iteratorINS6_10device_ptrIjEEEENSD_INSE_IS9_EEEEjNS1_19radix_merge_compareILb0ELb0EjNS0_19identity_decomposerEEEEE10hipError_tT0_T1_T2_jT3_P12ihipStream_tbPNSt15iterator_traitsISN_E10value_typeEPNST_ISO_E10value_typeEPSP_NS1_7vsmem_tEENKUlT_SN_SO_SP_E_clISG_PjSI_PS9_EESM_S12_SN_SO_SP_EUlS12_E1_NS1_11comp_targetILNS1_3genE4ELNS1_11target_archE910ELNS1_3gpuE8ELNS1_3repE0EEENS1_36merge_oddeven_config_static_selectorELNS0_4arch9wavefront6targetE1EEEvSO_
                                        ; -- End function
	.section	.AMDGPU.csdata,"",@progbits
; Kernel info:
; codeLenInByte = 668
; NumSgprs: 28
; NumVgprs: 12
; NumAgprs: 0
; TotalNumVgprs: 12
; ScratchSize: 0
; MemoryBound: 0
; FloatMode: 240
; IeeeMode: 1
; LDSByteSize: 0 bytes/workgroup (compile time only)
; SGPRBlocks: 3
; VGPRBlocks: 1
; NumSGPRsForWavesPerEU: 28
; NumVGPRsForWavesPerEU: 12
; AccumOffset: 12
; Occupancy: 8
; WaveLimiterHint : 0
; COMPUTE_PGM_RSRC2:SCRATCH_EN: 0
; COMPUTE_PGM_RSRC2:USER_SGPR: 6
; COMPUTE_PGM_RSRC2:TRAP_HANDLER: 0
; COMPUTE_PGM_RSRC2:TGID_X_EN: 1
; COMPUTE_PGM_RSRC2:TGID_Y_EN: 0
; COMPUTE_PGM_RSRC2:TGID_Z_EN: 0
; COMPUTE_PGM_RSRC2:TIDIG_COMP_CNT: 0
; COMPUTE_PGM_RSRC3_GFX90A:ACCUM_OFFSET: 2
; COMPUTE_PGM_RSRC3_GFX90A:TG_SPLIT: 0
	.section	.text._ZN7rocprim17ROCPRIM_400000_NS6detail17trampoline_kernelINS0_14default_configENS1_38merge_sort_block_merge_config_selectorIjN6thrust23THRUST_200600_302600_NS5tupleIffNS6_9null_typeES8_S8_S8_S8_S8_S8_S8_EEEEZZNS1_27merge_sort_block_merge_implIS3_NS6_6detail15normal_iteratorINS6_10device_ptrIjEEEENSD_INSE_IS9_EEEEjNS1_19radix_merge_compareILb0ELb0EjNS0_19identity_decomposerEEEEE10hipError_tT0_T1_T2_jT3_P12ihipStream_tbPNSt15iterator_traitsISN_E10value_typeEPNST_ISO_E10value_typeEPSP_NS1_7vsmem_tEENKUlT_SN_SO_SP_E_clISG_PjSI_PS9_EESM_S12_SN_SO_SP_EUlS12_E1_NS1_11comp_targetILNS1_3genE3ELNS1_11target_archE908ELNS1_3gpuE7ELNS1_3repE0EEENS1_36merge_oddeven_config_static_selectorELNS0_4arch9wavefront6targetE1EEEvSO_,"axG",@progbits,_ZN7rocprim17ROCPRIM_400000_NS6detail17trampoline_kernelINS0_14default_configENS1_38merge_sort_block_merge_config_selectorIjN6thrust23THRUST_200600_302600_NS5tupleIffNS6_9null_typeES8_S8_S8_S8_S8_S8_S8_EEEEZZNS1_27merge_sort_block_merge_implIS3_NS6_6detail15normal_iteratorINS6_10device_ptrIjEEEENSD_INSE_IS9_EEEEjNS1_19radix_merge_compareILb0ELb0EjNS0_19identity_decomposerEEEEE10hipError_tT0_T1_T2_jT3_P12ihipStream_tbPNSt15iterator_traitsISN_E10value_typeEPNST_ISO_E10value_typeEPSP_NS1_7vsmem_tEENKUlT_SN_SO_SP_E_clISG_PjSI_PS9_EESM_S12_SN_SO_SP_EUlS12_E1_NS1_11comp_targetILNS1_3genE3ELNS1_11target_archE908ELNS1_3gpuE7ELNS1_3repE0EEENS1_36merge_oddeven_config_static_selectorELNS0_4arch9wavefront6targetE1EEEvSO_,comdat
	.protected	_ZN7rocprim17ROCPRIM_400000_NS6detail17trampoline_kernelINS0_14default_configENS1_38merge_sort_block_merge_config_selectorIjN6thrust23THRUST_200600_302600_NS5tupleIffNS6_9null_typeES8_S8_S8_S8_S8_S8_S8_EEEEZZNS1_27merge_sort_block_merge_implIS3_NS6_6detail15normal_iteratorINS6_10device_ptrIjEEEENSD_INSE_IS9_EEEEjNS1_19radix_merge_compareILb0ELb0EjNS0_19identity_decomposerEEEEE10hipError_tT0_T1_T2_jT3_P12ihipStream_tbPNSt15iterator_traitsISN_E10value_typeEPNST_ISO_E10value_typeEPSP_NS1_7vsmem_tEENKUlT_SN_SO_SP_E_clISG_PjSI_PS9_EESM_S12_SN_SO_SP_EUlS12_E1_NS1_11comp_targetILNS1_3genE3ELNS1_11target_archE908ELNS1_3gpuE7ELNS1_3repE0EEENS1_36merge_oddeven_config_static_selectorELNS0_4arch9wavefront6targetE1EEEvSO_ ; -- Begin function _ZN7rocprim17ROCPRIM_400000_NS6detail17trampoline_kernelINS0_14default_configENS1_38merge_sort_block_merge_config_selectorIjN6thrust23THRUST_200600_302600_NS5tupleIffNS6_9null_typeES8_S8_S8_S8_S8_S8_S8_EEEEZZNS1_27merge_sort_block_merge_implIS3_NS6_6detail15normal_iteratorINS6_10device_ptrIjEEEENSD_INSE_IS9_EEEEjNS1_19radix_merge_compareILb0ELb0EjNS0_19identity_decomposerEEEEE10hipError_tT0_T1_T2_jT3_P12ihipStream_tbPNSt15iterator_traitsISN_E10value_typeEPNST_ISO_E10value_typeEPSP_NS1_7vsmem_tEENKUlT_SN_SO_SP_E_clISG_PjSI_PS9_EESM_S12_SN_SO_SP_EUlS12_E1_NS1_11comp_targetILNS1_3genE3ELNS1_11target_archE908ELNS1_3gpuE7ELNS1_3repE0EEENS1_36merge_oddeven_config_static_selectorELNS0_4arch9wavefront6targetE1EEEvSO_
	.globl	_ZN7rocprim17ROCPRIM_400000_NS6detail17trampoline_kernelINS0_14default_configENS1_38merge_sort_block_merge_config_selectorIjN6thrust23THRUST_200600_302600_NS5tupleIffNS6_9null_typeES8_S8_S8_S8_S8_S8_S8_EEEEZZNS1_27merge_sort_block_merge_implIS3_NS6_6detail15normal_iteratorINS6_10device_ptrIjEEEENSD_INSE_IS9_EEEEjNS1_19radix_merge_compareILb0ELb0EjNS0_19identity_decomposerEEEEE10hipError_tT0_T1_T2_jT3_P12ihipStream_tbPNSt15iterator_traitsISN_E10value_typeEPNST_ISO_E10value_typeEPSP_NS1_7vsmem_tEENKUlT_SN_SO_SP_E_clISG_PjSI_PS9_EESM_S12_SN_SO_SP_EUlS12_E1_NS1_11comp_targetILNS1_3genE3ELNS1_11target_archE908ELNS1_3gpuE7ELNS1_3repE0EEENS1_36merge_oddeven_config_static_selectorELNS0_4arch9wavefront6targetE1EEEvSO_
	.p2align	8
	.type	_ZN7rocprim17ROCPRIM_400000_NS6detail17trampoline_kernelINS0_14default_configENS1_38merge_sort_block_merge_config_selectorIjN6thrust23THRUST_200600_302600_NS5tupleIffNS6_9null_typeES8_S8_S8_S8_S8_S8_S8_EEEEZZNS1_27merge_sort_block_merge_implIS3_NS6_6detail15normal_iteratorINS6_10device_ptrIjEEEENSD_INSE_IS9_EEEEjNS1_19radix_merge_compareILb0ELb0EjNS0_19identity_decomposerEEEEE10hipError_tT0_T1_T2_jT3_P12ihipStream_tbPNSt15iterator_traitsISN_E10value_typeEPNST_ISO_E10value_typeEPSP_NS1_7vsmem_tEENKUlT_SN_SO_SP_E_clISG_PjSI_PS9_EESM_S12_SN_SO_SP_EUlS12_E1_NS1_11comp_targetILNS1_3genE3ELNS1_11target_archE908ELNS1_3gpuE7ELNS1_3repE0EEENS1_36merge_oddeven_config_static_selectorELNS0_4arch9wavefront6targetE1EEEvSO_,@function
_ZN7rocprim17ROCPRIM_400000_NS6detail17trampoline_kernelINS0_14default_configENS1_38merge_sort_block_merge_config_selectorIjN6thrust23THRUST_200600_302600_NS5tupleIffNS6_9null_typeES8_S8_S8_S8_S8_S8_S8_EEEEZZNS1_27merge_sort_block_merge_implIS3_NS6_6detail15normal_iteratorINS6_10device_ptrIjEEEENSD_INSE_IS9_EEEEjNS1_19radix_merge_compareILb0ELb0EjNS0_19identity_decomposerEEEEE10hipError_tT0_T1_T2_jT3_P12ihipStream_tbPNSt15iterator_traitsISN_E10value_typeEPNST_ISO_E10value_typeEPSP_NS1_7vsmem_tEENKUlT_SN_SO_SP_E_clISG_PjSI_PS9_EESM_S12_SN_SO_SP_EUlS12_E1_NS1_11comp_targetILNS1_3genE3ELNS1_11target_archE908ELNS1_3gpuE7ELNS1_3repE0EEENS1_36merge_oddeven_config_static_selectorELNS0_4arch9wavefront6targetE1EEEvSO_: ; @_ZN7rocprim17ROCPRIM_400000_NS6detail17trampoline_kernelINS0_14default_configENS1_38merge_sort_block_merge_config_selectorIjN6thrust23THRUST_200600_302600_NS5tupleIffNS6_9null_typeES8_S8_S8_S8_S8_S8_S8_EEEEZZNS1_27merge_sort_block_merge_implIS3_NS6_6detail15normal_iteratorINS6_10device_ptrIjEEEENSD_INSE_IS9_EEEEjNS1_19radix_merge_compareILb0ELb0EjNS0_19identity_decomposerEEEEE10hipError_tT0_T1_T2_jT3_P12ihipStream_tbPNSt15iterator_traitsISN_E10value_typeEPNST_ISO_E10value_typeEPSP_NS1_7vsmem_tEENKUlT_SN_SO_SP_E_clISG_PjSI_PS9_EESM_S12_SN_SO_SP_EUlS12_E1_NS1_11comp_targetILNS1_3genE3ELNS1_11target_archE908ELNS1_3gpuE7ELNS1_3repE0EEENS1_36merge_oddeven_config_static_selectorELNS0_4arch9wavefront6targetE1EEEvSO_
; %bb.0:
	.section	.rodata,"a",@progbits
	.p2align	6, 0x0
	.amdhsa_kernel _ZN7rocprim17ROCPRIM_400000_NS6detail17trampoline_kernelINS0_14default_configENS1_38merge_sort_block_merge_config_selectorIjN6thrust23THRUST_200600_302600_NS5tupleIffNS6_9null_typeES8_S8_S8_S8_S8_S8_S8_EEEEZZNS1_27merge_sort_block_merge_implIS3_NS6_6detail15normal_iteratorINS6_10device_ptrIjEEEENSD_INSE_IS9_EEEEjNS1_19radix_merge_compareILb0ELb0EjNS0_19identity_decomposerEEEEE10hipError_tT0_T1_T2_jT3_P12ihipStream_tbPNSt15iterator_traitsISN_E10value_typeEPNST_ISO_E10value_typeEPSP_NS1_7vsmem_tEENKUlT_SN_SO_SP_E_clISG_PjSI_PS9_EESM_S12_SN_SO_SP_EUlS12_E1_NS1_11comp_targetILNS1_3genE3ELNS1_11target_archE908ELNS1_3gpuE7ELNS1_3repE0EEENS1_36merge_oddeven_config_static_selectorELNS0_4arch9wavefront6targetE1EEEvSO_
		.amdhsa_group_segment_fixed_size 0
		.amdhsa_private_segment_fixed_size 0
		.amdhsa_kernarg_size 48
		.amdhsa_user_sgpr_count 6
		.amdhsa_user_sgpr_private_segment_buffer 1
		.amdhsa_user_sgpr_dispatch_ptr 0
		.amdhsa_user_sgpr_queue_ptr 0
		.amdhsa_user_sgpr_kernarg_segment_ptr 1
		.amdhsa_user_sgpr_dispatch_id 0
		.amdhsa_user_sgpr_flat_scratch_init 0
		.amdhsa_user_sgpr_kernarg_preload_length 0
		.amdhsa_user_sgpr_kernarg_preload_offset 0
		.amdhsa_user_sgpr_private_segment_size 0
		.amdhsa_uses_dynamic_stack 0
		.amdhsa_system_sgpr_private_segment_wavefront_offset 0
		.amdhsa_system_sgpr_workgroup_id_x 1
		.amdhsa_system_sgpr_workgroup_id_y 0
		.amdhsa_system_sgpr_workgroup_id_z 0
		.amdhsa_system_sgpr_workgroup_info 0
		.amdhsa_system_vgpr_workitem_id 0
		.amdhsa_next_free_vgpr 1
		.amdhsa_next_free_sgpr 0
		.amdhsa_accum_offset 4
		.amdhsa_reserve_vcc 0
		.amdhsa_reserve_flat_scratch 0
		.amdhsa_float_round_mode_32 0
		.amdhsa_float_round_mode_16_64 0
		.amdhsa_float_denorm_mode_32 3
		.amdhsa_float_denorm_mode_16_64 3
		.amdhsa_dx10_clamp 1
		.amdhsa_ieee_mode 1
		.amdhsa_fp16_overflow 0
		.amdhsa_tg_split 0
		.amdhsa_exception_fp_ieee_invalid_op 0
		.amdhsa_exception_fp_denorm_src 0
		.amdhsa_exception_fp_ieee_div_zero 0
		.amdhsa_exception_fp_ieee_overflow 0
		.amdhsa_exception_fp_ieee_underflow 0
		.amdhsa_exception_fp_ieee_inexact 0
		.amdhsa_exception_int_div_zero 0
	.end_amdhsa_kernel
	.section	.text._ZN7rocprim17ROCPRIM_400000_NS6detail17trampoline_kernelINS0_14default_configENS1_38merge_sort_block_merge_config_selectorIjN6thrust23THRUST_200600_302600_NS5tupleIffNS6_9null_typeES8_S8_S8_S8_S8_S8_S8_EEEEZZNS1_27merge_sort_block_merge_implIS3_NS6_6detail15normal_iteratorINS6_10device_ptrIjEEEENSD_INSE_IS9_EEEEjNS1_19radix_merge_compareILb0ELb0EjNS0_19identity_decomposerEEEEE10hipError_tT0_T1_T2_jT3_P12ihipStream_tbPNSt15iterator_traitsISN_E10value_typeEPNST_ISO_E10value_typeEPSP_NS1_7vsmem_tEENKUlT_SN_SO_SP_E_clISG_PjSI_PS9_EESM_S12_SN_SO_SP_EUlS12_E1_NS1_11comp_targetILNS1_3genE3ELNS1_11target_archE908ELNS1_3gpuE7ELNS1_3repE0EEENS1_36merge_oddeven_config_static_selectorELNS0_4arch9wavefront6targetE1EEEvSO_,"axG",@progbits,_ZN7rocprim17ROCPRIM_400000_NS6detail17trampoline_kernelINS0_14default_configENS1_38merge_sort_block_merge_config_selectorIjN6thrust23THRUST_200600_302600_NS5tupleIffNS6_9null_typeES8_S8_S8_S8_S8_S8_S8_EEEEZZNS1_27merge_sort_block_merge_implIS3_NS6_6detail15normal_iteratorINS6_10device_ptrIjEEEENSD_INSE_IS9_EEEEjNS1_19radix_merge_compareILb0ELb0EjNS0_19identity_decomposerEEEEE10hipError_tT0_T1_T2_jT3_P12ihipStream_tbPNSt15iterator_traitsISN_E10value_typeEPNST_ISO_E10value_typeEPSP_NS1_7vsmem_tEENKUlT_SN_SO_SP_E_clISG_PjSI_PS9_EESM_S12_SN_SO_SP_EUlS12_E1_NS1_11comp_targetILNS1_3genE3ELNS1_11target_archE908ELNS1_3gpuE7ELNS1_3repE0EEENS1_36merge_oddeven_config_static_selectorELNS0_4arch9wavefront6targetE1EEEvSO_,comdat
.Lfunc_end69:
	.size	_ZN7rocprim17ROCPRIM_400000_NS6detail17trampoline_kernelINS0_14default_configENS1_38merge_sort_block_merge_config_selectorIjN6thrust23THRUST_200600_302600_NS5tupleIffNS6_9null_typeES8_S8_S8_S8_S8_S8_S8_EEEEZZNS1_27merge_sort_block_merge_implIS3_NS6_6detail15normal_iteratorINS6_10device_ptrIjEEEENSD_INSE_IS9_EEEEjNS1_19radix_merge_compareILb0ELb0EjNS0_19identity_decomposerEEEEE10hipError_tT0_T1_T2_jT3_P12ihipStream_tbPNSt15iterator_traitsISN_E10value_typeEPNST_ISO_E10value_typeEPSP_NS1_7vsmem_tEENKUlT_SN_SO_SP_E_clISG_PjSI_PS9_EESM_S12_SN_SO_SP_EUlS12_E1_NS1_11comp_targetILNS1_3genE3ELNS1_11target_archE908ELNS1_3gpuE7ELNS1_3repE0EEENS1_36merge_oddeven_config_static_selectorELNS0_4arch9wavefront6targetE1EEEvSO_, .Lfunc_end69-_ZN7rocprim17ROCPRIM_400000_NS6detail17trampoline_kernelINS0_14default_configENS1_38merge_sort_block_merge_config_selectorIjN6thrust23THRUST_200600_302600_NS5tupleIffNS6_9null_typeES8_S8_S8_S8_S8_S8_S8_EEEEZZNS1_27merge_sort_block_merge_implIS3_NS6_6detail15normal_iteratorINS6_10device_ptrIjEEEENSD_INSE_IS9_EEEEjNS1_19radix_merge_compareILb0ELb0EjNS0_19identity_decomposerEEEEE10hipError_tT0_T1_T2_jT3_P12ihipStream_tbPNSt15iterator_traitsISN_E10value_typeEPNST_ISO_E10value_typeEPSP_NS1_7vsmem_tEENKUlT_SN_SO_SP_E_clISG_PjSI_PS9_EESM_S12_SN_SO_SP_EUlS12_E1_NS1_11comp_targetILNS1_3genE3ELNS1_11target_archE908ELNS1_3gpuE7ELNS1_3repE0EEENS1_36merge_oddeven_config_static_selectorELNS0_4arch9wavefront6targetE1EEEvSO_
                                        ; -- End function
	.section	.AMDGPU.csdata,"",@progbits
; Kernel info:
; codeLenInByte = 0
; NumSgprs: 4
; NumVgprs: 0
; NumAgprs: 0
; TotalNumVgprs: 0
; ScratchSize: 0
; MemoryBound: 0
; FloatMode: 240
; IeeeMode: 1
; LDSByteSize: 0 bytes/workgroup (compile time only)
; SGPRBlocks: 0
; VGPRBlocks: 0
; NumSGPRsForWavesPerEU: 4
; NumVGPRsForWavesPerEU: 1
; AccumOffset: 4
; Occupancy: 8
; WaveLimiterHint : 0
; COMPUTE_PGM_RSRC2:SCRATCH_EN: 0
; COMPUTE_PGM_RSRC2:USER_SGPR: 6
; COMPUTE_PGM_RSRC2:TRAP_HANDLER: 0
; COMPUTE_PGM_RSRC2:TGID_X_EN: 1
; COMPUTE_PGM_RSRC2:TGID_Y_EN: 0
; COMPUTE_PGM_RSRC2:TGID_Z_EN: 0
; COMPUTE_PGM_RSRC2:TIDIG_COMP_CNT: 0
; COMPUTE_PGM_RSRC3_GFX90A:ACCUM_OFFSET: 0
; COMPUTE_PGM_RSRC3_GFX90A:TG_SPLIT: 0
	.section	.text._ZN7rocprim17ROCPRIM_400000_NS6detail17trampoline_kernelINS0_14default_configENS1_38merge_sort_block_merge_config_selectorIjN6thrust23THRUST_200600_302600_NS5tupleIffNS6_9null_typeES8_S8_S8_S8_S8_S8_S8_EEEEZZNS1_27merge_sort_block_merge_implIS3_NS6_6detail15normal_iteratorINS6_10device_ptrIjEEEENSD_INSE_IS9_EEEEjNS1_19radix_merge_compareILb0ELb0EjNS0_19identity_decomposerEEEEE10hipError_tT0_T1_T2_jT3_P12ihipStream_tbPNSt15iterator_traitsISN_E10value_typeEPNST_ISO_E10value_typeEPSP_NS1_7vsmem_tEENKUlT_SN_SO_SP_E_clISG_PjSI_PS9_EESM_S12_SN_SO_SP_EUlS12_E1_NS1_11comp_targetILNS1_3genE2ELNS1_11target_archE906ELNS1_3gpuE6ELNS1_3repE0EEENS1_36merge_oddeven_config_static_selectorELNS0_4arch9wavefront6targetE1EEEvSO_,"axG",@progbits,_ZN7rocprim17ROCPRIM_400000_NS6detail17trampoline_kernelINS0_14default_configENS1_38merge_sort_block_merge_config_selectorIjN6thrust23THRUST_200600_302600_NS5tupleIffNS6_9null_typeES8_S8_S8_S8_S8_S8_S8_EEEEZZNS1_27merge_sort_block_merge_implIS3_NS6_6detail15normal_iteratorINS6_10device_ptrIjEEEENSD_INSE_IS9_EEEEjNS1_19radix_merge_compareILb0ELb0EjNS0_19identity_decomposerEEEEE10hipError_tT0_T1_T2_jT3_P12ihipStream_tbPNSt15iterator_traitsISN_E10value_typeEPNST_ISO_E10value_typeEPSP_NS1_7vsmem_tEENKUlT_SN_SO_SP_E_clISG_PjSI_PS9_EESM_S12_SN_SO_SP_EUlS12_E1_NS1_11comp_targetILNS1_3genE2ELNS1_11target_archE906ELNS1_3gpuE6ELNS1_3repE0EEENS1_36merge_oddeven_config_static_selectorELNS0_4arch9wavefront6targetE1EEEvSO_,comdat
	.protected	_ZN7rocprim17ROCPRIM_400000_NS6detail17trampoline_kernelINS0_14default_configENS1_38merge_sort_block_merge_config_selectorIjN6thrust23THRUST_200600_302600_NS5tupleIffNS6_9null_typeES8_S8_S8_S8_S8_S8_S8_EEEEZZNS1_27merge_sort_block_merge_implIS3_NS6_6detail15normal_iteratorINS6_10device_ptrIjEEEENSD_INSE_IS9_EEEEjNS1_19radix_merge_compareILb0ELb0EjNS0_19identity_decomposerEEEEE10hipError_tT0_T1_T2_jT3_P12ihipStream_tbPNSt15iterator_traitsISN_E10value_typeEPNST_ISO_E10value_typeEPSP_NS1_7vsmem_tEENKUlT_SN_SO_SP_E_clISG_PjSI_PS9_EESM_S12_SN_SO_SP_EUlS12_E1_NS1_11comp_targetILNS1_3genE2ELNS1_11target_archE906ELNS1_3gpuE6ELNS1_3repE0EEENS1_36merge_oddeven_config_static_selectorELNS0_4arch9wavefront6targetE1EEEvSO_ ; -- Begin function _ZN7rocprim17ROCPRIM_400000_NS6detail17trampoline_kernelINS0_14default_configENS1_38merge_sort_block_merge_config_selectorIjN6thrust23THRUST_200600_302600_NS5tupleIffNS6_9null_typeES8_S8_S8_S8_S8_S8_S8_EEEEZZNS1_27merge_sort_block_merge_implIS3_NS6_6detail15normal_iteratorINS6_10device_ptrIjEEEENSD_INSE_IS9_EEEEjNS1_19radix_merge_compareILb0ELb0EjNS0_19identity_decomposerEEEEE10hipError_tT0_T1_T2_jT3_P12ihipStream_tbPNSt15iterator_traitsISN_E10value_typeEPNST_ISO_E10value_typeEPSP_NS1_7vsmem_tEENKUlT_SN_SO_SP_E_clISG_PjSI_PS9_EESM_S12_SN_SO_SP_EUlS12_E1_NS1_11comp_targetILNS1_3genE2ELNS1_11target_archE906ELNS1_3gpuE6ELNS1_3repE0EEENS1_36merge_oddeven_config_static_selectorELNS0_4arch9wavefront6targetE1EEEvSO_
	.globl	_ZN7rocprim17ROCPRIM_400000_NS6detail17trampoline_kernelINS0_14default_configENS1_38merge_sort_block_merge_config_selectorIjN6thrust23THRUST_200600_302600_NS5tupleIffNS6_9null_typeES8_S8_S8_S8_S8_S8_S8_EEEEZZNS1_27merge_sort_block_merge_implIS3_NS6_6detail15normal_iteratorINS6_10device_ptrIjEEEENSD_INSE_IS9_EEEEjNS1_19radix_merge_compareILb0ELb0EjNS0_19identity_decomposerEEEEE10hipError_tT0_T1_T2_jT3_P12ihipStream_tbPNSt15iterator_traitsISN_E10value_typeEPNST_ISO_E10value_typeEPSP_NS1_7vsmem_tEENKUlT_SN_SO_SP_E_clISG_PjSI_PS9_EESM_S12_SN_SO_SP_EUlS12_E1_NS1_11comp_targetILNS1_3genE2ELNS1_11target_archE906ELNS1_3gpuE6ELNS1_3repE0EEENS1_36merge_oddeven_config_static_selectorELNS0_4arch9wavefront6targetE1EEEvSO_
	.p2align	8
	.type	_ZN7rocprim17ROCPRIM_400000_NS6detail17trampoline_kernelINS0_14default_configENS1_38merge_sort_block_merge_config_selectorIjN6thrust23THRUST_200600_302600_NS5tupleIffNS6_9null_typeES8_S8_S8_S8_S8_S8_S8_EEEEZZNS1_27merge_sort_block_merge_implIS3_NS6_6detail15normal_iteratorINS6_10device_ptrIjEEEENSD_INSE_IS9_EEEEjNS1_19radix_merge_compareILb0ELb0EjNS0_19identity_decomposerEEEEE10hipError_tT0_T1_T2_jT3_P12ihipStream_tbPNSt15iterator_traitsISN_E10value_typeEPNST_ISO_E10value_typeEPSP_NS1_7vsmem_tEENKUlT_SN_SO_SP_E_clISG_PjSI_PS9_EESM_S12_SN_SO_SP_EUlS12_E1_NS1_11comp_targetILNS1_3genE2ELNS1_11target_archE906ELNS1_3gpuE6ELNS1_3repE0EEENS1_36merge_oddeven_config_static_selectorELNS0_4arch9wavefront6targetE1EEEvSO_,@function
_ZN7rocprim17ROCPRIM_400000_NS6detail17trampoline_kernelINS0_14default_configENS1_38merge_sort_block_merge_config_selectorIjN6thrust23THRUST_200600_302600_NS5tupleIffNS6_9null_typeES8_S8_S8_S8_S8_S8_S8_EEEEZZNS1_27merge_sort_block_merge_implIS3_NS6_6detail15normal_iteratorINS6_10device_ptrIjEEEENSD_INSE_IS9_EEEEjNS1_19radix_merge_compareILb0ELb0EjNS0_19identity_decomposerEEEEE10hipError_tT0_T1_T2_jT3_P12ihipStream_tbPNSt15iterator_traitsISN_E10value_typeEPNST_ISO_E10value_typeEPSP_NS1_7vsmem_tEENKUlT_SN_SO_SP_E_clISG_PjSI_PS9_EESM_S12_SN_SO_SP_EUlS12_E1_NS1_11comp_targetILNS1_3genE2ELNS1_11target_archE906ELNS1_3gpuE6ELNS1_3repE0EEENS1_36merge_oddeven_config_static_selectorELNS0_4arch9wavefront6targetE1EEEvSO_: ; @_ZN7rocprim17ROCPRIM_400000_NS6detail17trampoline_kernelINS0_14default_configENS1_38merge_sort_block_merge_config_selectorIjN6thrust23THRUST_200600_302600_NS5tupleIffNS6_9null_typeES8_S8_S8_S8_S8_S8_S8_EEEEZZNS1_27merge_sort_block_merge_implIS3_NS6_6detail15normal_iteratorINS6_10device_ptrIjEEEENSD_INSE_IS9_EEEEjNS1_19radix_merge_compareILb0ELb0EjNS0_19identity_decomposerEEEEE10hipError_tT0_T1_T2_jT3_P12ihipStream_tbPNSt15iterator_traitsISN_E10value_typeEPNST_ISO_E10value_typeEPSP_NS1_7vsmem_tEENKUlT_SN_SO_SP_E_clISG_PjSI_PS9_EESM_S12_SN_SO_SP_EUlS12_E1_NS1_11comp_targetILNS1_3genE2ELNS1_11target_archE906ELNS1_3gpuE6ELNS1_3repE0EEENS1_36merge_oddeven_config_static_selectorELNS0_4arch9wavefront6targetE1EEEvSO_
; %bb.0:
	.section	.rodata,"a",@progbits
	.p2align	6, 0x0
	.amdhsa_kernel _ZN7rocprim17ROCPRIM_400000_NS6detail17trampoline_kernelINS0_14default_configENS1_38merge_sort_block_merge_config_selectorIjN6thrust23THRUST_200600_302600_NS5tupleIffNS6_9null_typeES8_S8_S8_S8_S8_S8_S8_EEEEZZNS1_27merge_sort_block_merge_implIS3_NS6_6detail15normal_iteratorINS6_10device_ptrIjEEEENSD_INSE_IS9_EEEEjNS1_19radix_merge_compareILb0ELb0EjNS0_19identity_decomposerEEEEE10hipError_tT0_T1_T2_jT3_P12ihipStream_tbPNSt15iterator_traitsISN_E10value_typeEPNST_ISO_E10value_typeEPSP_NS1_7vsmem_tEENKUlT_SN_SO_SP_E_clISG_PjSI_PS9_EESM_S12_SN_SO_SP_EUlS12_E1_NS1_11comp_targetILNS1_3genE2ELNS1_11target_archE906ELNS1_3gpuE6ELNS1_3repE0EEENS1_36merge_oddeven_config_static_selectorELNS0_4arch9wavefront6targetE1EEEvSO_
		.amdhsa_group_segment_fixed_size 0
		.amdhsa_private_segment_fixed_size 0
		.amdhsa_kernarg_size 48
		.amdhsa_user_sgpr_count 6
		.amdhsa_user_sgpr_private_segment_buffer 1
		.amdhsa_user_sgpr_dispatch_ptr 0
		.amdhsa_user_sgpr_queue_ptr 0
		.amdhsa_user_sgpr_kernarg_segment_ptr 1
		.amdhsa_user_sgpr_dispatch_id 0
		.amdhsa_user_sgpr_flat_scratch_init 0
		.amdhsa_user_sgpr_kernarg_preload_length 0
		.amdhsa_user_sgpr_kernarg_preload_offset 0
		.amdhsa_user_sgpr_private_segment_size 0
		.amdhsa_uses_dynamic_stack 0
		.amdhsa_system_sgpr_private_segment_wavefront_offset 0
		.amdhsa_system_sgpr_workgroup_id_x 1
		.amdhsa_system_sgpr_workgroup_id_y 0
		.amdhsa_system_sgpr_workgroup_id_z 0
		.amdhsa_system_sgpr_workgroup_info 0
		.amdhsa_system_vgpr_workitem_id 0
		.amdhsa_next_free_vgpr 1
		.amdhsa_next_free_sgpr 0
		.amdhsa_accum_offset 4
		.amdhsa_reserve_vcc 0
		.amdhsa_reserve_flat_scratch 0
		.amdhsa_float_round_mode_32 0
		.amdhsa_float_round_mode_16_64 0
		.amdhsa_float_denorm_mode_32 3
		.amdhsa_float_denorm_mode_16_64 3
		.amdhsa_dx10_clamp 1
		.amdhsa_ieee_mode 1
		.amdhsa_fp16_overflow 0
		.amdhsa_tg_split 0
		.amdhsa_exception_fp_ieee_invalid_op 0
		.amdhsa_exception_fp_denorm_src 0
		.amdhsa_exception_fp_ieee_div_zero 0
		.amdhsa_exception_fp_ieee_overflow 0
		.amdhsa_exception_fp_ieee_underflow 0
		.amdhsa_exception_fp_ieee_inexact 0
		.amdhsa_exception_int_div_zero 0
	.end_amdhsa_kernel
	.section	.text._ZN7rocprim17ROCPRIM_400000_NS6detail17trampoline_kernelINS0_14default_configENS1_38merge_sort_block_merge_config_selectorIjN6thrust23THRUST_200600_302600_NS5tupleIffNS6_9null_typeES8_S8_S8_S8_S8_S8_S8_EEEEZZNS1_27merge_sort_block_merge_implIS3_NS6_6detail15normal_iteratorINS6_10device_ptrIjEEEENSD_INSE_IS9_EEEEjNS1_19radix_merge_compareILb0ELb0EjNS0_19identity_decomposerEEEEE10hipError_tT0_T1_T2_jT3_P12ihipStream_tbPNSt15iterator_traitsISN_E10value_typeEPNST_ISO_E10value_typeEPSP_NS1_7vsmem_tEENKUlT_SN_SO_SP_E_clISG_PjSI_PS9_EESM_S12_SN_SO_SP_EUlS12_E1_NS1_11comp_targetILNS1_3genE2ELNS1_11target_archE906ELNS1_3gpuE6ELNS1_3repE0EEENS1_36merge_oddeven_config_static_selectorELNS0_4arch9wavefront6targetE1EEEvSO_,"axG",@progbits,_ZN7rocprim17ROCPRIM_400000_NS6detail17trampoline_kernelINS0_14default_configENS1_38merge_sort_block_merge_config_selectorIjN6thrust23THRUST_200600_302600_NS5tupleIffNS6_9null_typeES8_S8_S8_S8_S8_S8_S8_EEEEZZNS1_27merge_sort_block_merge_implIS3_NS6_6detail15normal_iteratorINS6_10device_ptrIjEEEENSD_INSE_IS9_EEEEjNS1_19radix_merge_compareILb0ELb0EjNS0_19identity_decomposerEEEEE10hipError_tT0_T1_T2_jT3_P12ihipStream_tbPNSt15iterator_traitsISN_E10value_typeEPNST_ISO_E10value_typeEPSP_NS1_7vsmem_tEENKUlT_SN_SO_SP_E_clISG_PjSI_PS9_EESM_S12_SN_SO_SP_EUlS12_E1_NS1_11comp_targetILNS1_3genE2ELNS1_11target_archE906ELNS1_3gpuE6ELNS1_3repE0EEENS1_36merge_oddeven_config_static_selectorELNS0_4arch9wavefront6targetE1EEEvSO_,comdat
.Lfunc_end70:
	.size	_ZN7rocprim17ROCPRIM_400000_NS6detail17trampoline_kernelINS0_14default_configENS1_38merge_sort_block_merge_config_selectorIjN6thrust23THRUST_200600_302600_NS5tupleIffNS6_9null_typeES8_S8_S8_S8_S8_S8_S8_EEEEZZNS1_27merge_sort_block_merge_implIS3_NS6_6detail15normal_iteratorINS6_10device_ptrIjEEEENSD_INSE_IS9_EEEEjNS1_19radix_merge_compareILb0ELb0EjNS0_19identity_decomposerEEEEE10hipError_tT0_T1_T2_jT3_P12ihipStream_tbPNSt15iterator_traitsISN_E10value_typeEPNST_ISO_E10value_typeEPSP_NS1_7vsmem_tEENKUlT_SN_SO_SP_E_clISG_PjSI_PS9_EESM_S12_SN_SO_SP_EUlS12_E1_NS1_11comp_targetILNS1_3genE2ELNS1_11target_archE906ELNS1_3gpuE6ELNS1_3repE0EEENS1_36merge_oddeven_config_static_selectorELNS0_4arch9wavefront6targetE1EEEvSO_, .Lfunc_end70-_ZN7rocprim17ROCPRIM_400000_NS6detail17trampoline_kernelINS0_14default_configENS1_38merge_sort_block_merge_config_selectorIjN6thrust23THRUST_200600_302600_NS5tupleIffNS6_9null_typeES8_S8_S8_S8_S8_S8_S8_EEEEZZNS1_27merge_sort_block_merge_implIS3_NS6_6detail15normal_iteratorINS6_10device_ptrIjEEEENSD_INSE_IS9_EEEEjNS1_19radix_merge_compareILb0ELb0EjNS0_19identity_decomposerEEEEE10hipError_tT0_T1_T2_jT3_P12ihipStream_tbPNSt15iterator_traitsISN_E10value_typeEPNST_ISO_E10value_typeEPSP_NS1_7vsmem_tEENKUlT_SN_SO_SP_E_clISG_PjSI_PS9_EESM_S12_SN_SO_SP_EUlS12_E1_NS1_11comp_targetILNS1_3genE2ELNS1_11target_archE906ELNS1_3gpuE6ELNS1_3repE0EEENS1_36merge_oddeven_config_static_selectorELNS0_4arch9wavefront6targetE1EEEvSO_
                                        ; -- End function
	.section	.AMDGPU.csdata,"",@progbits
; Kernel info:
; codeLenInByte = 0
; NumSgprs: 4
; NumVgprs: 0
; NumAgprs: 0
; TotalNumVgprs: 0
; ScratchSize: 0
; MemoryBound: 0
; FloatMode: 240
; IeeeMode: 1
; LDSByteSize: 0 bytes/workgroup (compile time only)
; SGPRBlocks: 0
; VGPRBlocks: 0
; NumSGPRsForWavesPerEU: 4
; NumVGPRsForWavesPerEU: 1
; AccumOffset: 4
; Occupancy: 8
; WaveLimiterHint : 0
; COMPUTE_PGM_RSRC2:SCRATCH_EN: 0
; COMPUTE_PGM_RSRC2:USER_SGPR: 6
; COMPUTE_PGM_RSRC2:TRAP_HANDLER: 0
; COMPUTE_PGM_RSRC2:TGID_X_EN: 1
; COMPUTE_PGM_RSRC2:TGID_Y_EN: 0
; COMPUTE_PGM_RSRC2:TGID_Z_EN: 0
; COMPUTE_PGM_RSRC2:TIDIG_COMP_CNT: 0
; COMPUTE_PGM_RSRC3_GFX90A:ACCUM_OFFSET: 0
; COMPUTE_PGM_RSRC3_GFX90A:TG_SPLIT: 0
	.section	.text._ZN7rocprim17ROCPRIM_400000_NS6detail17trampoline_kernelINS0_14default_configENS1_38merge_sort_block_merge_config_selectorIjN6thrust23THRUST_200600_302600_NS5tupleIffNS6_9null_typeES8_S8_S8_S8_S8_S8_S8_EEEEZZNS1_27merge_sort_block_merge_implIS3_NS6_6detail15normal_iteratorINS6_10device_ptrIjEEEENSD_INSE_IS9_EEEEjNS1_19radix_merge_compareILb0ELb0EjNS0_19identity_decomposerEEEEE10hipError_tT0_T1_T2_jT3_P12ihipStream_tbPNSt15iterator_traitsISN_E10value_typeEPNST_ISO_E10value_typeEPSP_NS1_7vsmem_tEENKUlT_SN_SO_SP_E_clISG_PjSI_PS9_EESM_S12_SN_SO_SP_EUlS12_E1_NS1_11comp_targetILNS1_3genE9ELNS1_11target_archE1100ELNS1_3gpuE3ELNS1_3repE0EEENS1_36merge_oddeven_config_static_selectorELNS0_4arch9wavefront6targetE1EEEvSO_,"axG",@progbits,_ZN7rocprim17ROCPRIM_400000_NS6detail17trampoline_kernelINS0_14default_configENS1_38merge_sort_block_merge_config_selectorIjN6thrust23THRUST_200600_302600_NS5tupleIffNS6_9null_typeES8_S8_S8_S8_S8_S8_S8_EEEEZZNS1_27merge_sort_block_merge_implIS3_NS6_6detail15normal_iteratorINS6_10device_ptrIjEEEENSD_INSE_IS9_EEEEjNS1_19radix_merge_compareILb0ELb0EjNS0_19identity_decomposerEEEEE10hipError_tT0_T1_T2_jT3_P12ihipStream_tbPNSt15iterator_traitsISN_E10value_typeEPNST_ISO_E10value_typeEPSP_NS1_7vsmem_tEENKUlT_SN_SO_SP_E_clISG_PjSI_PS9_EESM_S12_SN_SO_SP_EUlS12_E1_NS1_11comp_targetILNS1_3genE9ELNS1_11target_archE1100ELNS1_3gpuE3ELNS1_3repE0EEENS1_36merge_oddeven_config_static_selectorELNS0_4arch9wavefront6targetE1EEEvSO_,comdat
	.protected	_ZN7rocprim17ROCPRIM_400000_NS6detail17trampoline_kernelINS0_14default_configENS1_38merge_sort_block_merge_config_selectorIjN6thrust23THRUST_200600_302600_NS5tupleIffNS6_9null_typeES8_S8_S8_S8_S8_S8_S8_EEEEZZNS1_27merge_sort_block_merge_implIS3_NS6_6detail15normal_iteratorINS6_10device_ptrIjEEEENSD_INSE_IS9_EEEEjNS1_19radix_merge_compareILb0ELb0EjNS0_19identity_decomposerEEEEE10hipError_tT0_T1_T2_jT3_P12ihipStream_tbPNSt15iterator_traitsISN_E10value_typeEPNST_ISO_E10value_typeEPSP_NS1_7vsmem_tEENKUlT_SN_SO_SP_E_clISG_PjSI_PS9_EESM_S12_SN_SO_SP_EUlS12_E1_NS1_11comp_targetILNS1_3genE9ELNS1_11target_archE1100ELNS1_3gpuE3ELNS1_3repE0EEENS1_36merge_oddeven_config_static_selectorELNS0_4arch9wavefront6targetE1EEEvSO_ ; -- Begin function _ZN7rocprim17ROCPRIM_400000_NS6detail17trampoline_kernelINS0_14default_configENS1_38merge_sort_block_merge_config_selectorIjN6thrust23THRUST_200600_302600_NS5tupleIffNS6_9null_typeES8_S8_S8_S8_S8_S8_S8_EEEEZZNS1_27merge_sort_block_merge_implIS3_NS6_6detail15normal_iteratorINS6_10device_ptrIjEEEENSD_INSE_IS9_EEEEjNS1_19radix_merge_compareILb0ELb0EjNS0_19identity_decomposerEEEEE10hipError_tT0_T1_T2_jT3_P12ihipStream_tbPNSt15iterator_traitsISN_E10value_typeEPNST_ISO_E10value_typeEPSP_NS1_7vsmem_tEENKUlT_SN_SO_SP_E_clISG_PjSI_PS9_EESM_S12_SN_SO_SP_EUlS12_E1_NS1_11comp_targetILNS1_3genE9ELNS1_11target_archE1100ELNS1_3gpuE3ELNS1_3repE0EEENS1_36merge_oddeven_config_static_selectorELNS0_4arch9wavefront6targetE1EEEvSO_
	.globl	_ZN7rocprim17ROCPRIM_400000_NS6detail17trampoline_kernelINS0_14default_configENS1_38merge_sort_block_merge_config_selectorIjN6thrust23THRUST_200600_302600_NS5tupleIffNS6_9null_typeES8_S8_S8_S8_S8_S8_S8_EEEEZZNS1_27merge_sort_block_merge_implIS3_NS6_6detail15normal_iteratorINS6_10device_ptrIjEEEENSD_INSE_IS9_EEEEjNS1_19radix_merge_compareILb0ELb0EjNS0_19identity_decomposerEEEEE10hipError_tT0_T1_T2_jT3_P12ihipStream_tbPNSt15iterator_traitsISN_E10value_typeEPNST_ISO_E10value_typeEPSP_NS1_7vsmem_tEENKUlT_SN_SO_SP_E_clISG_PjSI_PS9_EESM_S12_SN_SO_SP_EUlS12_E1_NS1_11comp_targetILNS1_3genE9ELNS1_11target_archE1100ELNS1_3gpuE3ELNS1_3repE0EEENS1_36merge_oddeven_config_static_selectorELNS0_4arch9wavefront6targetE1EEEvSO_
	.p2align	8
	.type	_ZN7rocprim17ROCPRIM_400000_NS6detail17trampoline_kernelINS0_14default_configENS1_38merge_sort_block_merge_config_selectorIjN6thrust23THRUST_200600_302600_NS5tupleIffNS6_9null_typeES8_S8_S8_S8_S8_S8_S8_EEEEZZNS1_27merge_sort_block_merge_implIS3_NS6_6detail15normal_iteratorINS6_10device_ptrIjEEEENSD_INSE_IS9_EEEEjNS1_19radix_merge_compareILb0ELb0EjNS0_19identity_decomposerEEEEE10hipError_tT0_T1_T2_jT3_P12ihipStream_tbPNSt15iterator_traitsISN_E10value_typeEPNST_ISO_E10value_typeEPSP_NS1_7vsmem_tEENKUlT_SN_SO_SP_E_clISG_PjSI_PS9_EESM_S12_SN_SO_SP_EUlS12_E1_NS1_11comp_targetILNS1_3genE9ELNS1_11target_archE1100ELNS1_3gpuE3ELNS1_3repE0EEENS1_36merge_oddeven_config_static_selectorELNS0_4arch9wavefront6targetE1EEEvSO_,@function
_ZN7rocprim17ROCPRIM_400000_NS6detail17trampoline_kernelINS0_14default_configENS1_38merge_sort_block_merge_config_selectorIjN6thrust23THRUST_200600_302600_NS5tupleIffNS6_9null_typeES8_S8_S8_S8_S8_S8_S8_EEEEZZNS1_27merge_sort_block_merge_implIS3_NS6_6detail15normal_iteratorINS6_10device_ptrIjEEEENSD_INSE_IS9_EEEEjNS1_19radix_merge_compareILb0ELb0EjNS0_19identity_decomposerEEEEE10hipError_tT0_T1_T2_jT3_P12ihipStream_tbPNSt15iterator_traitsISN_E10value_typeEPNST_ISO_E10value_typeEPSP_NS1_7vsmem_tEENKUlT_SN_SO_SP_E_clISG_PjSI_PS9_EESM_S12_SN_SO_SP_EUlS12_E1_NS1_11comp_targetILNS1_3genE9ELNS1_11target_archE1100ELNS1_3gpuE3ELNS1_3repE0EEENS1_36merge_oddeven_config_static_selectorELNS0_4arch9wavefront6targetE1EEEvSO_: ; @_ZN7rocprim17ROCPRIM_400000_NS6detail17trampoline_kernelINS0_14default_configENS1_38merge_sort_block_merge_config_selectorIjN6thrust23THRUST_200600_302600_NS5tupleIffNS6_9null_typeES8_S8_S8_S8_S8_S8_S8_EEEEZZNS1_27merge_sort_block_merge_implIS3_NS6_6detail15normal_iteratorINS6_10device_ptrIjEEEENSD_INSE_IS9_EEEEjNS1_19radix_merge_compareILb0ELb0EjNS0_19identity_decomposerEEEEE10hipError_tT0_T1_T2_jT3_P12ihipStream_tbPNSt15iterator_traitsISN_E10value_typeEPNST_ISO_E10value_typeEPSP_NS1_7vsmem_tEENKUlT_SN_SO_SP_E_clISG_PjSI_PS9_EESM_S12_SN_SO_SP_EUlS12_E1_NS1_11comp_targetILNS1_3genE9ELNS1_11target_archE1100ELNS1_3gpuE3ELNS1_3repE0EEENS1_36merge_oddeven_config_static_selectorELNS0_4arch9wavefront6targetE1EEEvSO_
; %bb.0:
	.section	.rodata,"a",@progbits
	.p2align	6, 0x0
	.amdhsa_kernel _ZN7rocprim17ROCPRIM_400000_NS6detail17trampoline_kernelINS0_14default_configENS1_38merge_sort_block_merge_config_selectorIjN6thrust23THRUST_200600_302600_NS5tupleIffNS6_9null_typeES8_S8_S8_S8_S8_S8_S8_EEEEZZNS1_27merge_sort_block_merge_implIS3_NS6_6detail15normal_iteratorINS6_10device_ptrIjEEEENSD_INSE_IS9_EEEEjNS1_19radix_merge_compareILb0ELb0EjNS0_19identity_decomposerEEEEE10hipError_tT0_T1_T2_jT3_P12ihipStream_tbPNSt15iterator_traitsISN_E10value_typeEPNST_ISO_E10value_typeEPSP_NS1_7vsmem_tEENKUlT_SN_SO_SP_E_clISG_PjSI_PS9_EESM_S12_SN_SO_SP_EUlS12_E1_NS1_11comp_targetILNS1_3genE9ELNS1_11target_archE1100ELNS1_3gpuE3ELNS1_3repE0EEENS1_36merge_oddeven_config_static_selectorELNS0_4arch9wavefront6targetE1EEEvSO_
		.amdhsa_group_segment_fixed_size 0
		.amdhsa_private_segment_fixed_size 0
		.amdhsa_kernarg_size 48
		.amdhsa_user_sgpr_count 6
		.amdhsa_user_sgpr_private_segment_buffer 1
		.amdhsa_user_sgpr_dispatch_ptr 0
		.amdhsa_user_sgpr_queue_ptr 0
		.amdhsa_user_sgpr_kernarg_segment_ptr 1
		.amdhsa_user_sgpr_dispatch_id 0
		.amdhsa_user_sgpr_flat_scratch_init 0
		.amdhsa_user_sgpr_kernarg_preload_length 0
		.amdhsa_user_sgpr_kernarg_preload_offset 0
		.amdhsa_user_sgpr_private_segment_size 0
		.amdhsa_uses_dynamic_stack 0
		.amdhsa_system_sgpr_private_segment_wavefront_offset 0
		.amdhsa_system_sgpr_workgroup_id_x 1
		.amdhsa_system_sgpr_workgroup_id_y 0
		.amdhsa_system_sgpr_workgroup_id_z 0
		.amdhsa_system_sgpr_workgroup_info 0
		.amdhsa_system_vgpr_workitem_id 0
		.amdhsa_next_free_vgpr 1
		.amdhsa_next_free_sgpr 0
		.amdhsa_accum_offset 4
		.amdhsa_reserve_vcc 0
		.amdhsa_reserve_flat_scratch 0
		.amdhsa_float_round_mode_32 0
		.amdhsa_float_round_mode_16_64 0
		.amdhsa_float_denorm_mode_32 3
		.amdhsa_float_denorm_mode_16_64 3
		.amdhsa_dx10_clamp 1
		.amdhsa_ieee_mode 1
		.amdhsa_fp16_overflow 0
		.amdhsa_tg_split 0
		.amdhsa_exception_fp_ieee_invalid_op 0
		.amdhsa_exception_fp_denorm_src 0
		.amdhsa_exception_fp_ieee_div_zero 0
		.amdhsa_exception_fp_ieee_overflow 0
		.amdhsa_exception_fp_ieee_underflow 0
		.amdhsa_exception_fp_ieee_inexact 0
		.amdhsa_exception_int_div_zero 0
	.end_amdhsa_kernel
	.section	.text._ZN7rocprim17ROCPRIM_400000_NS6detail17trampoline_kernelINS0_14default_configENS1_38merge_sort_block_merge_config_selectorIjN6thrust23THRUST_200600_302600_NS5tupleIffNS6_9null_typeES8_S8_S8_S8_S8_S8_S8_EEEEZZNS1_27merge_sort_block_merge_implIS3_NS6_6detail15normal_iteratorINS6_10device_ptrIjEEEENSD_INSE_IS9_EEEEjNS1_19radix_merge_compareILb0ELb0EjNS0_19identity_decomposerEEEEE10hipError_tT0_T1_T2_jT3_P12ihipStream_tbPNSt15iterator_traitsISN_E10value_typeEPNST_ISO_E10value_typeEPSP_NS1_7vsmem_tEENKUlT_SN_SO_SP_E_clISG_PjSI_PS9_EESM_S12_SN_SO_SP_EUlS12_E1_NS1_11comp_targetILNS1_3genE9ELNS1_11target_archE1100ELNS1_3gpuE3ELNS1_3repE0EEENS1_36merge_oddeven_config_static_selectorELNS0_4arch9wavefront6targetE1EEEvSO_,"axG",@progbits,_ZN7rocprim17ROCPRIM_400000_NS6detail17trampoline_kernelINS0_14default_configENS1_38merge_sort_block_merge_config_selectorIjN6thrust23THRUST_200600_302600_NS5tupleIffNS6_9null_typeES8_S8_S8_S8_S8_S8_S8_EEEEZZNS1_27merge_sort_block_merge_implIS3_NS6_6detail15normal_iteratorINS6_10device_ptrIjEEEENSD_INSE_IS9_EEEEjNS1_19radix_merge_compareILb0ELb0EjNS0_19identity_decomposerEEEEE10hipError_tT0_T1_T2_jT3_P12ihipStream_tbPNSt15iterator_traitsISN_E10value_typeEPNST_ISO_E10value_typeEPSP_NS1_7vsmem_tEENKUlT_SN_SO_SP_E_clISG_PjSI_PS9_EESM_S12_SN_SO_SP_EUlS12_E1_NS1_11comp_targetILNS1_3genE9ELNS1_11target_archE1100ELNS1_3gpuE3ELNS1_3repE0EEENS1_36merge_oddeven_config_static_selectorELNS0_4arch9wavefront6targetE1EEEvSO_,comdat
.Lfunc_end71:
	.size	_ZN7rocprim17ROCPRIM_400000_NS6detail17trampoline_kernelINS0_14default_configENS1_38merge_sort_block_merge_config_selectorIjN6thrust23THRUST_200600_302600_NS5tupleIffNS6_9null_typeES8_S8_S8_S8_S8_S8_S8_EEEEZZNS1_27merge_sort_block_merge_implIS3_NS6_6detail15normal_iteratorINS6_10device_ptrIjEEEENSD_INSE_IS9_EEEEjNS1_19radix_merge_compareILb0ELb0EjNS0_19identity_decomposerEEEEE10hipError_tT0_T1_T2_jT3_P12ihipStream_tbPNSt15iterator_traitsISN_E10value_typeEPNST_ISO_E10value_typeEPSP_NS1_7vsmem_tEENKUlT_SN_SO_SP_E_clISG_PjSI_PS9_EESM_S12_SN_SO_SP_EUlS12_E1_NS1_11comp_targetILNS1_3genE9ELNS1_11target_archE1100ELNS1_3gpuE3ELNS1_3repE0EEENS1_36merge_oddeven_config_static_selectorELNS0_4arch9wavefront6targetE1EEEvSO_, .Lfunc_end71-_ZN7rocprim17ROCPRIM_400000_NS6detail17trampoline_kernelINS0_14default_configENS1_38merge_sort_block_merge_config_selectorIjN6thrust23THRUST_200600_302600_NS5tupleIffNS6_9null_typeES8_S8_S8_S8_S8_S8_S8_EEEEZZNS1_27merge_sort_block_merge_implIS3_NS6_6detail15normal_iteratorINS6_10device_ptrIjEEEENSD_INSE_IS9_EEEEjNS1_19radix_merge_compareILb0ELb0EjNS0_19identity_decomposerEEEEE10hipError_tT0_T1_T2_jT3_P12ihipStream_tbPNSt15iterator_traitsISN_E10value_typeEPNST_ISO_E10value_typeEPSP_NS1_7vsmem_tEENKUlT_SN_SO_SP_E_clISG_PjSI_PS9_EESM_S12_SN_SO_SP_EUlS12_E1_NS1_11comp_targetILNS1_3genE9ELNS1_11target_archE1100ELNS1_3gpuE3ELNS1_3repE0EEENS1_36merge_oddeven_config_static_selectorELNS0_4arch9wavefront6targetE1EEEvSO_
                                        ; -- End function
	.section	.AMDGPU.csdata,"",@progbits
; Kernel info:
; codeLenInByte = 0
; NumSgprs: 4
; NumVgprs: 0
; NumAgprs: 0
; TotalNumVgprs: 0
; ScratchSize: 0
; MemoryBound: 0
; FloatMode: 240
; IeeeMode: 1
; LDSByteSize: 0 bytes/workgroup (compile time only)
; SGPRBlocks: 0
; VGPRBlocks: 0
; NumSGPRsForWavesPerEU: 4
; NumVGPRsForWavesPerEU: 1
; AccumOffset: 4
; Occupancy: 8
; WaveLimiterHint : 0
; COMPUTE_PGM_RSRC2:SCRATCH_EN: 0
; COMPUTE_PGM_RSRC2:USER_SGPR: 6
; COMPUTE_PGM_RSRC2:TRAP_HANDLER: 0
; COMPUTE_PGM_RSRC2:TGID_X_EN: 1
; COMPUTE_PGM_RSRC2:TGID_Y_EN: 0
; COMPUTE_PGM_RSRC2:TGID_Z_EN: 0
; COMPUTE_PGM_RSRC2:TIDIG_COMP_CNT: 0
; COMPUTE_PGM_RSRC3_GFX90A:ACCUM_OFFSET: 0
; COMPUTE_PGM_RSRC3_GFX90A:TG_SPLIT: 0
	.section	.text._ZN7rocprim17ROCPRIM_400000_NS6detail17trampoline_kernelINS0_14default_configENS1_38merge_sort_block_merge_config_selectorIjN6thrust23THRUST_200600_302600_NS5tupleIffNS6_9null_typeES8_S8_S8_S8_S8_S8_S8_EEEEZZNS1_27merge_sort_block_merge_implIS3_NS6_6detail15normal_iteratorINS6_10device_ptrIjEEEENSD_INSE_IS9_EEEEjNS1_19radix_merge_compareILb0ELb0EjNS0_19identity_decomposerEEEEE10hipError_tT0_T1_T2_jT3_P12ihipStream_tbPNSt15iterator_traitsISN_E10value_typeEPNST_ISO_E10value_typeEPSP_NS1_7vsmem_tEENKUlT_SN_SO_SP_E_clISG_PjSI_PS9_EESM_S12_SN_SO_SP_EUlS12_E1_NS1_11comp_targetILNS1_3genE8ELNS1_11target_archE1030ELNS1_3gpuE2ELNS1_3repE0EEENS1_36merge_oddeven_config_static_selectorELNS0_4arch9wavefront6targetE1EEEvSO_,"axG",@progbits,_ZN7rocprim17ROCPRIM_400000_NS6detail17trampoline_kernelINS0_14default_configENS1_38merge_sort_block_merge_config_selectorIjN6thrust23THRUST_200600_302600_NS5tupleIffNS6_9null_typeES8_S8_S8_S8_S8_S8_S8_EEEEZZNS1_27merge_sort_block_merge_implIS3_NS6_6detail15normal_iteratorINS6_10device_ptrIjEEEENSD_INSE_IS9_EEEEjNS1_19radix_merge_compareILb0ELb0EjNS0_19identity_decomposerEEEEE10hipError_tT0_T1_T2_jT3_P12ihipStream_tbPNSt15iterator_traitsISN_E10value_typeEPNST_ISO_E10value_typeEPSP_NS1_7vsmem_tEENKUlT_SN_SO_SP_E_clISG_PjSI_PS9_EESM_S12_SN_SO_SP_EUlS12_E1_NS1_11comp_targetILNS1_3genE8ELNS1_11target_archE1030ELNS1_3gpuE2ELNS1_3repE0EEENS1_36merge_oddeven_config_static_selectorELNS0_4arch9wavefront6targetE1EEEvSO_,comdat
	.protected	_ZN7rocprim17ROCPRIM_400000_NS6detail17trampoline_kernelINS0_14default_configENS1_38merge_sort_block_merge_config_selectorIjN6thrust23THRUST_200600_302600_NS5tupleIffNS6_9null_typeES8_S8_S8_S8_S8_S8_S8_EEEEZZNS1_27merge_sort_block_merge_implIS3_NS6_6detail15normal_iteratorINS6_10device_ptrIjEEEENSD_INSE_IS9_EEEEjNS1_19radix_merge_compareILb0ELb0EjNS0_19identity_decomposerEEEEE10hipError_tT0_T1_T2_jT3_P12ihipStream_tbPNSt15iterator_traitsISN_E10value_typeEPNST_ISO_E10value_typeEPSP_NS1_7vsmem_tEENKUlT_SN_SO_SP_E_clISG_PjSI_PS9_EESM_S12_SN_SO_SP_EUlS12_E1_NS1_11comp_targetILNS1_3genE8ELNS1_11target_archE1030ELNS1_3gpuE2ELNS1_3repE0EEENS1_36merge_oddeven_config_static_selectorELNS0_4arch9wavefront6targetE1EEEvSO_ ; -- Begin function _ZN7rocprim17ROCPRIM_400000_NS6detail17trampoline_kernelINS0_14default_configENS1_38merge_sort_block_merge_config_selectorIjN6thrust23THRUST_200600_302600_NS5tupleIffNS6_9null_typeES8_S8_S8_S8_S8_S8_S8_EEEEZZNS1_27merge_sort_block_merge_implIS3_NS6_6detail15normal_iteratorINS6_10device_ptrIjEEEENSD_INSE_IS9_EEEEjNS1_19radix_merge_compareILb0ELb0EjNS0_19identity_decomposerEEEEE10hipError_tT0_T1_T2_jT3_P12ihipStream_tbPNSt15iterator_traitsISN_E10value_typeEPNST_ISO_E10value_typeEPSP_NS1_7vsmem_tEENKUlT_SN_SO_SP_E_clISG_PjSI_PS9_EESM_S12_SN_SO_SP_EUlS12_E1_NS1_11comp_targetILNS1_3genE8ELNS1_11target_archE1030ELNS1_3gpuE2ELNS1_3repE0EEENS1_36merge_oddeven_config_static_selectorELNS0_4arch9wavefront6targetE1EEEvSO_
	.globl	_ZN7rocprim17ROCPRIM_400000_NS6detail17trampoline_kernelINS0_14default_configENS1_38merge_sort_block_merge_config_selectorIjN6thrust23THRUST_200600_302600_NS5tupleIffNS6_9null_typeES8_S8_S8_S8_S8_S8_S8_EEEEZZNS1_27merge_sort_block_merge_implIS3_NS6_6detail15normal_iteratorINS6_10device_ptrIjEEEENSD_INSE_IS9_EEEEjNS1_19radix_merge_compareILb0ELb0EjNS0_19identity_decomposerEEEEE10hipError_tT0_T1_T2_jT3_P12ihipStream_tbPNSt15iterator_traitsISN_E10value_typeEPNST_ISO_E10value_typeEPSP_NS1_7vsmem_tEENKUlT_SN_SO_SP_E_clISG_PjSI_PS9_EESM_S12_SN_SO_SP_EUlS12_E1_NS1_11comp_targetILNS1_3genE8ELNS1_11target_archE1030ELNS1_3gpuE2ELNS1_3repE0EEENS1_36merge_oddeven_config_static_selectorELNS0_4arch9wavefront6targetE1EEEvSO_
	.p2align	8
	.type	_ZN7rocprim17ROCPRIM_400000_NS6detail17trampoline_kernelINS0_14default_configENS1_38merge_sort_block_merge_config_selectorIjN6thrust23THRUST_200600_302600_NS5tupleIffNS6_9null_typeES8_S8_S8_S8_S8_S8_S8_EEEEZZNS1_27merge_sort_block_merge_implIS3_NS6_6detail15normal_iteratorINS6_10device_ptrIjEEEENSD_INSE_IS9_EEEEjNS1_19radix_merge_compareILb0ELb0EjNS0_19identity_decomposerEEEEE10hipError_tT0_T1_T2_jT3_P12ihipStream_tbPNSt15iterator_traitsISN_E10value_typeEPNST_ISO_E10value_typeEPSP_NS1_7vsmem_tEENKUlT_SN_SO_SP_E_clISG_PjSI_PS9_EESM_S12_SN_SO_SP_EUlS12_E1_NS1_11comp_targetILNS1_3genE8ELNS1_11target_archE1030ELNS1_3gpuE2ELNS1_3repE0EEENS1_36merge_oddeven_config_static_selectorELNS0_4arch9wavefront6targetE1EEEvSO_,@function
_ZN7rocprim17ROCPRIM_400000_NS6detail17trampoline_kernelINS0_14default_configENS1_38merge_sort_block_merge_config_selectorIjN6thrust23THRUST_200600_302600_NS5tupleIffNS6_9null_typeES8_S8_S8_S8_S8_S8_S8_EEEEZZNS1_27merge_sort_block_merge_implIS3_NS6_6detail15normal_iteratorINS6_10device_ptrIjEEEENSD_INSE_IS9_EEEEjNS1_19radix_merge_compareILb0ELb0EjNS0_19identity_decomposerEEEEE10hipError_tT0_T1_T2_jT3_P12ihipStream_tbPNSt15iterator_traitsISN_E10value_typeEPNST_ISO_E10value_typeEPSP_NS1_7vsmem_tEENKUlT_SN_SO_SP_E_clISG_PjSI_PS9_EESM_S12_SN_SO_SP_EUlS12_E1_NS1_11comp_targetILNS1_3genE8ELNS1_11target_archE1030ELNS1_3gpuE2ELNS1_3repE0EEENS1_36merge_oddeven_config_static_selectorELNS0_4arch9wavefront6targetE1EEEvSO_: ; @_ZN7rocprim17ROCPRIM_400000_NS6detail17trampoline_kernelINS0_14default_configENS1_38merge_sort_block_merge_config_selectorIjN6thrust23THRUST_200600_302600_NS5tupleIffNS6_9null_typeES8_S8_S8_S8_S8_S8_S8_EEEEZZNS1_27merge_sort_block_merge_implIS3_NS6_6detail15normal_iteratorINS6_10device_ptrIjEEEENSD_INSE_IS9_EEEEjNS1_19radix_merge_compareILb0ELb0EjNS0_19identity_decomposerEEEEE10hipError_tT0_T1_T2_jT3_P12ihipStream_tbPNSt15iterator_traitsISN_E10value_typeEPNST_ISO_E10value_typeEPSP_NS1_7vsmem_tEENKUlT_SN_SO_SP_E_clISG_PjSI_PS9_EESM_S12_SN_SO_SP_EUlS12_E1_NS1_11comp_targetILNS1_3genE8ELNS1_11target_archE1030ELNS1_3gpuE2ELNS1_3repE0EEENS1_36merge_oddeven_config_static_selectorELNS0_4arch9wavefront6targetE1EEEvSO_
; %bb.0:
	.section	.rodata,"a",@progbits
	.p2align	6, 0x0
	.amdhsa_kernel _ZN7rocprim17ROCPRIM_400000_NS6detail17trampoline_kernelINS0_14default_configENS1_38merge_sort_block_merge_config_selectorIjN6thrust23THRUST_200600_302600_NS5tupleIffNS6_9null_typeES8_S8_S8_S8_S8_S8_S8_EEEEZZNS1_27merge_sort_block_merge_implIS3_NS6_6detail15normal_iteratorINS6_10device_ptrIjEEEENSD_INSE_IS9_EEEEjNS1_19radix_merge_compareILb0ELb0EjNS0_19identity_decomposerEEEEE10hipError_tT0_T1_T2_jT3_P12ihipStream_tbPNSt15iterator_traitsISN_E10value_typeEPNST_ISO_E10value_typeEPSP_NS1_7vsmem_tEENKUlT_SN_SO_SP_E_clISG_PjSI_PS9_EESM_S12_SN_SO_SP_EUlS12_E1_NS1_11comp_targetILNS1_3genE8ELNS1_11target_archE1030ELNS1_3gpuE2ELNS1_3repE0EEENS1_36merge_oddeven_config_static_selectorELNS0_4arch9wavefront6targetE1EEEvSO_
		.amdhsa_group_segment_fixed_size 0
		.amdhsa_private_segment_fixed_size 0
		.amdhsa_kernarg_size 48
		.amdhsa_user_sgpr_count 6
		.amdhsa_user_sgpr_private_segment_buffer 1
		.amdhsa_user_sgpr_dispatch_ptr 0
		.amdhsa_user_sgpr_queue_ptr 0
		.amdhsa_user_sgpr_kernarg_segment_ptr 1
		.amdhsa_user_sgpr_dispatch_id 0
		.amdhsa_user_sgpr_flat_scratch_init 0
		.amdhsa_user_sgpr_kernarg_preload_length 0
		.amdhsa_user_sgpr_kernarg_preload_offset 0
		.amdhsa_user_sgpr_private_segment_size 0
		.amdhsa_uses_dynamic_stack 0
		.amdhsa_system_sgpr_private_segment_wavefront_offset 0
		.amdhsa_system_sgpr_workgroup_id_x 1
		.amdhsa_system_sgpr_workgroup_id_y 0
		.amdhsa_system_sgpr_workgroup_id_z 0
		.amdhsa_system_sgpr_workgroup_info 0
		.amdhsa_system_vgpr_workitem_id 0
		.amdhsa_next_free_vgpr 1
		.amdhsa_next_free_sgpr 0
		.amdhsa_accum_offset 4
		.amdhsa_reserve_vcc 0
		.amdhsa_reserve_flat_scratch 0
		.amdhsa_float_round_mode_32 0
		.amdhsa_float_round_mode_16_64 0
		.amdhsa_float_denorm_mode_32 3
		.amdhsa_float_denorm_mode_16_64 3
		.amdhsa_dx10_clamp 1
		.amdhsa_ieee_mode 1
		.amdhsa_fp16_overflow 0
		.amdhsa_tg_split 0
		.amdhsa_exception_fp_ieee_invalid_op 0
		.amdhsa_exception_fp_denorm_src 0
		.amdhsa_exception_fp_ieee_div_zero 0
		.amdhsa_exception_fp_ieee_overflow 0
		.amdhsa_exception_fp_ieee_underflow 0
		.amdhsa_exception_fp_ieee_inexact 0
		.amdhsa_exception_int_div_zero 0
	.end_amdhsa_kernel
	.section	.text._ZN7rocprim17ROCPRIM_400000_NS6detail17trampoline_kernelINS0_14default_configENS1_38merge_sort_block_merge_config_selectorIjN6thrust23THRUST_200600_302600_NS5tupleIffNS6_9null_typeES8_S8_S8_S8_S8_S8_S8_EEEEZZNS1_27merge_sort_block_merge_implIS3_NS6_6detail15normal_iteratorINS6_10device_ptrIjEEEENSD_INSE_IS9_EEEEjNS1_19radix_merge_compareILb0ELb0EjNS0_19identity_decomposerEEEEE10hipError_tT0_T1_T2_jT3_P12ihipStream_tbPNSt15iterator_traitsISN_E10value_typeEPNST_ISO_E10value_typeEPSP_NS1_7vsmem_tEENKUlT_SN_SO_SP_E_clISG_PjSI_PS9_EESM_S12_SN_SO_SP_EUlS12_E1_NS1_11comp_targetILNS1_3genE8ELNS1_11target_archE1030ELNS1_3gpuE2ELNS1_3repE0EEENS1_36merge_oddeven_config_static_selectorELNS0_4arch9wavefront6targetE1EEEvSO_,"axG",@progbits,_ZN7rocprim17ROCPRIM_400000_NS6detail17trampoline_kernelINS0_14default_configENS1_38merge_sort_block_merge_config_selectorIjN6thrust23THRUST_200600_302600_NS5tupleIffNS6_9null_typeES8_S8_S8_S8_S8_S8_S8_EEEEZZNS1_27merge_sort_block_merge_implIS3_NS6_6detail15normal_iteratorINS6_10device_ptrIjEEEENSD_INSE_IS9_EEEEjNS1_19radix_merge_compareILb0ELb0EjNS0_19identity_decomposerEEEEE10hipError_tT0_T1_T2_jT3_P12ihipStream_tbPNSt15iterator_traitsISN_E10value_typeEPNST_ISO_E10value_typeEPSP_NS1_7vsmem_tEENKUlT_SN_SO_SP_E_clISG_PjSI_PS9_EESM_S12_SN_SO_SP_EUlS12_E1_NS1_11comp_targetILNS1_3genE8ELNS1_11target_archE1030ELNS1_3gpuE2ELNS1_3repE0EEENS1_36merge_oddeven_config_static_selectorELNS0_4arch9wavefront6targetE1EEEvSO_,comdat
.Lfunc_end72:
	.size	_ZN7rocprim17ROCPRIM_400000_NS6detail17trampoline_kernelINS0_14default_configENS1_38merge_sort_block_merge_config_selectorIjN6thrust23THRUST_200600_302600_NS5tupleIffNS6_9null_typeES8_S8_S8_S8_S8_S8_S8_EEEEZZNS1_27merge_sort_block_merge_implIS3_NS6_6detail15normal_iteratorINS6_10device_ptrIjEEEENSD_INSE_IS9_EEEEjNS1_19radix_merge_compareILb0ELb0EjNS0_19identity_decomposerEEEEE10hipError_tT0_T1_T2_jT3_P12ihipStream_tbPNSt15iterator_traitsISN_E10value_typeEPNST_ISO_E10value_typeEPSP_NS1_7vsmem_tEENKUlT_SN_SO_SP_E_clISG_PjSI_PS9_EESM_S12_SN_SO_SP_EUlS12_E1_NS1_11comp_targetILNS1_3genE8ELNS1_11target_archE1030ELNS1_3gpuE2ELNS1_3repE0EEENS1_36merge_oddeven_config_static_selectorELNS0_4arch9wavefront6targetE1EEEvSO_, .Lfunc_end72-_ZN7rocprim17ROCPRIM_400000_NS6detail17trampoline_kernelINS0_14default_configENS1_38merge_sort_block_merge_config_selectorIjN6thrust23THRUST_200600_302600_NS5tupleIffNS6_9null_typeES8_S8_S8_S8_S8_S8_S8_EEEEZZNS1_27merge_sort_block_merge_implIS3_NS6_6detail15normal_iteratorINS6_10device_ptrIjEEEENSD_INSE_IS9_EEEEjNS1_19radix_merge_compareILb0ELb0EjNS0_19identity_decomposerEEEEE10hipError_tT0_T1_T2_jT3_P12ihipStream_tbPNSt15iterator_traitsISN_E10value_typeEPNST_ISO_E10value_typeEPSP_NS1_7vsmem_tEENKUlT_SN_SO_SP_E_clISG_PjSI_PS9_EESM_S12_SN_SO_SP_EUlS12_E1_NS1_11comp_targetILNS1_3genE8ELNS1_11target_archE1030ELNS1_3gpuE2ELNS1_3repE0EEENS1_36merge_oddeven_config_static_selectorELNS0_4arch9wavefront6targetE1EEEvSO_
                                        ; -- End function
	.section	.AMDGPU.csdata,"",@progbits
; Kernel info:
; codeLenInByte = 0
; NumSgprs: 4
; NumVgprs: 0
; NumAgprs: 0
; TotalNumVgprs: 0
; ScratchSize: 0
; MemoryBound: 0
; FloatMode: 240
; IeeeMode: 1
; LDSByteSize: 0 bytes/workgroup (compile time only)
; SGPRBlocks: 0
; VGPRBlocks: 0
; NumSGPRsForWavesPerEU: 4
; NumVGPRsForWavesPerEU: 1
; AccumOffset: 4
; Occupancy: 8
; WaveLimiterHint : 0
; COMPUTE_PGM_RSRC2:SCRATCH_EN: 0
; COMPUTE_PGM_RSRC2:USER_SGPR: 6
; COMPUTE_PGM_RSRC2:TRAP_HANDLER: 0
; COMPUTE_PGM_RSRC2:TGID_X_EN: 1
; COMPUTE_PGM_RSRC2:TGID_Y_EN: 0
; COMPUTE_PGM_RSRC2:TGID_Z_EN: 0
; COMPUTE_PGM_RSRC2:TIDIG_COMP_CNT: 0
; COMPUTE_PGM_RSRC3_GFX90A:ACCUM_OFFSET: 0
; COMPUTE_PGM_RSRC3_GFX90A:TG_SPLIT: 0
	.section	.text._ZN7rocprim17ROCPRIM_400000_NS6detail17trampoline_kernelINS0_14default_configENS1_25transform_config_selectorIjLb0EEEZNS1_14transform_implILb0ES3_S5_PjN6thrust23THRUST_200600_302600_NS6detail15normal_iteratorINS9_10device_ptrIjEEEENS0_8identityIjEEEE10hipError_tT2_T3_mT4_P12ihipStream_tbEUlT_E_NS1_11comp_targetILNS1_3genE0ELNS1_11target_archE4294967295ELNS1_3gpuE0ELNS1_3repE0EEENS1_30default_config_static_selectorELNS0_4arch9wavefront6targetE1EEEvT1_,"axG",@progbits,_ZN7rocprim17ROCPRIM_400000_NS6detail17trampoline_kernelINS0_14default_configENS1_25transform_config_selectorIjLb0EEEZNS1_14transform_implILb0ES3_S5_PjN6thrust23THRUST_200600_302600_NS6detail15normal_iteratorINS9_10device_ptrIjEEEENS0_8identityIjEEEE10hipError_tT2_T3_mT4_P12ihipStream_tbEUlT_E_NS1_11comp_targetILNS1_3genE0ELNS1_11target_archE4294967295ELNS1_3gpuE0ELNS1_3repE0EEENS1_30default_config_static_selectorELNS0_4arch9wavefront6targetE1EEEvT1_,comdat
	.protected	_ZN7rocprim17ROCPRIM_400000_NS6detail17trampoline_kernelINS0_14default_configENS1_25transform_config_selectorIjLb0EEEZNS1_14transform_implILb0ES3_S5_PjN6thrust23THRUST_200600_302600_NS6detail15normal_iteratorINS9_10device_ptrIjEEEENS0_8identityIjEEEE10hipError_tT2_T3_mT4_P12ihipStream_tbEUlT_E_NS1_11comp_targetILNS1_3genE0ELNS1_11target_archE4294967295ELNS1_3gpuE0ELNS1_3repE0EEENS1_30default_config_static_selectorELNS0_4arch9wavefront6targetE1EEEvT1_ ; -- Begin function _ZN7rocprim17ROCPRIM_400000_NS6detail17trampoline_kernelINS0_14default_configENS1_25transform_config_selectorIjLb0EEEZNS1_14transform_implILb0ES3_S5_PjN6thrust23THRUST_200600_302600_NS6detail15normal_iteratorINS9_10device_ptrIjEEEENS0_8identityIjEEEE10hipError_tT2_T3_mT4_P12ihipStream_tbEUlT_E_NS1_11comp_targetILNS1_3genE0ELNS1_11target_archE4294967295ELNS1_3gpuE0ELNS1_3repE0EEENS1_30default_config_static_selectorELNS0_4arch9wavefront6targetE1EEEvT1_
	.globl	_ZN7rocprim17ROCPRIM_400000_NS6detail17trampoline_kernelINS0_14default_configENS1_25transform_config_selectorIjLb0EEEZNS1_14transform_implILb0ES3_S5_PjN6thrust23THRUST_200600_302600_NS6detail15normal_iteratorINS9_10device_ptrIjEEEENS0_8identityIjEEEE10hipError_tT2_T3_mT4_P12ihipStream_tbEUlT_E_NS1_11comp_targetILNS1_3genE0ELNS1_11target_archE4294967295ELNS1_3gpuE0ELNS1_3repE0EEENS1_30default_config_static_selectorELNS0_4arch9wavefront6targetE1EEEvT1_
	.p2align	8
	.type	_ZN7rocprim17ROCPRIM_400000_NS6detail17trampoline_kernelINS0_14default_configENS1_25transform_config_selectorIjLb0EEEZNS1_14transform_implILb0ES3_S5_PjN6thrust23THRUST_200600_302600_NS6detail15normal_iteratorINS9_10device_ptrIjEEEENS0_8identityIjEEEE10hipError_tT2_T3_mT4_P12ihipStream_tbEUlT_E_NS1_11comp_targetILNS1_3genE0ELNS1_11target_archE4294967295ELNS1_3gpuE0ELNS1_3repE0EEENS1_30default_config_static_selectorELNS0_4arch9wavefront6targetE1EEEvT1_,@function
_ZN7rocprim17ROCPRIM_400000_NS6detail17trampoline_kernelINS0_14default_configENS1_25transform_config_selectorIjLb0EEEZNS1_14transform_implILb0ES3_S5_PjN6thrust23THRUST_200600_302600_NS6detail15normal_iteratorINS9_10device_ptrIjEEEENS0_8identityIjEEEE10hipError_tT2_T3_mT4_P12ihipStream_tbEUlT_E_NS1_11comp_targetILNS1_3genE0ELNS1_11target_archE4294967295ELNS1_3gpuE0ELNS1_3repE0EEENS1_30default_config_static_selectorELNS0_4arch9wavefront6targetE1EEEvT1_: ; @_ZN7rocprim17ROCPRIM_400000_NS6detail17trampoline_kernelINS0_14default_configENS1_25transform_config_selectorIjLb0EEEZNS1_14transform_implILb0ES3_S5_PjN6thrust23THRUST_200600_302600_NS6detail15normal_iteratorINS9_10device_ptrIjEEEENS0_8identityIjEEEE10hipError_tT2_T3_mT4_P12ihipStream_tbEUlT_E_NS1_11comp_targetILNS1_3genE0ELNS1_11target_archE4294967295ELNS1_3gpuE0ELNS1_3repE0EEENS1_30default_config_static_selectorELNS0_4arch9wavefront6targetE1EEEvT1_
; %bb.0:
	.section	.rodata,"a",@progbits
	.p2align	6, 0x0
	.amdhsa_kernel _ZN7rocprim17ROCPRIM_400000_NS6detail17trampoline_kernelINS0_14default_configENS1_25transform_config_selectorIjLb0EEEZNS1_14transform_implILb0ES3_S5_PjN6thrust23THRUST_200600_302600_NS6detail15normal_iteratorINS9_10device_ptrIjEEEENS0_8identityIjEEEE10hipError_tT2_T3_mT4_P12ihipStream_tbEUlT_E_NS1_11comp_targetILNS1_3genE0ELNS1_11target_archE4294967295ELNS1_3gpuE0ELNS1_3repE0EEENS1_30default_config_static_selectorELNS0_4arch9wavefront6targetE1EEEvT1_
		.amdhsa_group_segment_fixed_size 0
		.amdhsa_private_segment_fixed_size 0
		.amdhsa_kernarg_size 40
		.amdhsa_user_sgpr_count 6
		.amdhsa_user_sgpr_private_segment_buffer 1
		.amdhsa_user_sgpr_dispatch_ptr 0
		.amdhsa_user_sgpr_queue_ptr 0
		.amdhsa_user_sgpr_kernarg_segment_ptr 1
		.amdhsa_user_sgpr_dispatch_id 0
		.amdhsa_user_sgpr_flat_scratch_init 0
		.amdhsa_user_sgpr_kernarg_preload_length 0
		.amdhsa_user_sgpr_kernarg_preload_offset 0
		.amdhsa_user_sgpr_private_segment_size 0
		.amdhsa_uses_dynamic_stack 0
		.amdhsa_system_sgpr_private_segment_wavefront_offset 0
		.amdhsa_system_sgpr_workgroup_id_x 1
		.amdhsa_system_sgpr_workgroup_id_y 0
		.amdhsa_system_sgpr_workgroup_id_z 0
		.amdhsa_system_sgpr_workgroup_info 0
		.amdhsa_system_vgpr_workitem_id 0
		.amdhsa_next_free_vgpr 1
		.amdhsa_next_free_sgpr 0
		.amdhsa_accum_offset 4
		.amdhsa_reserve_vcc 0
		.amdhsa_reserve_flat_scratch 0
		.amdhsa_float_round_mode_32 0
		.amdhsa_float_round_mode_16_64 0
		.amdhsa_float_denorm_mode_32 3
		.amdhsa_float_denorm_mode_16_64 3
		.amdhsa_dx10_clamp 1
		.amdhsa_ieee_mode 1
		.amdhsa_fp16_overflow 0
		.amdhsa_tg_split 0
		.amdhsa_exception_fp_ieee_invalid_op 0
		.amdhsa_exception_fp_denorm_src 0
		.amdhsa_exception_fp_ieee_div_zero 0
		.amdhsa_exception_fp_ieee_overflow 0
		.amdhsa_exception_fp_ieee_underflow 0
		.amdhsa_exception_fp_ieee_inexact 0
		.amdhsa_exception_int_div_zero 0
	.end_amdhsa_kernel
	.section	.text._ZN7rocprim17ROCPRIM_400000_NS6detail17trampoline_kernelINS0_14default_configENS1_25transform_config_selectorIjLb0EEEZNS1_14transform_implILb0ES3_S5_PjN6thrust23THRUST_200600_302600_NS6detail15normal_iteratorINS9_10device_ptrIjEEEENS0_8identityIjEEEE10hipError_tT2_T3_mT4_P12ihipStream_tbEUlT_E_NS1_11comp_targetILNS1_3genE0ELNS1_11target_archE4294967295ELNS1_3gpuE0ELNS1_3repE0EEENS1_30default_config_static_selectorELNS0_4arch9wavefront6targetE1EEEvT1_,"axG",@progbits,_ZN7rocprim17ROCPRIM_400000_NS6detail17trampoline_kernelINS0_14default_configENS1_25transform_config_selectorIjLb0EEEZNS1_14transform_implILb0ES3_S5_PjN6thrust23THRUST_200600_302600_NS6detail15normal_iteratorINS9_10device_ptrIjEEEENS0_8identityIjEEEE10hipError_tT2_T3_mT4_P12ihipStream_tbEUlT_E_NS1_11comp_targetILNS1_3genE0ELNS1_11target_archE4294967295ELNS1_3gpuE0ELNS1_3repE0EEENS1_30default_config_static_selectorELNS0_4arch9wavefront6targetE1EEEvT1_,comdat
.Lfunc_end73:
	.size	_ZN7rocprim17ROCPRIM_400000_NS6detail17trampoline_kernelINS0_14default_configENS1_25transform_config_selectorIjLb0EEEZNS1_14transform_implILb0ES3_S5_PjN6thrust23THRUST_200600_302600_NS6detail15normal_iteratorINS9_10device_ptrIjEEEENS0_8identityIjEEEE10hipError_tT2_T3_mT4_P12ihipStream_tbEUlT_E_NS1_11comp_targetILNS1_3genE0ELNS1_11target_archE4294967295ELNS1_3gpuE0ELNS1_3repE0EEENS1_30default_config_static_selectorELNS0_4arch9wavefront6targetE1EEEvT1_, .Lfunc_end73-_ZN7rocprim17ROCPRIM_400000_NS6detail17trampoline_kernelINS0_14default_configENS1_25transform_config_selectorIjLb0EEEZNS1_14transform_implILb0ES3_S5_PjN6thrust23THRUST_200600_302600_NS6detail15normal_iteratorINS9_10device_ptrIjEEEENS0_8identityIjEEEE10hipError_tT2_T3_mT4_P12ihipStream_tbEUlT_E_NS1_11comp_targetILNS1_3genE0ELNS1_11target_archE4294967295ELNS1_3gpuE0ELNS1_3repE0EEENS1_30default_config_static_selectorELNS0_4arch9wavefront6targetE1EEEvT1_
                                        ; -- End function
	.section	.AMDGPU.csdata,"",@progbits
; Kernel info:
; codeLenInByte = 0
; NumSgprs: 4
; NumVgprs: 0
; NumAgprs: 0
; TotalNumVgprs: 0
; ScratchSize: 0
; MemoryBound: 0
; FloatMode: 240
; IeeeMode: 1
; LDSByteSize: 0 bytes/workgroup (compile time only)
; SGPRBlocks: 0
; VGPRBlocks: 0
; NumSGPRsForWavesPerEU: 4
; NumVGPRsForWavesPerEU: 1
; AccumOffset: 4
; Occupancy: 8
; WaveLimiterHint : 0
; COMPUTE_PGM_RSRC2:SCRATCH_EN: 0
; COMPUTE_PGM_RSRC2:USER_SGPR: 6
; COMPUTE_PGM_RSRC2:TRAP_HANDLER: 0
; COMPUTE_PGM_RSRC2:TGID_X_EN: 1
; COMPUTE_PGM_RSRC2:TGID_Y_EN: 0
; COMPUTE_PGM_RSRC2:TGID_Z_EN: 0
; COMPUTE_PGM_RSRC2:TIDIG_COMP_CNT: 0
; COMPUTE_PGM_RSRC3_GFX90A:ACCUM_OFFSET: 0
; COMPUTE_PGM_RSRC3_GFX90A:TG_SPLIT: 0
	.section	.text._ZN7rocprim17ROCPRIM_400000_NS6detail17trampoline_kernelINS0_14default_configENS1_25transform_config_selectorIjLb0EEEZNS1_14transform_implILb0ES3_S5_PjN6thrust23THRUST_200600_302600_NS6detail15normal_iteratorINS9_10device_ptrIjEEEENS0_8identityIjEEEE10hipError_tT2_T3_mT4_P12ihipStream_tbEUlT_E_NS1_11comp_targetILNS1_3genE5ELNS1_11target_archE942ELNS1_3gpuE9ELNS1_3repE0EEENS1_30default_config_static_selectorELNS0_4arch9wavefront6targetE1EEEvT1_,"axG",@progbits,_ZN7rocprim17ROCPRIM_400000_NS6detail17trampoline_kernelINS0_14default_configENS1_25transform_config_selectorIjLb0EEEZNS1_14transform_implILb0ES3_S5_PjN6thrust23THRUST_200600_302600_NS6detail15normal_iteratorINS9_10device_ptrIjEEEENS0_8identityIjEEEE10hipError_tT2_T3_mT4_P12ihipStream_tbEUlT_E_NS1_11comp_targetILNS1_3genE5ELNS1_11target_archE942ELNS1_3gpuE9ELNS1_3repE0EEENS1_30default_config_static_selectorELNS0_4arch9wavefront6targetE1EEEvT1_,comdat
	.protected	_ZN7rocprim17ROCPRIM_400000_NS6detail17trampoline_kernelINS0_14default_configENS1_25transform_config_selectorIjLb0EEEZNS1_14transform_implILb0ES3_S5_PjN6thrust23THRUST_200600_302600_NS6detail15normal_iteratorINS9_10device_ptrIjEEEENS0_8identityIjEEEE10hipError_tT2_T3_mT4_P12ihipStream_tbEUlT_E_NS1_11comp_targetILNS1_3genE5ELNS1_11target_archE942ELNS1_3gpuE9ELNS1_3repE0EEENS1_30default_config_static_selectorELNS0_4arch9wavefront6targetE1EEEvT1_ ; -- Begin function _ZN7rocprim17ROCPRIM_400000_NS6detail17trampoline_kernelINS0_14default_configENS1_25transform_config_selectorIjLb0EEEZNS1_14transform_implILb0ES3_S5_PjN6thrust23THRUST_200600_302600_NS6detail15normal_iteratorINS9_10device_ptrIjEEEENS0_8identityIjEEEE10hipError_tT2_T3_mT4_P12ihipStream_tbEUlT_E_NS1_11comp_targetILNS1_3genE5ELNS1_11target_archE942ELNS1_3gpuE9ELNS1_3repE0EEENS1_30default_config_static_selectorELNS0_4arch9wavefront6targetE1EEEvT1_
	.globl	_ZN7rocprim17ROCPRIM_400000_NS6detail17trampoline_kernelINS0_14default_configENS1_25transform_config_selectorIjLb0EEEZNS1_14transform_implILb0ES3_S5_PjN6thrust23THRUST_200600_302600_NS6detail15normal_iteratorINS9_10device_ptrIjEEEENS0_8identityIjEEEE10hipError_tT2_T3_mT4_P12ihipStream_tbEUlT_E_NS1_11comp_targetILNS1_3genE5ELNS1_11target_archE942ELNS1_3gpuE9ELNS1_3repE0EEENS1_30default_config_static_selectorELNS0_4arch9wavefront6targetE1EEEvT1_
	.p2align	8
	.type	_ZN7rocprim17ROCPRIM_400000_NS6detail17trampoline_kernelINS0_14default_configENS1_25transform_config_selectorIjLb0EEEZNS1_14transform_implILb0ES3_S5_PjN6thrust23THRUST_200600_302600_NS6detail15normal_iteratorINS9_10device_ptrIjEEEENS0_8identityIjEEEE10hipError_tT2_T3_mT4_P12ihipStream_tbEUlT_E_NS1_11comp_targetILNS1_3genE5ELNS1_11target_archE942ELNS1_3gpuE9ELNS1_3repE0EEENS1_30default_config_static_selectorELNS0_4arch9wavefront6targetE1EEEvT1_,@function
_ZN7rocprim17ROCPRIM_400000_NS6detail17trampoline_kernelINS0_14default_configENS1_25transform_config_selectorIjLb0EEEZNS1_14transform_implILb0ES3_S5_PjN6thrust23THRUST_200600_302600_NS6detail15normal_iteratorINS9_10device_ptrIjEEEENS0_8identityIjEEEE10hipError_tT2_T3_mT4_P12ihipStream_tbEUlT_E_NS1_11comp_targetILNS1_3genE5ELNS1_11target_archE942ELNS1_3gpuE9ELNS1_3repE0EEENS1_30default_config_static_selectorELNS0_4arch9wavefront6targetE1EEEvT1_: ; @_ZN7rocprim17ROCPRIM_400000_NS6detail17trampoline_kernelINS0_14default_configENS1_25transform_config_selectorIjLb0EEEZNS1_14transform_implILb0ES3_S5_PjN6thrust23THRUST_200600_302600_NS6detail15normal_iteratorINS9_10device_ptrIjEEEENS0_8identityIjEEEE10hipError_tT2_T3_mT4_P12ihipStream_tbEUlT_E_NS1_11comp_targetILNS1_3genE5ELNS1_11target_archE942ELNS1_3gpuE9ELNS1_3repE0EEENS1_30default_config_static_selectorELNS0_4arch9wavefront6targetE1EEEvT1_
; %bb.0:
	.section	.rodata,"a",@progbits
	.p2align	6, 0x0
	.amdhsa_kernel _ZN7rocprim17ROCPRIM_400000_NS6detail17trampoline_kernelINS0_14default_configENS1_25transform_config_selectorIjLb0EEEZNS1_14transform_implILb0ES3_S5_PjN6thrust23THRUST_200600_302600_NS6detail15normal_iteratorINS9_10device_ptrIjEEEENS0_8identityIjEEEE10hipError_tT2_T3_mT4_P12ihipStream_tbEUlT_E_NS1_11comp_targetILNS1_3genE5ELNS1_11target_archE942ELNS1_3gpuE9ELNS1_3repE0EEENS1_30default_config_static_selectorELNS0_4arch9wavefront6targetE1EEEvT1_
		.amdhsa_group_segment_fixed_size 0
		.amdhsa_private_segment_fixed_size 0
		.amdhsa_kernarg_size 40
		.amdhsa_user_sgpr_count 6
		.amdhsa_user_sgpr_private_segment_buffer 1
		.amdhsa_user_sgpr_dispatch_ptr 0
		.amdhsa_user_sgpr_queue_ptr 0
		.amdhsa_user_sgpr_kernarg_segment_ptr 1
		.amdhsa_user_sgpr_dispatch_id 0
		.amdhsa_user_sgpr_flat_scratch_init 0
		.amdhsa_user_sgpr_kernarg_preload_length 0
		.amdhsa_user_sgpr_kernarg_preload_offset 0
		.amdhsa_user_sgpr_private_segment_size 0
		.amdhsa_uses_dynamic_stack 0
		.amdhsa_system_sgpr_private_segment_wavefront_offset 0
		.amdhsa_system_sgpr_workgroup_id_x 1
		.amdhsa_system_sgpr_workgroup_id_y 0
		.amdhsa_system_sgpr_workgroup_id_z 0
		.amdhsa_system_sgpr_workgroup_info 0
		.amdhsa_system_vgpr_workitem_id 0
		.amdhsa_next_free_vgpr 1
		.amdhsa_next_free_sgpr 0
		.amdhsa_accum_offset 4
		.amdhsa_reserve_vcc 0
		.amdhsa_reserve_flat_scratch 0
		.amdhsa_float_round_mode_32 0
		.amdhsa_float_round_mode_16_64 0
		.amdhsa_float_denorm_mode_32 3
		.amdhsa_float_denorm_mode_16_64 3
		.amdhsa_dx10_clamp 1
		.amdhsa_ieee_mode 1
		.amdhsa_fp16_overflow 0
		.amdhsa_tg_split 0
		.amdhsa_exception_fp_ieee_invalid_op 0
		.amdhsa_exception_fp_denorm_src 0
		.amdhsa_exception_fp_ieee_div_zero 0
		.amdhsa_exception_fp_ieee_overflow 0
		.amdhsa_exception_fp_ieee_underflow 0
		.amdhsa_exception_fp_ieee_inexact 0
		.amdhsa_exception_int_div_zero 0
	.end_amdhsa_kernel
	.section	.text._ZN7rocprim17ROCPRIM_400000_NS6detail17trampoline_kernelINS0_14default_configENS1_25transform_config_selectorIjLb0EEEZNS1_14transform_implILb0ES3_S5_PjN6thrust23THRUST_200600_302600_NS6detail15normal_iteratorINS9_10device_ptrIjEEEENS0_8identityIjEEEE10hipError_tT2_T3_mT4_P12ihipStream_tbEUlT_E_NS1_11comp_targetILNS1_3genE5ELNS1_11target_archE942ELNS1_3gpuE9ELNS1_3repE0EEENS1_30default_config_static_selectorELNS0_4arch9wavefront6targetE1EEEvT1_,"axG",@progbits,_ZN7rocprim17ROCPRIM_400000_NS6detail17trampoline_kernelINS0_14default_configENS1_25transform_config_selectorIjLb0EEEZNS1_14transform_implILb0ES3_S5_PjN6thrust23THRUST_200600_302600_NS6detail15normal_iteratorINS9_10device_ptrIjEEEENS0_8identityIjEEEE10hipError_tT2_T3_mT4_P12ihipStream_tbEUlT_E_NS1_11comp_targetILNS1_3genE5ELNS1_11target_archE942ELNS1_3gpuE9ELNS1_3repE0EEENS1_30default_config_static_selectorELNS0_4arch9wavefront6targetE1EEEvT1_,comdat
.Lfunc_end74:
	.size	_ZN7rocprim17ROCPRIM_400000_NS6detail17trampoline_kernelINS0_14default_configENS1_25transform_config_selectorIjLb0EEEZNS1_14transform_implILb0ES3_S5_PjN6thrust23THRUST_200600_302600_NS6detail15normal_iteratorINS9_10device_ptrIjEEEENS0_8identityIjEEEE10hipError_tT2_T3_mT4_P12ihipStream_tbEUlT_E_NS1_11comp_targetILNS1_3genE5ELNS1_11target_archE942ELNS1_3gpuE9ELNS1_3repE0EEENS1_30default_config_static_selectorELNS0_4arch9wavefront6targetE1EEEvT1_, .Lfunc_end74-_ZN7rocprim17ROCPRIM_400000_NS6detail17trampoline_kernelINS0_14default_configENS1_25transform_config_selectorIjLb0EEEZNS1_14transform_implILb0ES3_S5_PjN6thrust23THRUST_200600_302600_NS6detail15normal_iteratorINS9_10device_ptrIjEEEENS0_8identityIjEEEE10hipError_tT2_T3_mT4_P12ihipStream_tbEUlT_E_NS1_11comp_targetILNS1_3genE5ELNS1_11target_archE942ELNS1_3gpuE9ELNS1_3repE0EEENS1_30default_config_static_selectorELNS0_4arch9wavefront6targetE1EEEvT1_
                                        ; -- End function
	.section	.AMDGPU.csdata,"",@progbits
; Kernel info:
; codeLenInByte = 0
; NumSgprs: 4
; NumVgprs: 0
; NumAgprs: 0
; TotalNumVgprs: 0
; ScratchSize: 0
; MemoryBound: 0
; FloatMode: 240
; IeeeMode: 1
; LDSByteSize: 0 bytes/workgroup (compile time only)
; SGPRBlocks: 0
; VGPRBlocks: 0
; NumSGPRsForWavesPerEU: 4
; NumVGPRsForWavesPerEU: 1
; AccumOffset: 4
; Occupancy: 8
; WaveLimiterHint : 0
; COMPUTE_PGM_RSRC2:SCRATCH_EN: 0
; COMPUTE_PGM_RSRC2:USER_SGPR: 6
; COMPUTE_PGM_RSRC2:TRAP_HANDLER: 0
; COMPUTE_PGM_RSRC2:TGID_X_EN: 1
; COMPUTE_PGM_RSRC2:TGID_Y_EN: 0
; COMPUTE_PGM_RSRC2:TGID_Z_EN: 0
; COMPUTE_PGM_RSRC2:TIDIG_COMP_CNT: 0
; COMPUTE_PGM_RSRC3_GFX90A:ACCUM_OFFSET: 0
; COMPUTE_PGM_RSRC3_GFX90A:TG_SPLIT: 0
	.section	.text._ZN7rocprim17ROCPRIM_400000_NS6detail17trampoline_kernelINS0_14default_configENS1_25transform_config_selectorIjLb0EEEZNS1_14transform_implILb0ES3_S5_PjN6thrust23THRUST_200600_302600_NS6detail15normal_iteratorINS9_10device_ptrIjEEEENS0_8identityIjEEEE10hipError_tT2_T3_mT4_P12ihipStream_tbEUlT_E_NS1_11comp_targetILNS1_3genE4ELNS1_11target_archE910ELNS1_3gpuE8ELNS1_3repE0EEENS1_30default_config_static_selectorELNS0_4arch9wavefront6targetE1EEEvT1_,"axG",@progbits,_ZN7rocprim17ROCPRIM_400000_NS6detail17trampoline_kernelINS0_14default_configENS1_25transform_config_selectorIjLb0EEEZNS1_14transform_implILb0ES3_S5_PjN6thrust23THRUST_200600_302600_NS6detail15normal_iteratorINS9_10device_ptrIjEEEENS0_8identityIjEEEE10hipError_tT2_T3_mT4_P12ihipStream_tbEUlT_E_NS1_11comp_targetILNS1_3genE4ELNS1_11target_archE910ELNS1_3gpuE8ELNS1_3repE0EEENS1_30default_config_static_selectorELNS0_4arch9wavefront6targetE1EEEvT1_,comdat
	.protected	_ZN7rocprim17ROCPRIM_400000_NS6detail17trampoline_kernelINS0_14default_configENS1_25transform_config_selectorIjLb0EEEZNS1_14transform_implILb0ES3_S5_PjN6thrust23THRUST_200600_302600_NS6detail15normal_iteratorINS9_10device_ptrIjEEEENS0_8identityIjEEEE10hipError_tT2_T3_mT4_P12ihipStream_tbEUlT_E_NS1_11comp_targetILNS1_3genE4ELNS1_11target_archE910ELNS1_3gpuE8ELNS1_3repE0EEENS1_30default_config_static_selectorELNS0_4arch9wavefront6targetE1EEEvT1_ ; -- Begin function _ZN7rocprim17ROCPRIM_400000_NS6detail17trampoline_kernelINS0_14default_configENS1_25transform_config_selectorIjLb0EEEZNS1_14transform_implILb0ES3_S5_PjN6thrust23THRUST_200600_302600_NS6detail15normal_iteratorINS9_10device_ptrIjEEEENS0_8identityIjEEEE10hipError_tT2_T3_mT4_P12ihipStream_tbEUlT_E_NS1_11comp_targetILNS1_3genE4ELNS1_11target_archE910ELNS1_3gpuE8ELNS1_3repE0EEENS1_30default_config_static_selectorELNS0_4arch9wavefront6targetE1EEEvT1_
	.globl	_ZN7rocprim17ROCPRIM_400000_NS6detail17trampoline_kernelINS0_14default_configENS1_25transform_config_selectorIjLb0EEEZNS1_14transform_implILb0ES3_S5_PjN6thrust23THRUST_200600_302600_NS6detail15normal_iteratorINS9_10device_ptrIjEEEENS0_8identityIjEEEE10hipError_tT2_T3_mT4_P12ihipStream_tbEUlT_E_NS1_11comp_targetILNS1_3genE4ELNS1_11target_archE910ELNS1_3gpuE8ELNS1_3repE0EEENS1_30default_config_static_selectorELNS0_4arch9wavefront6targetE1EEEvT1_
	.p2align	8
	.type	_ZN7rocprim17ROCPRIM_400000_NS6detail17trampoline_kernelINS0_14default_configENS1_25transform_config_selectorIjLb0EEEZNS1_14transform_implILb0ES3_S5_PjN6thrust23THRUST_200600_302600_NS6detail15normal_iteratorINS9_10device_ptrIjEEEENS0_8identityIjEEEE10hipError_tT2_T3_mT4_P12ihipStream_tbEUlT_E_NS1_11comp_targetILNS1_3genE4ELNS1_11target_archE910ELNS1_3gpuE8ELNS1_3repE0EEENS1_30default_config_static_selectorELNS0_4arch9wavefront6targetE1EEEvT1_,@function
_ZN7rocprim17ROCPRIM_400000_NS6detail17trampoline_kernelINS0_14default_configENS1_25transform_config_selectorIjLb0EEEZNS1_14transform_implILb0ES3_S5_PjN6thrust23THRUST_200600_302600_NS6detail15normal_iteratorINS9_10device_ptrIjEEEENS0_8identityIjEEEE10hipError_tT2_T3_mT4_P12ihipStream_tbEUlT_E_NS1_11comp_targetILNS1_3genE4ELNS1_11target_archE910ELNS1_3gpuE8ELNS1_3repE0EEENS1_30default_config_static_selectorELNS0_4arch9wavefront6targetE1EEEvT1_: ; @_ZN7rocprim17ROCPRIM_400000_NS6detail17trampoline_kernelINS0_14default_configENS1_25transform_config_selectorIjLb0EEEZNS1_14transform_implILb0ES3_S5_PjN6thrust23THRUST_200600_302600_NS6detail15normal_iteratorINS9_10device_ptrIjEEEENS0_8identityIjEEEE10hipError_tT2_T3_mT4_P12ihipStream_tbEUlT_E_NS1_11comp_targetILNS1_3genE4ELNS1_11target_archE910ELNS1_3gpuE8ELNS1_3repE0EEENS1_30default_config_static_selectorELNS0_4arch9wavefront6targetE1EEEvT1_
; %bb.0:
	s_load_dwordx8 s[8:15], s[4:5], 0x0
	s_load_dword s2, s[4:5], 0x28
	v_lshlrev_b32_e32 v1, 2, v0
	s_waitcnt lgkmcnt(0)
	s_lshl_b64 s[0:1], s[10:11], 2
	s_add_u32 s4, s8, s0
	s_addc_u32 s5, s9, s1
	s_add_u32 s10, s14, s0
	s_addc_u32 s11, s15, s1
	s_lshl_b32 s0, s6, 11
	s_mov_b32 s1, 0
	s_add_i32 s7, s2, -1
	s_lshl_b64 s[2:3], s[0:1], 2
	s_add_u32 s8, s4, s2
	s_addc_u32 s9, s5, s3
	s_cmp_lg_u32 s6, s7
	s_cbranch_scc0 .LBB75_2
; %bb.1:
	v_mov_b32_e32 v2, s9
	v_add_co_u32_e32 v3, vcc, s8, v1
	v_addc_co_u32_e32 v4, vcc, 0, v2, vcc
	v_add_co_u32_e32 v2, vcc, 0x1000, v3
	global_load_dword v6, v1, s[8:9]
	v_addc_co_u32_e32 v3, vcc, 0, v4, vcc
	global_load_dword v3, v[2:3], off
	s_add_u32 s1, s10, s2
	s_addc_u32 s4, s11, s3
	v_mov_b32_e32 v2, s4
	v_add_co_u32_e32 v4, vcc, s1, v1
	v_addc_co_u32_e32 v5, vcc, 0, v2, vcc
	s_mov_b64 s[4:5], -1
	s_waitcnt vmcnt(1)
	flat_store_dword v[4:5], v6
	s_cbranch_execz .LBB75_3
	s_branch .LBB75_12
.LBB75_2:
	s_mov_b64 s[4:5], 0
                                        ; implicit-def: $vgpr3
                                        ; implicit-def: $vgpr4_vgpr5
.LBB75_3:
	s_sub_i32 s6, s12, s0
	v_cmp_gt_u32_e32 vcc, s6, v0
                                        ; implicit-def: $vgpr2_vgpr3
	s_and_saveexec_b64 s[0:1], vcc
	s_cbranch_execz .LBB75_5
; %bb.4:
	global_load_dword v2, v1, s[8:9]
.LBB75_5:
	s_or_b64 exec, exec, s[0:1]
	v_or_b32_e32 v0, 0x400, v0
	v_cmp_gt_u32_e64 s[0:1], s6, v0
	s_and_saveexec_b64 s[6:7], s[0:1]
	s_cbranch_execz .LBB75_7
; %bb.6:
	v_lshlrev_b32_e32 v0, 2, v0
	global_load_dword v3, v0, s[8:9]
.LBB75_7:
	s_or_b64 exec, exec, s[6:7]
	s_add_u32 s2, s10, s2
	s_addc_u32 s3, s11, s3
	v_mov_b32_e32 v0, s3
	v_add_co_u32_e64 v4, s[2:3], s2, v1
	v_addc_co_u32_e64 v5, s[2:3], 0, v0, s[2:3]
	s_and_saveexec_b64 s[2:3], vcc
	s_cbranch_execz .LBB75_9
; %bb.8:
	s_waitcnt vmcnt(0)
	flat_store_dword v[4:5], v2
.LBB75_9:
	s_or_b64 exec, exec, s[2:3]
	s_and_saveexec_b64 s[2:3], s[0:1]
; %bb.10:
	s_or_b64 s[4:5], s[4:5], exec
; %bb.11:
	s_or_b64 exec, exec, s[2:3]
.LBB75_12:
	s_and_saveexec_b64 s[0:1], s[4:5]
	s_cbranch_execnz .LBB75_14
; %bb.13:
	s_endpgm
.LBB75_14:
	v_add_co_u32_e32 v0, vcc, 0x1000, v4
	v_addc_co_u32_e32 v1, vcc, 0, v5, vcc
	s_waitcnt vmcnt(0)
	flat_store_dword v[0:1], v3
	s_endpgm
	.section	.rodata,"a",@progbits
	.p2align	6, 0x0
	.amdhsa_kernel _ZN7rocprim17ROCPRIM_400000_NS6detail17trampoline_kernelINS0_14default_configENS1_25transform_config_selectorIjLb0EEEZNS1_14transform_implILb0ES3_S5_PjN6thrust23THRUST_200600_302600_NS6detail15normal_iteratorINS9_10device_ptrIjEEEENS0_8identityIjEEEE10hipError_tT2_T3_mT4_P12ihipStream_tbEUlT_E_NS1_11comp_targetILNS1_3genE4ELNS1_11target_archE910ELNS1_3gpuE8ELNS1_3repE0EEENS1_30default_config_static_selectorELNS0_4arch9wavefront6targetE1EEEvT1_
		.amdhsa_group_segment_fixed_size 0
		.amdhsa_private_segment_fixed_size 0
		.amdhsa_kernarg_size 296
		.amdhsa_user_sgpr_count 6
		.amdhsa_user_sgpr_private_segment_buffer 1
		.amdhsa_user_sgpr_dispatch_ptr 0
		.amdhsa_user_sgpr_queue_ptr 0
		.amdhsa_user_sgpr_kernarg_segment_ptr 1
		.amdhsa_user_sgpr_dispatch_id 0
		.amdhsa_user_sgpr_flat_scratch_init 0
		.amdhsa_user_sgpr_kernarg_preload_length 0
		.amdhsa_user_sgpr_kernarg_preload_offset 0
		.amdhsa_user_sgpr_private_segment_size 0
		.amdhsa_uses_dynamic_stack 0
		.amdhsa_system_sgpr_private_segment_wavefront_offset 0
		.amdhsa_system_sgpr_workgroup_id_x 1
		.amdhsa_system_sgpr_workgroup_id_y 0
		.amdhsa_system_sgpr_workgroup_id_z 0
		.amdhsa_system_sgpr_workgroup_info 0
		.amdhsa_system_vgpr_workitem_id 0
		.amdhsa_next_free_vgpr 7
		.amdhsa_next_free_sgpr 16
		.amdhsa_accum_offset 8
		.amdhsa_reserve_vcc 1
		.amdhsa_reserve_flat_scratch 0
		.amdhsa_float_round_mode_32 0
		.amdhsa_float_round_mode_16_64 0
		.amdhsa_float_denorm_mode_32 3
		.amdhsa_float_denorm_mode_16_64 3
		.amdhsa_dx10_clamp 1
		.amdhsa_ieee_mode 1
		.amdhsa_fp16_overflow 0
		.amdhsa_tg_split 0
		.amdhsa_exception_fp_ieee_invalid_op 0
		.amdhsa_exception_fp_denorm_src 0
		.amdhsa_exception_fp_ieee_div_zero 0
		.amdhsa_exception_fp_ieee_overflow 0
		.amdhsa_exception_fp_ieee_underflow 0
		.amdhsa_exception_fp_ieee_inexact 0
		.amdhsa_exception_int_div_zero 0
	.end_amdhsa_kernel
	.section	.text._ZN7rocprim17ROCPRIM_400000_NS6detail17trampoline_kernelINS0_14default_configENS1_25transform_config_selectorIjLb0EEEZNS1_14transform_implILb0ES3_S5_PjN6thrust23THRUST_200600_302600_NS6detail15normal_iteratorINS9_10device_ptrIjEEEENS0_8identityIjEEEE10hipError_tT2_T3_mT4_P12ihipStream_tbEUlT_E_NS1_11comp_targetILNS1_3genE4ELNS1_11target_archE910ELNS1_3gpuE8ELNS1_3repE0EEENS1_30default_config_static_selectorELNS0_4arch9wavefront6targetE1EEEvT1_,"axG",@progbits,_ZN7rocprim17ROCPRIM_400000_NS6detail17trampoline_kernelINS0_14default_configENS1_25transform_config_selectorIjLb0EEEZNS1_14transform_implILb0ES3_S5_PjN6thrust23THRUST_200600_302600_NS6detail15normal_iteratorINS9_10device_ptrIjEEEENS0_8identityIjEEEE10hipError_tT2_T3_mT4_P12ihipStream_tbEUlT_E_NS1_11comp_targetILNS1_3genE4ELNS1_11target_archE910ELNS1_3gpuE8ELNS1_3repE0EEENS1_30default_config_static_selectorELNS0_4arch9wavefront6targetE1EEEvT1_,comdat
.Lfunc_end75:
	.size	_ZN7rocprim17ROCPRIM_400000_NS6detail17trampoline_kernelINS0_14default_configENS1_25transform_config_selectorIjLb0EEEZNS1_14transform_implILb0ES3_S5_PjN6thrust23THRUST_200600_302600_NS6detail15normal_iteratorINS9_10device_ptrIjEEEENS0_8identityIjEEEE10hipError_tT2_T3_mT4_P12ihipStream_tbEUlT_E_NS1_11comp_targetILNS1_3genE4ELNS1_11target_archE910ELNS1_3gpuE8ELNS1_3repE0EEENS1_30default_config_static_selectorELNS0_4arch9wavefront6targetE1EEEvT1_, .Lfunc_end75-_ZN7rocprim17ROCPRIM_400000_NS6detail17trampoline_kernelINS0_14default_configENS1_25transform_config_selectorIjLb0EEEZNS1_14transform_implILb0ES3_S5_PjN6thrust23THRUST_200600_302600_NS6detail15normal_iteratorINS9_10device_ptrIjEEEENS0_8identityIjEEEE10hipError_tT2_T3_mT4_P12ihipStream_tbEUlT_E_NS1_11comp_targetILNS1_3genE4ELNS1_11target_archE910ELNS1_3gpuE8ELNS1_3repE0EEENS1_30default_config_static_selectorELNS0_4arch9wavefront6targetE1EEEvT1_
                                        ; -- End function
	.section	.AMDGPU.csdata,"",@progbits
; Kernel info:
; codeLenInByte = 336
; NumSgprs: 20
; NumVgprs: 7
; NumAgprs: 0
; TotalNumVgprs: 7
; ScratchSize: 0
; MemoryBound: 0
; FloatMode: 240
; IeeeMode: 1
; LDSByteSize: 0 bytes/workgroup (compile time only)
; SGPRBlocks: 2
; VGPRBlocks: 0
; NumSGPRsForWavesPerEU: 20
; NumVGPRsForWavesPerEU: 7
; AccumOffset: 8
; Occupancy: 8
; WaveLimiterHint : 1
; COMPUTE_PGM_RSRC2:SCRATCH_EN: 0
; COMPUTE_PGM_RSRC2:USER_SGPR: 6
; COMPUTE_PGM_RSRC2:TRAP_HANDLER: 0
; COMPUTE_PGM_RSRC2:TGID_X_EN: 1
; COMPUTE_PGM_RSRC2:TGID_Y_EN: 0
; COMPUTE_PGM_RSRC2:TGID_Z_EN: 0
; COMPUTE_PGM_RSRC2:TIDIG_COMP_CNT: 0
; COMPUTE_PGM_RSRC3_GFX90A:ACCUM_OFFSET: 1
; COMPUTE_PGM_RSRC3_GFX90A:TG_SPLIT: 0
	.section	.text._ZN7rocprim17ROCPRIM_400000_NS6detail17trampoline_kernelINS0_14default_configENS1_25transform_config_selectorIjLb0EEEZNS1_14transform_implILb0ES3_S5_PjN6thrust23THRUST_200600_302600_NS6detail15normal_iteratorINS9_10device_ptrIjEEEENS0_8identityIjEEEE10hipError_tT2_T3_mT4_P12ihipStream_tbEUlT_E_NS1_11comp_targetILNS1_3genE3ELNS1_11target_archE908ELNS1_3gpuE7ELNS1_3repE0EEENS1_30default_config_static_selectorELNS0_4arch9wavefront6targetE1EEEvT1_,"axG",@progbits,_ZN7rocprim17ROCPRIM_400000_NS6detail17trampoline_kernelINS0_14default_configENS1_25transform_config_selectorIjLb0EEEZNS1_14transform_implILb0ES3_S5_PjN6thrust23THRUST_200600_302600_NS6detail15normal_iteratorINS9_10device_ptrIjEEEENS0_8identityIjEEEE10hipError_tT2_T3_mT4_P12ihipStream_tbEUlT_E_NS1_11comp_targetILNS1_3genE3ELNS1_11target_archE908ELNS1_3gpuE7ELNS1_3repE0EEENS1_30default_config_static_selectorELNS0_4arch9wavefront6targetE1EEEvT1_,comdat
	.protected	_ZN7rocprim17ROCPRIM_400000_NS6detail17trampoline_kernelINS0_14default_configENS1_25transform_config_selectorIjLb0EEEZNS1_14transform_implILb0ES3_S5_PjN6thrust23THRUST_200600_302600_NS6detail15normal_iteratorINS9_10device_ptrIjEEEENS0_8identityIjEEEE10hipError_tT2_T3_mT4_P12ihipStream_tbEUlT_E_NS1_11comp_targetILNS1_3genE3ELNS1_11target_archE908ELNS1_3gpuE7ELNS1_3repE0EEENS1_30default_config_static_selectorELNS0_4arch9wavefront6targetE1EEEvT1_ ; -- Begin function _ZN7rocprim17ROCPRIM_400000_NS6detail17trampoline_kernelINS0_14default_configENS1_25transform_config_selectorIjLb0EEEZNS1_14transform_implILb0ES3_S5_PjN6thrust23THRUST_200600_302600_NS6detail15normal_iteratorINS9_10device_ptrIjEEEENS0_8identityIjEEEE10hipError_tT2_T3_mT4_P12ihipStream_tbEUlT_E_NS1_11comp_targetILNS1_3genE3ELNS1_11target_archE908ELNS1_3gpuE7ELNS1_3repE0EEENS1_30default_config_static_selectorELNS0_4arch9wavefront6targetE1EEEvT1_
	.globl	_ZN7rocprim17ROCPRIM_400000_NS6detail17trampoline_kernelINS0_14default_configENS1_25transform_config_selectorIjLb0EEEZNS1_14transform_implILb0ES3_S5_PjN6thrust23THRUST_200600_302600_NS6detail15normal_iteratorINS9_10device_ptrIjEEEENS0_8identityIjEEEE10hipError_tT2_T3_mT4_P12ihipStream_tbEUlT_E_NS1_11comp_targetILNS1_3genE3ELNS1_11target_archE908ELNS1_3gpuE7ELNS1_3repE0EEENS1_30default_config_static_selectorELNS0_4arch9wavefront6targetE1EEEvT1_
	.p2align	8
	.type	_ZN7rocprim17ROCPRIM_400000_NS6detail17trampoline_kernelINS0_14default_configENS1_25transform_config_selectorIjLb0EEEZNS1_14transform_implILb0ES3_S5_PjN6thrust23THRUST_200600_302600_NS6detail15normal_iteratorINS9_10device_ptrIjEEEENS0_8identityIjEEEE10hipError_tT2_T3_mT4_P12ihipStream_tbEUlT_E_NS1_11comp_targetILNS1_3genE3ELNS1_11target_archE908ELNS1_3gpuE7ELNS1_3repE0EEENS1_30default_config_static_selectorELNS0_4arch9wavefront6targetE1EEEvT1_,@function
_ZN7rocprim17ROCPRIM_400000_NS6detail17trampoline_kernelINS0_14default_configENS1_25transform_config_selectorIjLb0EEEZNS1_14transform_implILb0ES3_S5_PjN6thrust23THRUST_200600_302600_NS6detail15normal_iteratorINS9_10device_ptrIjEEEENS0_8identityIjEEEE10hipError_tT2_T3_mT4_P12ihipStream_tbEUlT_E_NS1_11comp_targetILNS1_3genE3ELNS1_11target_archE908ELNS1_3gpuE7ELNS1_3repE0EEENS1_30default_config_static_selectorELNS0_4arch9wavefront6targetE1EEEvT1_: ; @_ZN7rocprim17ROCPRIM_400000_NS6detail17trampoline_kernelINS0_14default_configENS1_25transform_config_selectorIjLb0EEEZNS1_14transform_implILb0ES3_S5_PjN6thrust23THRUST_200600_302600_NS6detail15normal_iteratorINS9_10device_ptrIjEEEENS0_8identityIjEEEE10hipError_tT2_T3_mT4_P12ihipStream_tbEUlT_E_NS1_11comp_targetILNS1_3genE3ELNS1_11target_archE908ELNS1_3gpuE7ELNS1_3repE0EEENS1_30default_config_static_selectorELNS0_4arch9wavefront6targetE1EEEvT1_
; %bb.0:
	.section	.rodata,"a",@progbits
	.p2align	6, 0x0
	.amdhsa_kernel _ZN7rocprim17ROCPRIM_400000_NS6detail17trampoline_kernelINS0_14default_configENS1_25transform_config_selectorIjLb0EEEZNS1_14transform_implILb0ES3_S5_PjN6thrust23THRUST_200600_302600_NS6detail15normal_iteratorINS9_10device_ptrIjEEEENS0_8identityIjEEEE10hipError_tT2_T3_mT4_P12ihipStream_tbEUlT_E_NS1_11comp_targetILNS1_3genE3ELNS1_11target_archE908ELNS1_3gpuE7ELNS1_3repE0EEENS1_30default_config_static_selectorELNS0_4arch9wavefront6targetE1EEEvT1_
		.amdhsa_group_segment_fixed_size 0
		.amdhsa_private_segment_fixed_size 0
		.amdhsa_kernarg_size 40
		.amdhsa_user_sgpr_count 6
		.amdhsa_user_sgpr_private_segment_buffer 1
		.amdhsa_user_sgpr_dispatch_ptr 0
		.amdhsa_user_sgpr_queue_ptr 0
		.amdhsa_user_sgpr_kernarg_segment_ptr 1
		.amdhsa_user_sgpr_dispatch_id 0
		.amdhsa_user_sgpr_flat_scratch_init 0
		.amdhsa_user_sgpr_kernarg_preload_length 0
		.amdhsa_user_sgpr_kernarg_preload_offset 0
		.amdhsa_user_sgpr_private_segment_size 0
		.amdhsa_uses_dynamic_stack 0
		.amdhsa_system_sgpr_private_segment_wavefront_offset 0
		.amdhsa_system_sgpr_workgroup_id_x 1
		.amdhsa_system_sgpr_workgroup_id_y 0
		.amdhsa_system_sgpr_workgroup_id_z 0
		.amdhsa_system_sgpr_workgroup_info 0
		.amdhsa_system_vgpr_workitem_id 0
		.amdhsa_next_free_vgpr 1
		.amdhsa_next_free_sgpr 0
		.amdhsa_accum_offset 4
		.amdhsa_reserve_vcc 0
		.amdhsa_reserve_flat_scratch 0
		.amdhsa_float_round_mode_32 0
		.amdhsa_float_round_mode_16_64 0
		.amdhsa_float_denorm_mode_32 3
		.amdhsa_float_denorm_mode_16_64 3
		.amdhsa_dx10_clamp 1
		.amdhsa_ieee_mode 1
		.amdhsa_fp16_overflow 0
		.amdhsa_tg_split 0
		.amdhsa_exception_fp_ieee_invalid_op 0
		.amdhsa_exception_fp_denorm_src 0
		.amdhsa_exception_fp_ieee_div_zero 0
		.amdhsa_exception_fp_ieee_overflow 0
		.amdhsa_exception_fp_ieee_underflow 0
		.amdhsa_exception_fp_ieee_inexact 0
		.amdhsa_exception_int_div_zero 0
	.end_amdhsa_kernel
	.section	.text._ZN7rocprim17ROCPRIM_400000_NS6detail17trampoline_kernelINS0_14default_configENS1_25transform_config_selectorIjLb0EEEZNS1_14transform_implILb0ES3_S5_PjN6thrust23THRUST_200600_302600_NS6detail15normal_iteratorINS9_10device_ptrIjEEEENS0_8identityIjEEEE10hipError_tT2_T3_mT4_P12ihipStream_tbEUlT_E_NS1_11comp_targetILNS1_3genE3ELNS1_11target_archE908ELNS1_3gpuE7ELNS1_3repE0EEENS1_30default_config_static_selectorELNS0_4arch9wavefront6targetE1EEEvT1_,"axG",@progbits,_ZN7rocprim17ROCPRIM_400000_NS6detail17trampoline_kernelINS0_14default_configENS1_25transform_config_selectorIjLb0EEEZNS1_14transform_implILb0ES3_S5_PjN6thrust23THRUST_200600_302600_NS6detail15normal_iteratorINS9_10device_ptrIjEEEENS0_8identityIjEEEE10hipError_tT2_T3_mT4_P12ihipStream_tbEUlT_E_NS1_11comp_targetILNS1_3genE3ELNS1_11target_archE908ELNS1_3gpuE7ELNS1_3repE0EEENS1_30default_config_static_selectorELNS0_4arch9wavefront6targetE1EEEvT1_,comdat
.Lfunc_end76:
	.size	_ZN7rocprim17ROCPRIM_400000_NS6detail17trampoline_kernelINS0_14default_configENS1_25transform_config_selectorIjLb0EEEZNS1_14transform_implILb0ES3_S5_PjN6thrust23THRUST_200600_302600_NS6detail15normal_iteratorINS9_10device_ptrIjEEEENS0_8identityIjEEEE10hipError_tT2_T3_mT4_P12ihipStream_tbEUlT_E_NS1_11comp_targetILNS1_3genE3ELNS1_11target_archE908ELNS1_3gpuE7ELNS1_3repE0EEENS1_30default_config_static_selectorELNS0_4arch9wavefront6targetE1EEEvT1_, .Lfunc_end76-_ZN7rocprim17ROCPRIM_400000_NS6detail17trampoline_kernelINS0_14default_configENS1_25transform_config_selectorIjLb0EEEZNS1_14transform_implILb0ES3_S5_PjN6thrust23THRUST_200600_302600_NS6detail15normal_iteratorINS9_10device_ptrIjEEEENS0_8identityIjEEEE10hipError_tT2_T3_mT4_P12ihipStream_tbEUlT_E_NS1_11comp_targetILNS1_3genE3ELNS1_11target_archE908ELNS1_3gpuE7ELNS1_3repE0EEENS1_30default_config_static_selectorELNS0_4arch9wavefront6targetE1EEEvT1_
                                        ; -- End function
	.section	.AMDGPU.csdata,"",@progbits
; Kernel info:
; codeLenInByte = 0
; NumSgprs: 4
; NumVgprs: 0
; NumAgprs: 0
; TotalNumVgprs: 0
; ScratchSize: 0
; MemoryBound: 0
; FloatMode: 240
; IeeeMode: 1
; LDSByteSize: 0 bytes/workgroup (compile time only)
; SGPRBlocks: 0
; VGPRBlocks: 0
; NumSGPRsForWavesPerEU: 4
; NumVGPRsForWavesPerEU: 1
; AccumOffset: 4
; Occupancy: 8
; WaveLimiterHint : 0
; COMPUTE_PGM_RSRC2:SCRATCH_EN: 0
; COMPUTE_PGM_RSRC2:USER_SGPR: 6
; COMPUTE_PGM_RSRC2:TRAP_HANDLER: 0
; COMPUTE_PGM_RSRC2:TGID_X_EN: 1
; COMPUTE_PGM_RSRC2:TGID_Y_EN: 0
; COMPUTE_PGM_RSRC2:TGID_Z_EN: 0
; COMPUTE_PGM_RSRC2:TIDIG_COMP_CNT: 0
; COMPUTE_PGM_RSRC3_GFX90A:ACCUM_OFFSET: 0
; COMPUTE_PGM_RSRC3_GFX90A:TG_SPLIT: 0
	.section	.text._ZN7rocprim17ROCPRIM_400000_NS6detail17trampoline_kernelINS0_14default_configENS1_25transform_config_selectorIjLb0EEEZNS1_14transform_implILb0ES3_S5_PjN6thrust23THRUST_200600_302600_NS6detail15normal_iteratorINS9_10device_ptrIjEEEENS0_8identityIjEEEE10hipError_tT2_T3_mT4_P12ihipStream_tbEUlT_E_NS1_11comp_targetILNS1_3genE2ELNS1_11target_archE906ELNS1_3gpuE6ELNS1_3repE0EEENS1_30default_config_static_selectorELNS0_4arch9wavefront6targetE1EEEvT1_,"axG",@progbits,_ZN7rocprim17ROCPRIM_400000_NS6detail17trampoline_kernelINS0_14default_configENS1_25transform_config_selectorIjLb0EEEZNS1_14transform_implILb0ES3_S5_PjN6thrust23THRUST_200600_302600_NS6detail15normal_iteratorINS9_10device_ptrIjEEEENS0_8identityIjEEEE10hipError_tT2_T3_mT4_P12ihipStream_tbEUlT_E_NS1_11comp_targetILNS1_3genE2ELNS1_11target_archE906ELNS1_3gpuE6ELNS1_3repE0EEENS1_30default_config_static_selectorELNS0_4arch9wavefront6targetE1EEEvT1_,comdat
	.protected	_ZN7rocprim17ROCPRIM_400000_NS6detail17trampoline_kernelINS0_14default_configENS1_25transform_config_selectorIjLb0EEEZNS1_14transform_implILb0ES3_S5_PjN6thrust23THRUST_200600_302600_NS6detail15normal_iteratorINS9_10device_ptrIjEEEENS0_8identityIjEEEE10hipError_tT2_T3_mT4_P12ihipStream_tbEUlT_E_NS1_11comp_targetILNS1_3genE2ELNS1_11target_archE906ELNS1_3gpuE6ELNS1_3repE0EEENS1_30default_config_static_selectorELNS0_4arch9wavefront6targetE1EEEvT1_ ; -- Begin function _ZN7rocprim17ROCPRIM_400000_NS6detail17trampoline_kernelINS0_14default_configENS1_25transform_config_selectorIjLb0EEEZNS1_14transform_implILb0ES3_S5_PjN6thrust23THRUST_200600_302600_NS6detail15normal_iteratorINS9_10device_ptrIjEEEENS0_8identityIjEEEE10hipError_tT2_T3_mT4_P12ihipStream_tbEUlT_E_NS1_11comp_targetILNS1_3genE2ELNS1_11target_archE906ELNS1_3gpuE6ELNS1_3repE0EEENS1_30default_config_static_selectorELNS0_4arch9wavefront6targetE1EEEvT1_
	.globl	_ZN7rocprim17ROCPRIM_400000_NS6detail17trampoline_kernelINS0_14default_configENS1_25transform_config_selectorIjLb0EEEZNS1_14transform_implILb0ES3_S5_PjN6thrust23THRUST_200600_302600_NS6detail15normal_iteratorINS9_10device_ptrIjEEEENS0_8identityIjEEEE10hipError_tT2_T3_mT4_P12ihipStream_tbEUlT_E_NS1_11comp_targetILNS1_3genE2ELNS1_11target_archE906ELNS1_3gpuE6ELNS1_3repE0EEENS1_30default_config_static_selectorELNS0_4arch9wavefront6targetE1EEEvT1_
	.p2align	8
	.type	_ZN7rocprim17ROCPRIM_400000_NS6detail17trampoline_kernelINS0_14default_configENS1_25transform_config_selectorIjLb0EEEZNS1_14transform_implILb0ES3_S5_PjN6thrust23THRUST_200600_302600_NS6detail15normal_iteratorINS9_10device_ptrIjEEEENS0_8identityIjEEEE10hipError_tT2_T3_mT4_P12ihipStream_tbEUlT_E_NS1_11comp_targetILNS1_3genE2ELNS1_11target_archE906ELNS1_3gpuE6ELNS1_3repE0EEENS1_30default_config_static_selectorELNS0_4arch9wavefront6targetE1EEEvT1_,@function
_ZN7rocprim17ROCPRIM_400000_NS6detail17trampoline_kernelINS0_14default_configENS1_25transform_config_selectorIjLb0EEEZNS1_14transform_implILb0ES3_S5_PjN6thrust23THRUST_200600_302600_NS6detail15normal_iteratorINS9_10device_ptrIjEEEENS0_8identityIjEEEE10hipError_tT2_T3_mT4_P12ihipStream_tbEUlT_E_NS1_11comp_targetILNS1_3genE2ELNS1_11target_archE906ELNS1_3gpuE6ELNS1_3repE0EEENS1_30default_config_static_selectorELNS0_4arch9wavefront6targetE1EEEvT1_: ; @_ZN7rocprim17ROCPRIM_400000_NS6detail17trampoline_kernelINS0_14default_configENS1_25transform_config_selectorIjLb0EEEZNS1_14transform_implILb0ES3_S5_PjN6thrust23THRUST_200600_302600_NS6detail15normal_iteratorINS9_10device_ptrIjEEEENS0_8identityIjEEEE10hipError_tT2_T3_mT4_P12ihipStream_tbEUlT_E_NS1_11comp_targetILNS1_3genE2ELNS1_11target_archE906ELNS1_3gpuE6ELNS1_3repE0EEENS1_30default_config_static_selectorELNS0_4arch9wavefront6targetE1EEEvT1_
; %bb.0:
	.section	.rodata,"a",@progbits
	.p2align	6, 0x0
	.amdhsa_kernel _ZN7rocprim17ROCPRIM_400000_NS6detail17trampoline_kernelINS0_14default_configENS1_25transform_config_selectorIjLb0EEEZNS1_14transform_implILb0ES3_S5_PjN6thrust23THRUST_200600_302600_NS6detail15normal_iteratorINS9_10device_ptrIjEEEENS0_8identityIjEEEE10hipError_tT2_T3_mT4_P12ihipStream_tbEUlT_E_NS1_11comp_targetILNS1_3genE2ELNS1_11target_archE906ELNS1_3gpuE6ELNS1_3repE0EEENS1_30default_config_static_selectorELNS0_4arch9wavefront6targetE1EEEvT1_
		.amdhsa_group_segment_fixed_size 0
		.amdhsa_private_segment_fixed_size 0
		.amdhsa_kernarg_size 40
		.amdhsa_user_sgpr_count 6
		.amdhsa_user_sgpr_private_segment_buffer 1
		.amdhsa_user_sgpr_dispatch_ptr 0
		.amdhsa_user_sgpr_queue_ptr 0
		.amdhsa_user_sgpr_kernarg_segment_ptr 1
		.amdhsa_user_sgpr_dispatch_id 0
		.amdhsa_user_sgpr_flat_scratch_init 0
		.amdhsa_user_sgpr_kernarg_preload_length 0
		.amdhsa_user_sgpr_kernarg_preload_offset 0
		.amdhsa_user_sgpr_private_segment_size 0
		.amdhsa_uses_dynamic_stack 0
		.amdhsa_system_sgpr_private_segment_wavefront_offset 0
		.amdhsa_system_sgpr_workgroup_id_x 1
		.amdhsa_system_sgpr_workgroup_id_y 0
		.amdhsa_system_sgpr_workgroup_id_z 0
		.amdhsa_system_sgpr_workgroup_info 0
		.amdhsa_system_vgpr_workitem_id 0
		.amdhsa_next_free_vgpr 1
		.amdhsa_next_free_sgpr 0
		.amdhsa_accum_offset 4
		.amdhsa_reserve_vcc 0
		.amdhsa_reserve_flat_scratch 0
		.amdhsa_float_round_mode_32 0
		.amdhsa_float_round_mode_16_64 0
		.amdhsa_float_denorm_mode_32 3
		.amdhsa_float_denorm_mode_16_64 3
		.amdhsa_dx10_clamp 1
		.amdhsa_ieee_mode 1
		.amdhsa_fp16_overflow 0
		.amdhsa_tg_split 0
		.amdhsa_exception_fp_ieee_invalid_op 0
		.amdhsa_exception_fp_denorm_src 0
		.amdhsa_exception_fp_ieee_div_zero 0
		.amdhsa_exception_fp_ieee_overflow 0
		.amdhsa_exception_fp_ieee_underflow 0
		.amdhsa_exception_fp_ieee_inexact 0
		.amdhsa_exception_int_div_zero 0
	.end_amdhsa_kernel
	.section	.text._ZN7rocprim17ROCPRIM_400000_NS6detail17trampoline_kernelINS0_14default_configENS1_25transform_config_selectorIjLb0EEEZNS1_14transform_implILb0ES3_S5_PjN6thrust23THRUST_200600_302600_NS6detail15normal_iteratorINS9_10device_ptrIjEEEENS0_8identityIjEEEE10hipError_tT2_T3_mT4_P12ihipStream_tbEUlT_E_NS1_11comp_targetILNS1_3genE2ELNS1_11target_archE906ELNS1_3gpuE6ELNS1_3repE0EEENS1_30default_config_static_selectorELNS0_4arch9wavefront6targetE1EEEvT1_,"axG",@progbits,_ZN7rocprim17ROCPRIM_400000_NS6detail17trampoline_kernelINS0_14default_configENS1_25transform_config_selectorIjLb0EEEZNS1_14transform_implILb0ES3_S5_PjN6thrust23THRUST_200600_302600_NS6detail15normal_iteratorINS9_10device_ptrIjEEEENS0_8identityIjEEEE10hipError_tT2_T3_mT4_P12ihipStream_tbEUlT_E_NS1_11comp_targetILNS1_3genE2ELNS1_11target_archE906ELNS1_3gpuE6ELNS1_3repE0EEENS1_30default_config_static_selectorELNS0_4arch9wavefront6targetE1EEEvT1_,comdat
.Lfunc_end77:
	.size	_ZN7rocprim17ROCPRIM_400000_NS6detail17trampoline_kernelINS0_14default_configENS1_25transform_config_selectorIjLb0EEEZNS1_14transform_implILb0ES3_S5_PjN6thrust23THRUST_200600_302600_NS6detail15normal_iteratorINS9_10device_ptrIjEEEENS0_8identityIjEEEE10hipError_tT2_T3_mT4_P12ihipStream_tbEUlT_E_NS1_11comp_targetILNS1_3genE2ELNS1_11target_archE906ELNS1_3gpuE6ELNS1_3repE0EEENS1_30default_config_static_selectorELNS0_4arch9wavefront6targetE1EEEvT1_, .Lfunc_end77-_ZN7rocprim17ROCPRIM_400000_NS6detail17trampoline_kernelINS0_14default_configENS1_25transform_config_selectorIjLb0EEEZNS1_14transform_implILb0ES3_S5_PjN6thrust23THRUST_200600_302600_NS6detail15normal_iteratorINS9_10device_ptrIjEEEENS0_8identityIjEEEE10hipError_tT2_T3_mT4_P12ihipStream_tbEUlT_E_NS1_11comp_targetILNS1_3genE2ELNS1_11target_archE906ELNS1_3gpuE6ELNS1_3repE0EEENS1_30default_config_static_selectorELNS0_4arch9wavefront6targetE1EEEvT1_
                                        ; -- End function
	.section	.AMDGPU.csdata,"",@progbits
; Kernel info:
; codeLenInByte = 0
; NumSgprs: 4
; NumVgprs: 0
; NumAgprs: 0
; TotalNumVgprs: 0
; ScratchSize: 0
; MemoryBound: 0
; FloatMode: 240
; IeeeMode: 1
; LDSByteSize: 0 bytes/workgroup (compile time only)
; SGPRBlocks: 0
; VGPRBlocks: 0
; NumSGPRsForWavesPerEU: 4
; NumVGPRsForWavesPerEU: 1
; AccumOffset: 4
; Occupancy: 8
; WaveLimiterHint : 0
; COMPUTE_PGM_RSRC2:SCRATCH_EN: 0
; COMPUTE_PGM_RSRC2:USER_SGPR: 6
; COMPUTE_PGM_RSRC2:TRAP_HANDLER: 0
; COMPUTE_PGM_RSRC2:TGID_X_EN: 1
; COMPUTE_PGM_RSRC2:TGID_Y_EN: 0
; COMPUTE_PGM_RSRC2:TGID_Z_EN: 0
; COMPUTE_PGM_RSRC2:TIDIG_COMP_CNT: 0
; COMPUTE_PGM_RSRC3_GFX90A:ACCUM_OFFSET: 0
; COMPUTE_PGM_RSRC3_GFX90A:TG_SPLIT: 0
	.section	.text._ZN7rocprim17ROCPRIM_400000_NS6detail17trampoline_kernelINS0_14default_configENS1_25transform_config_selectorIjLb0EEEZNS1_14transform_implILb0ES3_S5_PjN6thrust23THRUST_200600_302600_NS6detail15normal_iteratorINS9_10device_ptrIjEEEENS0_8identityIjEEEE10hipError_tT2_T3_mT4_P12ihipStream_tbEUlT_E_NS1_11comp_targetILNS1_3genE10ELNS1_11target_archE1201ELNS1_3gpuE5ELNS1_3repE0EEENS1_30default_config_static_selectorELNS0_4arch9wavefront6targetE1EEEvT1_,"axG",@progbits,_ZN7rocprim17ROCPRIM_400000_NS6detail17trampoline_kernelINS0_14default_configENS1_25transform_config_selectorIjLb0EEEZNS1_14transform_implILb0ES3_S5_PjN6thrust23THRUST_200600_302600_NS6detail15normal_iteratorINS9_10device_ptrIjEEEENS0_8identityIjEEEE10hipError_tT2_T3_mT4_P12ihipStream_tbEUlT_E_NS1_11comp_targetILNS1_3genE10ELNS1_11target_archE1201ELNS1_3gpuE5ELNS1_3repE0EEENS1_30default_config_static_selectorELNS0_4arch9wavefront6targetE1EEEvT1_,comdat
	.protected	_ZN7rocprim17ROCPRIM_400000_NS6detail17trampoline_kernelINS0_14default_configENS1_25transform_config_selectorIjLb0EEEZNS1_14transform_implILb0ES3_S5_PjN6thrust23THRUST_200600_302600_NS6detail15normal_iteratorINS9_10device_ptrIjEEEENS0_8identityIjEEEE10hipError_tT2_T3_mT4_P12ihipStream_tbEUlT_E_NS1_11comp_targetILNS1_3genE10ELNS1_11target_archE1201ELNS1_3gpuE5ELNS1_3repE0EEENS1_30default_config_static_selectorELNS0_4arch9wavefront6targetE1EEEvT1_ ; -- Begin function _ZN7rocprim17ROCPRIM_400000_NS6detail17trampoline_kernelINS0_14default_configENS1_25transform_config_selectorIjLb0EEEZNS1_14transform_implILb0ES3_S5_PjN6thrust23THRUST_200600_302600_NS6detail15normal_iteratorINS9_10device_ptrIjEEEENS0_8identityIjEEEE10hipError_tT2_T3_mT4_P12ihipStream_tbEUlT_E_NS1_11comp_targetILNS1_3genE10ELNS1_11target_archE1201ELNS1_3gpuE5ELNS1_3repE0EEENS1_30default_config_static_selectorELNS0_4arch9wavefront6targetE1EEEvT1_
	.globl	_ZN7rocprim17ROCPRIM_400000_NS6detail17trampoline_kernelINS0_14default_configENS1_25transform_config_selectorIjLb0EEEZNS1_14transform_implILb0ES3_S5_PjN6thrust23THRUST_200600_302600_NS6detail15normal_iteratorINS9_10device_ptrIjEEEENS0_8identityIjEEEE10hipError_tT2_T3_mT4_P12ihipStream_tbEUlT_E_NS1_11comp_targetILNS1_3genE10ELNS1_11target_archE1201ELNS1_3gpuE5ELNS1_3repE0EEENS1_30default_config_static_selectorELNS0_4arch9wavefront6targetE1EEEvT1_
	.p2align	8
	.type	_ZN7rocprim17ROCPRIM_400000_NS6detail17trampoline_kernelINS0_14default_configENS1_25transform_config_selectorIjLb0EEEZNS1_14transform_implILb0ES3_S5_PjN6thrust23THRUST_200600_302600_NS6detail15normal_iteratorINS9_10device_ptrIjEEEENS0_8identityIjEEEE10hipError_tT2_T3_mT4_P12ihipStream_tbEUlT_E_NS1_11comp_targetILNS1_3genE10ELNS1_11target_archE1201ELNS1_3gpuE5ELNS1_3repE0EEENS1_30default_config_static_selectorELNS0_4arch9wavefront6targetE1EEEvT1_,@function
_ZN7rocprim17ROCPRIM_400000_NS6detail17trampoline_kernelINS0_14default_configENS1_25transform_config_selectorIjLb0EEEZNS1_14transform_implILb0ES3_S5_PjN6thrust23THRUST_200600_302600_NS6detail15normal_iteratorINS9_10device_ptrIjEEEENS0_8identityIjEEEE10hipError_tT2_T3_mT4_P12ihipStream_tbEUlT_E_NS1_11comp_targetILNS1_3genE10ELNS1_11target_archE1201ELNS1_3gpuE5ELNS1_3repE0EEENS1_30default_config_static_selectorELNS0_4arch9wavefront6targetE1EEEvT1_: ; @_ZN7rocprim17ROCPRIM_400000_NS6detail17trampoline_kernelINS0_14default_configENS1_25transform_config_selectorIjLb0EEEZNS1_14transform_implILb0ES3_S5_PjN6thrust23THRUST_200600_302600_NS6detail15normal_iteratorINS9_10device_ptrIjEEEENS0_8identityIjEEEE10hipError_tT2_T3_mT4_P12ihipStream_tbEUlT_E_NS1_11comp_targetILNS1_3genE10ELNS1_11target_archE1201ELNS1_3gpuE5ELNS1_3repE0EEENS1_30default_config_static_selectorELNS0_4arch9wavefront6targetE1EEEvT1_
; %bb.0:
	.section	.rodata,"a",@progbits
	.p2align	6, 0x0
	.amdhsa_kernel _ZN7rocprim17ROCPRIM_400000_NS6detail17trampoline_kernelINS0_14default_configENS1_25transform_config_selectorIjLb0EEEZNS1_14transform_implILb0ES3_S5_PjN6thrust23THRUST_200600_302600_NS6detail15normal_iteratorINS9_10device_ptrIjEEEENS0_8identityIjEEEE10hipError_tT2_T3_mT4_P12ihipStream_tbEUlT_E_NS1_11comp_targetILNS1_3genE10ELNS1_11target_archE1201ELNS1_3gpuE5ELNS1_3repE0EEENS1_30default_config_static_selectorELNS0_4arch9wavefront6targetE1EEEvT1_
		.amdhsa_group_segment_fixed_size 0
		.amdhsa_private_segment_fixed_size 0
		.amdhsa_kernarg_size 40
		.amdhsa_user_sgpr_count 6
		.amdhsa_user_sgpr_private_segment_buffer 1
		.amdhsa_user_sgpr_dispatch_ptr 0
		.amdhsa_user_sgpr_queue_ptr 0
		.amdhsa_user_sgpr_kernarg_segment_ptr 1
		.amdhsa_user_sgpr_dispatch_id 0
		.amdhsa_user_sgpr_flat_scratch_init 0
		.amdhsa_user_sgpr_kernarg_preload_length 0
		.amdhsa_user_sgpr_kernarg_preload_offset 0
		.amdhsa_user_sgpr_private_segment_size 0
		.amdhsa_uses_dynamic_stack 0
		.amdhsa_system_sgpr_private_segment_wavefront_offset 0
		.amdhsa_system_sgpr_workgroup_id_x 1
		.amdhsa_system_sgpr_workgroup_id_y 0
		.amdhsa_system_sgpr_workgroup_id_z 0
		.amdhsa_system_sgpr_workgroup_info 0
		.amdhsa_system_vgpr_workitem_id 0
		.amdhsa_next_free_vgpr 1
		.amdhsa_next_free_sgpr 0
		.amdhsa_accum_offset 4
		.amdhsa_reserve_vcc 0
		.amdhsa_reserve_flat_scratch 0
		.amdhsa_float_round_mode_32 0
		.amdhsa_float_round_mode_16_64 0
		.amdhsa_float_denorm_mode_32 3
		.amdhsa_float_denorm_mode_16_64 3
		.amdhsa_dx10_clamp 1
		.amdhsa_ieee_mode 1
		.amdhsa_fp16_overflow 0
		.amdhsa_tg_split 0
		.amdhsa_exception_fp_ieee_invalid_op 0
		.amdhsa_exception_fp_denorm_src 0
		.amdhsa_exception_fp_ieee_div_zero 0
		.amdhsa_exception_fp_ieee_overflow 0
		.amdhsa_exception_fp_ieee_underflow 0
		.amdhsa_exception_fp_ieee_inexact 0
		.amdhsa_exception_int_div_zero 0
	.end_amdhsa_kernel
	.section	.text._ZN7rocprim17ROCPRIM_400000_NS6detail17trampoline_kernelINS0_14default_configENS1_25transform_config_selectorIjLb0EEEZNS1_14transform_implILb0ES3_S5_PjN6thrust23THRUST_200600_302600_NS6detail15normal_iteratorINS9_10device_ptrIjEEEENS0_8identityIjEEEE10hipError_tT2_T3_mT4_P12ihipStream_tbEUlT_E_NS1_11comp_targetILNS1_3genE10ELNS1_11target_archE1201ELNS1_3gpuE5ELNS1_3repE0EEENS1_30default_config_static_selectorELNS0_4arch9wavefront6targetE1EEEvT1_,"axG",@progbits,_ZN7rocprim17ROCPRIM_400000_NS6detail17trampoline_kernelINS0_14default_configENS1_25transform_config_selectorIjLb0EEEZNS1_14transform_implILb0ES3_S5_PjN6thrust23THRUST_200600_302600_NS6detail15normal_iteratorINS9_10device_ptrIjEEEENS0_8identityIjEEEE10hipError_tT2_T3_mT4_P12ihipStream_tbEUlT_E_NS1_11comp_targetILNS1_3genE10ELNS1_11target_archE1201ELNS1_3gpuE5ELNS1_3repE0EEENS1_30default_config_static_selectorELNS0_4arch9wavefront6targetE1EEEvT1_,comdat
.Lfunc_end78:
	.size	_ZN7rocprim17ROCPRIM_400000_NS6detail17trampoline_kernelINS0_14default_configENS1_25transform_config_selectorIjLb0EEEZNS1_14transform_implILb0ES3_S5_PjN6thrust23THRUST_200600_302600_NS6detail15normal_iteratorINS9_10device_ptrIjEEEENS0_8identityIjEEEE10hipError_tT2_T3_mT4_P12ihipStream_tbEUlT_E_NS1_11comp_targetILNS1_3genE10ELNS1_11target_archE1201ELNS1_3gpuE5ELNS1_3repE0EEENS1_30default_config_static_selectorELNS0_4arch9wavefront6targetE1EEEvT1_, .Lfunc_end78-_ZN7rocprim17ROCPRIM_400000_NS6detail17trampoline_kernelINS0_14default_configENS1_25transform_config_selectorIjLb0EEEZNS1_14transform_implILb0ES3_S5_PjN6thrust23THRUST_200600_302600_NS6detail15normal_iteratorINS9_10device_ptrIjEEEENS0_8identityIjEEEE10hipError_tT2_T3_mT4_P12ihipStream_tbEUlT_E_NS1_11comp_targetILNS1_3genE10ELNS1_11target_archE1201ELNS1_3gpuE5ELNS1_3repE0EEENS1_30default_config_static_selectorELNS0_4arch9wavefront6targetE1EEEvT1_
                                        ; -- End function
	.section	.AMDGPU.csdata,"",@progbits
; Kernel info:
; codeLenInByte = 0
; NumSgprs: 4
; NumVgprs: 0
; NumAgprs: 0
; TotalNumVgprs: 0
; ScratchSize: 0
; MemoryBound: 0
; FloatMode: 240
; IeeeMode: 1
; LDSByteSize: 0 bytes/workgroup (compile time only)
; SGPRBlocks: 0
; VGPRBlocks: 0
; NumSGPRsForWavesPerEU: 4
; NumVGPRsForWavesPerEU: 1
; AccumOffset: 4
; Occupancy: 8
; WaveLimiterHint : 0
; COMPUTE_PGM_RSRC2:SCRATCH_EN: 0
; COMPUTE_PGM_RSRC2:USER_SGPR: 6
; COMPUTE_PGM_RSRC2:TRAP_HANDLER: 0
; COMPUTE_PGM_RSRC2:TGID_X_EN: 1
; COMPUTE_PGM_RSRC2:TGID_Y_EN: 0
; COMPUTE_PGM_RSRC2:TGID_Z_EN: 0
; COMPUTE_PGM_RSRC2:TIDIG_COMP_CNT: 0
; COMPUTE_PGM_RSRC3_GFX90A:ACCUM_OFFSET: 0
; COMPUTE_PGM_RSRC3_GFX90A:TG_SPLIT: 0
	.section	.text._ZN7rocprim17ROCPRIM_400000_NS6detail17trampoline_kernelINS0_14default_configENS1_25transform_config_selectorIjLb0EEEZNS1_14transform_implILb0ES3_S5_PjN6thrust23THRUST_200600_302600_NS6detail15normal_iteratorINS9_10device_ptrIjEEEENS0_8identityIjEEEE10hipError_tT2_T3_mT4_P12ihipStream_tbEUlT_E_NS1_11comp_targetILNS1_3genE10ELNS1_11target_archE1200ELNS1_3gpuE4ELNS1_3repE0EEENS1_30default_config_static_selectorELNS0_4arch9wavefront6targetE1EEEvT1_,"axG",@progbits,_ZN7rocprim17ROCPRIM_400000_NS6detail17trampoline_kernelINS0_14default_configENS1_25transform_config_selectorIjLb0EEEZNS1_14transform_implILb0ES3_S5_PjN6thrust23THRUST_200600_302600_NS6detail15normal_iteratorINS9_10device_ptrIjEEEENS0_8identityIjEEEE10hipError_tT2_T3_mT4_P12ihipStream_tbEUlT_E_NS1_11comp_targetILNS1_3genE10ELNS1_11target_archE1200ELNS1_3gpuE4ELNS1_3repE0EEENS1_30default_config_static_selectorELNS0_4arch9wavefront6targetE1EEEvT1_,comdat
	.protected	_ZN7rocprim17ROCPRIM_400000_NS6detail17trampoline_kernelINS0_14default_configENS1_25transform_config_selectorIjLb0EEEZNS1_14transform_implILb0ES3_S5_PjN6thrust23THRUST_200600_302600_NS6detail15normal_iteratorINS9_10device_ptrIjEEEENS0_8identityIjEEEE10hipError_tT2_T3_mT4_P12ihipStream_tbEUlT_E_NS1_11comp_targetILNS1_3genE10ELNS1_11target_archE1200ELNS1_3gpuE4ELNS1_3repE0EEENS1_30default_config_static_selectorELNS0_4arch9wavefront6targetE1EEEvT1_ ; -- Begin function _ZN7rocprim17ROCPRIM_400000_NS6detail17trampoline_kernelINS0_14default_configENS1_25transform_config_selectorIjLb0EEEZNS1_14transform_implILb0ES3_S5_PjN6thrust23THRUST_200600_302600_NS6detail15normal_iteratorINS9_10device_ptrIjEEEENS0_8identityIjEEEE10hipError_tT2_T3_mT4_P12ihipStream_tbEUlT_E_NS1_11comp_targetILNS1_3genE10ELNS1_11target_archE1200ELNS1_3gpuE4ELNS1_3repE0EEENS1_30default_config_static_selectorELNS0_4arch9wavefront6targetE1EEEvT1_
	.globl	_ZN7rocprim17ROCPRIM_400000_NS6detail17trampoline_kernelINS0_14default_configENS1_25transform_config_selectorIjLb0EEEZNS1_14transform_implILb0ES3_S5_PjN6thrust23THRUST_200600_302600_NS6detail15normal_iteratorINS9_10device_ptrIjEEEENS0_8identityIjEEEE10hipError_tT2_T3_mT4_P12ihipStream_tbEUlT_E_NS1_11comp_targetILNS1_3genE10ELNS1_11target_archE1200ELNS1_3gpuE4ELNS1_3repE0EEENS1_30default_config_static_selectorELNS0_4arch9wavefront6targetE1EEEvT1_
	.p2align	8
	.type	_ZN7rocprim17ROCPRIM_400000_NS6detail17trampoline_kernelINS0_14default_configENS1_25transform_config_selectorIjLb0EEEZNS1_14transform_implILb0ES3_S5_PjN6thrust23THRUST_200600_302600_NS6detail15normal_iteratorINS9_10device_ptrIjEEEENS0_8identityIjEEEE10hipError_tT2_T3_mT4_P12ihipStream_tbEUlT_E_NS1_11comp_targetILNS1_3genE10ELNS1_11target_archE1200ELNS1_3gpuE4ELNS1_3repE0EEENS1_30default_config_static_selectorELNS0_4arch9wavefront6targetE1EEEvT1_,@function
_ZN7rocprim17ROCPRIM_400000_NS6detail17trampoline_kernelINS0_14default_configENS1_25transform_config_selectorIjLb0EEEZNS1_14transform_implILb0ES3_S5_PjN6thrust23THRUST_200600_302600_NS6detail15normal_iteratorINS9_10device_ptrIjEEEENS0_8identityIjEEEE10hipError_tT2_T3_mT4_P12ihipStream_tbEUlT_E_NS1_11comp_targetILNS1_3genE10ELNS1_11target_archE1200ELNS1_3gpuE4ELNS1_3repE0EEENS1_30default_config_static_selectorELNS0_4arch9wavefront6targetE1EEEvT1_: ; @_ZN7rocprim17ROCPRIM_400000_NS6detail17trampoline_kernelINS0_14default_configENS1_25transform_config_selectorIjLb0EEEZNS1_14transform_implILb0ES3_S5_PjN6thrust23THRUST_200600_302600_NS6detail15normal_iteratorINS9_10device_ptrIjEEEENS0_8identityIjEEEE10hipError_tT2_T3_mT4_P12ihipStream_tbEUlT_E_NS1_11comp_targetILNS1_3genE10ELNS1_11target_archE1200ELNS1_3gpuE4ELNS1_3repE0EEENS1_30default_config_static_selectorELNS0_4arch9wavefront6targetE1EEEvT1_
; %bb.0:
	.section	.rodata,"a",@progbits
	.p2align	6, 0x0
	.amdhsa_kernel _ZN7rocprim17ROCPRIM_400000_NS6detail17trampoline_kernelINS0_14default_configENS1_25transform_config_selectorIjLb0EEEZNS1_14transform_implILb0ES3_S5_PjN6thrust23THRUST_200600_302600_NS6detail15normal_iteratorINS9_10device_ptrIjEEEENS0_8identityIjEEEE10hipError_tT2_T3_mT4_P12ihipStream_tbEUlT_E_NS1_11comp_targetILNS1_3genE10ELNS1_11target_archE1200ELNS1_3gpuE4ELNS1_3repE0EEENS1_30default_config_static_selectorELNS0_4arch9wavefront6targetE1EEEvT1_
		.amdhsa_group_segment_fixed_size 0
		.amdhsa_private_segment_fixed_size 0
		.amdhsa_kernarg_size 40
		.amdhsa_user_sgpr_count 6
		.amdhsa_user_sgpr_private_segment_buffer 1
		.amdhsa_user_sgpr_dispatch_ptr 0
		.amdhsa_user_sgpr_queue_ptr 0
		.amdhsa_user_sgpr_kernarg_segment_ptr 1
		.amdhsa_user_sgpr_dispatch_id 0
		.amdhsa_user_sgpr_flat_scratch_init 0
		.amdhsa_user_sgpr_kernarg_preload_length 0
		.amdhsa_user_sgpr_kernarg_preload_offset 0
		.amdhsa_user_sgpr_private_segment_size 0
		.amdhsa_uses_dynamic_stack 0
		.amdhsa_system_sgpr_private_segment_wavefront_offset 0
		.amdhsa_system_sgpr_workgroup_id_x 1
		.amdhsa_system_sgpr_workgroup_id_y 0
		.amdhsa_system_sgpr_workgroup_id_z 0
		.amdhsa_system_sgpr_workgroup_info 0
		.amdhsa_system_vgpr_workitem_id 0
		.amdhsa_next_free_vgpr 1
		.amdhsa_next_free_sgpr 0
		.amdhsa_accum_offset 4
		.amdhsa_reserve_vcc 0
		.amdhsa_reserve_flat_scratch 0
		.amdhsa_float_round_mode_32 0
		.amdhsa_float_round_mode_16_64 0
		.amdhsa_float_denorm_mode_32 3
		.amdhsa_float_denorm_mode_16_64 3
		.amdhsa_dx10_clamp 1
		.amdhsa_ieee_mode 1
		.amdhsa_fp16_overflow 0
		.amdhsa_tg_split 0
		.amdhsa_exception_fp_ieee_invalid_op 0
		.amdhsa_exception_fp_denorm_src 0
		.amdhsa_exception_fp_ieee_div_zero 0
		.amdhsa_exception_fp_ieee_overflow 0
		.amdhsa_exception_fp_ieee_underflow 0
		.amdhsa_exception_fp_ieee_inexact 0
		.amdhsa_exception_int_div_zero 0
	.end_amdhsa_kernel
	.section	.text._ZN7rocprim17ROCPRIM_400000_NS6detail17trampoline_kernelINS0_14default_configENS1_25transform_config_selectorIjLb0EEEZNS1_14transform_implILb0ES3_S5_PjN6thrust23THRUST_200600_302600_NS6detail15normal_iteratorINS9_10device_ptrIjEEEENS0_8identityIjEEEE10hipError_tT2_T3_mT4_P12ihipStream_tbEUlT_E_NS1_11comp_targetILNS1_3genE10ELNS1_11target_archE1200ELNS1_3gpuE4ELNS1_3repE0EEENS1_30default_config_static_selectorELNS0_4arch9wavefront6targetE1EEEvT1_,"axG",@progbits,_ZN7rocprim17ROCPRIM_400000_NS6detail17trampoline_kernelINS0_14default_configENS1_25transform_config_selectorIjLb0EEEZNS1_14transform_implILb0ES3_S5_PjN6thrust23THRUST_200600_302600_NS6detail15normal_iteratorINS9_10device_ptrIjEEEENS0_8identityIjEEEE10hipError_tT2_T3_mT4_P12ihipStream_tbEUlT_E_NS1_11comp_targetILNS1_3genE10ELNS1_11target_archE1200ELNS1_3gpuE4ELNS1_3repE0EEENS1_30default_config_static_selectorELNS0_4arch9wavefront6targetE1EEEvT1_,comdat
.Lfunc_end79:
	.size	_ZN7rocprim17ROCPRIM_400000_NS6detail17trampoline_kernelINS0_14default_configENS1_25transform_config_selectorIjLb0EEEZNS1_14transform_implILb0ES3_S5_PjN6thrust23THRUST_200600_302600_NS6detail15normal_iteratorINS9_10device_ptrIjEEEENS0_8identityIjEEEE10hipError_tT2_T3_mT4_P12ihipStream_tbEUlT_E_NS1_11comp_targetILNS1_3genE10ELNS1_11target_archE1200ELNS1_3gpuE4ELNS1_3repE0EEENS1_30default_config_static_selectorELNS0_4arch9wavefront6targetE1EEEvT1_, .Lfunc_end79-_ZN7rocprim17ROCPRIM_400000_NS6detail17trampoline_kernelINS0_14default_configENS1_25transform_config_selectorIjLb0EEEZNS1_14transform_implILb0ES3_S5_PjN6thrust23THRUST_200600_302600_NS6detail15normal_iteratorINS9_10device_ptrIjEEEENS0_8identityIjEEEE10hipError_tT2_T3_mT4_P12ihipStream_tbEUlT_E_NS1_11comp_targetILNS1_3genE10ELNS1_11target_archE1200ELNS1_3gpuE4ELNS1_3repE0EEENS1_30default_config_static_selectorELNS0_4arch9wavefront6targetE1EEEvT1_
                                        ; -- End function
	.section	.AMDGPU.csdata,"",@progbits
; Kernel info:
; codeLenInByte = 0
; NumSgprs: 4
; NumVgprs: 0
; NumAgprs: 0
; TotalNumVgprs: 0
; ScratchSize: 0
; MemoryBound: 0
; FloatMode: 240
; IeeeMode: 1
; LDSByteSize: 0 bytes/workgroup (compile time only)
; SGPRBlocks: 0
; VGPRBlocks: 0
; NumSGPRsForWavesPerEU: 4
; NumVGPRsForWavesPerEU: 1
; AccumOffset: 4
; Occupancy: 8
; WaveLimiterHint : 0
; COMPUTE_PGM_RSRC2:SCRATCH_EN: 0
; COMPUTE_PGM_RSRC2:USER_SGPR: 6
; COMPUTE_PGM_RSRC2:TRAP_HANDLER: 0
; COMPUTE_PGM_RSRC2:TGID_X_EN: 1
; COMPUTE_PGM_RSRC2:TGID_Y_EN: 0
; COMPUTE_PGM_RSRC2:TGID_Z_EN: 0
; COMPUTE_PGM_RSRC2:TIDIG_COMP_CNT: 0
; COMPUTE_PGM_RSRC3_GFX90A:ACCUM_OFFSET: 0
; COMPUTE_PGM_RSRC3_GFX90A:TG_SPLIT: 0
	.section	.text._ZN7rocprim17ROCPRIM_400000_NS6detail17trampoline_kernelINS0_14default_configENS1_25transform_config_selectorIjLb0EEEZNS1_14transform_implILb0ES3_S5_PjN6thrust23THRUST_200600_302600_NS6detail15normal_iteratorINS9_10device_ptrIjEEEENS0_8identityIjEEEE10hipError_tT2_T3_mT4_P12ihipStream_tbEUlT_E_NS1_11comp_targetILNS1_3genE9ELNS1_11target_archE1100ELNS1_3gpuE3ELNS1_3repE0EEENS1_30default_config_static_selectorELNS0_4arch9wavefront6targetE1EEEvT1_,"axG",@progbits,_ZN7rocprim17ROCPRIM_400000_NS6detail17trampoline_kernelINS0_14default_configENS1_25transform_config_selectorIjLb0EEEZNS1_14transform_implILb0ES3_S5_PjN6thrust23THRUST_200600_302600_NS6detail15normal_iteratorINS9_10device_ptrIjEEEENS0_8identityIjEEEE10hipError_tT2_T3_mT4_P12ihipStream_tbEUlT_E_NS1_11comp_targetILNS1_3genE9ELNS1_11target_archE1100ELNS1_3gpuE3ELNS1_3repE0EEENS1_30default_config_static_selectorELNS0_4arch9wavefront6targetE1EEEvT1_,comdat
	.protected	_ZN7rocprim17ROCPRIM_400000_NS6detail17trampoline_kernelINS0_14default_configENS1_25transform_config_selectorIjLb0EEEZNS1_14transform_implILb0ES3_S5_PjN6thrust23THRUST_200600_302600_NS6detail15normal_iteratorINS9_10device_ptrIjEEEENS0_8identityIjEEEE10hipError_tT2_T3_mT4_P12ihipStream_tbEUlT_E_NS1_11comp_targetILNS1_3genE9ELNS1_11target_archE1100ELNS1_3gpuE3ELNS1_3repE0EEENS1_30default_config_static_selectorELNS0_4arch9wavefront6targetE1EEEvT1_ ; -- Begin function _ZN7rocprim17ROCPRIM_400000_NS6detail17trampoline_kernelINS0_14default_configENS1_25transform_config_selectorIjLb0EEEZNS1_14transform_implILb0ES3_S5_PjN6thrust23THRUST_200600_302600_NS6detail15normal_iteratorINS9_10device_ptrIjEEEENS0_8identityIjEEEE10hipError_tT2_T3_mT4_P12ihipStream_tbEUlT_E_NS1_11comp_targetILNS1_3genE9ELNS1_11target_archE1100ELNS1_3gpuE3ELNS1_3repE0EEENS1_30default_config_static_selectorELNS0_4arch9wavefront6targetE1EEEvT1_
	.globl	_ZN7rocprim17ROCPRIM_400000_NS6detail17trampoline_kernelINS0_14default_configENS1_25transform_config_selectorIjLb0EEEZNS1_14transform_implILb0ES3_S5_PjN6thrust23THRUST_200600_302600_NS6detail15normal_iteratorINS9_10device_ptrIjEEEENS0_8identityIjEEEE10hipError_tT2_T3_mT4_P12ihipStream_tbEUlT_E_NS1_11comp_targetILNS1_3genE9ELNS1_11target_archE1100ELNS1_3gpuE3ELNS1_3repE0EEENS1_30default_config_static_selectorELNS0_4arch9wavefront6targetE1EEEvT1_
	.p2align	8
	.type	_ZN7rocprim17ROCPRIM_400000_NS6detail17trampoline_kernelINS0_14default_configENS1_25transform_config_selectorIjLb0EEEZNS1_14transform_implILb0ES3_S5_PjN6thrust23THRUST_200600_302600_NS6detail15normal_iteratorINS9_10device_ptrIjEEEENS0_8identityIjEEEE10hipError_tT2_T3_mT4_P12ihipStream_tbEUlT_E_NS1_11comp_targetILNS1_3genE9ELNS1_11target_archE1100ELNS1_3gpuE3ELNS1_3repE0EEENS1_30default_config_static_selectorELNS0_4arch9wavefront6targetE1EEEvT1_,@function
_ZN7rocprim17ROCPRIM_400000_NS6detail17trampoline_kernelINS0_14default_configENS1_25transform_config_selectorIjLb0EEEZNS1_14transform_implILb0ES3_S5_PjN6thrust23THRUST_200600_302600_NS6detail15normal_iteratorINS9_10device_ptrIjEEEENS0_8identityIjEEEE10hipError_tT2_T3_mT4_P12ihipStream_tbEUlT_E_NS1_11comp_targetILNS1_3genE9ELNS1_11target_archE1100ELNS1_3gpuE3ELNS1_3repE0EEENS1_30default_config_static_selectorELNS0_4arch9wavefront6targetE1EEEvT1_: ; @_ZN7rocprim17ROCPRIM_400000_NS6detail17trampoline_kernelINS0_14default_configENS1_25transform_config_selectorIjLb0EEEZNS1_14transform_implILb0ES3_S5_PjN6thrust23THRUST_200600_302600_NS6detail15normal_iteratorINS9_10device_ptrIjEEEENS0_8identityIjEEEE10hipError_tT2_T3_mT4_P12ihipStream_tbEUlT_E_NS1_11comp_targetILNS1_3genE9ELNS1_11target_archE1100ELNS1_3gpuE3ELNS1_3repE0EEENS1_30default_config_static_selectorELNS0_4arch9wavefront6targetE1EEEvT1_
; %bb.0:
	.section	.rodata,"a",@progbits
	.p2align	6, 0x0
	.amdhsa_kernel _ZN7rocprim17ROCPRIM_400000_NS6detail17trampoline_kernelINS0_14default_configENS1_25transform_config_selectorIjLb0EEEZNS1_14transform_implILb0ES3_S5_PjN6thrust23THRUST_200600_302600_NS6detail15normal_iteratorINS9_10device_ptrIjEEEENS0_8identityIjEEEE10hipError_tT2_T3_mT4_P12ihipStream_tbEUlT_E_NS1_11comp_targetILNS1_3genE9ELNS1_11target_archE1100ELNS1_3gpuE3ELNS1_3repE0EEENS1_30default_config_static_selectorELNS0_4arch9wavefront6targetE1EEEvT1_
		.amdhsa_group_segment_fixed_size 0
		.amdhsa_private_segment_fixed_size 0
		.amdhsa_kernarg_size 40
		.amdhsa_user_sgpr_count 6
		.amdhsa_user_sgpr_private_segment_buffer 1
		.amdhsa_user_sgpr_dispatch_ptr 0
		.amdhsa_user_sgpr_queue_ptr 0
		.amdhsa_user_sgpr_kernarg_segment_ptr 1
		.amdhsa_user_sgpr_dispatch_id 0
		.amdhsa_user_sgpr_flat_scratch_init 0
		.amdhsa_user_sgpr_kernarg_preload_length 0
		.amdhsa_user_sgpr_kernarg_preload_offset 0
		.amdhsa_user_sgpr_private_segment_size 0
		.amdhsa_uses_dynamic_stack 0
		.amdhsa_system_sgpr_private_segment_wavefront_offset 0
		.amdhsa_system_sgpr_workgroup_id_x 1
		.amdhsa_system_sgpr_workgroup_id_y 0
		.amdhsa_system_sgpr_workgroup_id_z 0
		.amdhsa_system_sgpr_workgroup_info 0
		.amdhsa_system_vgpr_workitem_id 0
		.amdhsa_next_free_vgpr 1
		.amdhsa_next_free_sgpr 0
		.amdhsa_accum_offset 4
		.amdhsa_reserve_vcc 0
		.amdhsa_reserve_flat_scratch 0
		.amdhsa_float_round_mode_32 0
		.amdhsa_float_round_mode_16_64 0
		.amdhsa_float_denorm_mode_32 3
		.amdhsa_float_denorm_mode_16_64 3
		.amdhsa_dx10_clamp 1
		.amdhsa_ieee_mode 1
		.amdhsa_fp16_overflow 0
		.amdhsa_tg_split 0
		.amdhsa_exception_fp_ieee_invalid_op 0
		.amdhsa_exception_fp_denorm_src 0
		.amdhsa_exception_fp_ieee_div_zero 0
		.amdhsa_exception_fp_ieee_overflow 0
		.amdhsa_exception_fp_ieee_underflow 0
		.amdhsa_exception_fp_ieee_inexact 0
		.amdhsa_exception_int_div_zero 0
	.end_amdhsa_kernel
	.section	.text._ZN7rocprim17ROCPRIM_400000_NS6detail17trampoline_kernelINS0_14default_configENS1_25transform_config_selectorIjLb0EEEZNS1_14transform_implILb0ES3_S5_PjN6thrust23THRUST_200600_302600_NS6detail15normal_iteratorINS9_10device_ptrIjEEEENS0_8identityIjEEEE10hipError_tT2_T3_mT4_P12ihipStream_tbEUlT_E_NS1_11comp_targetILNS1_3genE9ELNS1_11target_archE1100ELNS1_3gpuE3ELNS1_3repE0EEENS1_30default_config_static_selectorELNS0_4arch9wavefront6targetE1EEEvT1_,"axG",@progbits,_ZN7rocprim17ROCPRIM_400000_NS6detail17trampoline_kernelINS0_14default_configENS1_25transform_config_selectorIjLb0EEEZNS1_14transform_implILb0ES3_S5_PjN6thrust23THRUST_200600_302600_NS6detail15normal_iteratorINS9_10device_ptrIjEEEENS0_8identityIjEEEE10hipError_tT2_T3_mT4_P12ihipStream_tbEUlT_E_NS1_11comp_targetILNS1_3genE9ELNS1_11target_archE1100ELNS1_3gpuE3ELNS1_3repE0EEENS1_30default_config_static_selectorELNS0_4arch9wavefront6targetE1EEEvT1_,comdat
.Lfunc_end80:
	.size	_ZN7rocprim17ROCPRIM_400000_NS6detail17trampoline_kernelINS0_14default_configENS1_25transform_config_selectorIjLb0EEEZNS1_14transform_implILb0ES3_S5_PjN6thrust23THRUST_200600_302600_NS6detail15normal_iteratorINS9_10device_ptrIjEEEENS0_8identityIjEEEE10hipError_tT2_T3_mT4_P12ihipStream_tbEUlT_E_NS1_11comp_targetILNS1_3genE9ELNS1_11target_archE1100ELNS1_3gpuE3ELNS1_3repE0EEENS1_30default_config_static_selectorELNS0_4arch9wavefront6targetE1EEEvT1_, .Lfunc_end80-_ZN7rocprim17ROCPRIM_400000_NS6detail17trampoline_kernelINS0_14default_configENS1_25transform_config_selectorIjLb0EEEZNS1_14transform_implILb0ES3_S5_PjN6thrust23THRUST_200600_302600_NS6detail15normal_iteratorINS9_10device_ptrIjEEEENS0_8identityIjEEEE10hipError_tT2_T3_mT4_P12ihipStream_tbEUlT_E_NS1_11comp_targetILNS1_3genE9ELNS1_11target_archE1100ELNS1_3gpuE3ELNS1_3repE0EEENS1_30default_config_static_selectorELNS0_4arch9wavefront6targetE1EEEvT1_
                                        ; -- End function
	.section	.AMDGPU.csdata,"",@progbits
; Kernel info:
; codeLenInByte = 0
; NumSgprs: 4
; NumVgprs: 0
; NumAgprs: 0
; TotalNumVgprs: 0
; ScratchSize: 0
; MemoryBound: 0
; FloatMode: 240
; IeeeMode: 1
; LDSByteSize: 0 bytes/workgroup (compile time only)
; SGPRBlocks: 0
; VGPRBlocks: 0
; NumSGPRsForWavesPerEU: 4
; NumVGPRsForWavesPerEU: 1
; AccumOffset: 4
; Occupancy: 8
; WaveLimiterHint : 0
; COMPUTE_PGM_RSRC2:SCRATCH_EN: 0
; COMPUTE_PGM_RSRC2:USER_SGPR: 6
; COMPUTE_PGM_RSRC2:TRAP_HANDLER: 0
; COMPUTE_PGM_RSRC2:TGID_X_EN: 1
; COMPUTE_PGM_RSRC2:TGID_Y_EN: 0
; COMPUTE_PGM_RSRC2:TGID_Z_EN: 0
; COMPUTE_PGM_RSRC2:TIDIG_COMP_CNT: 0
; COMPUTE_PGM_RSRC3_GFX90A:ACCUM_OFFSET: 0
; COMPUTE_PGM_RSRC3_GFX90A:TG_SPLIT: 0
	.section	.text._ZN7rocprim17ROCPRIM_400000_NS6detail17trampoline_kernelINS0_14default_configENS1_25transform_config_selectorIjLb0EEEZNS1_14transform_implILb0ES3_S5_PjN6thrust23THRUST_200600_302600_NS6detail15normal_iteratorINS9_10device_ptrIjEEEENS0_8identityIjEEEE10hipError_tT2_T3_mT4_P12ihipStream_tbEUlT_E_NS1_11comp_targetILNS1_3genE8ELNS1_11target_archE1030ELNS1_3gpuE2ELNS1_3repE0EEENS1_30default_config_static_selectorELNS0_4arch9wavefront6targetE1EEEvT1_,"axG",@progbits,_ZN7rocprim17ROCPRIM_400000_NS6detail17trampoline_kernelINS0_14default_configENS1_25transform_config_selectorIjLb0EEEZNS1_14transform_implILb0ES3_S5_PjN6thrust23THRUST_200600_302600_NS6detail15normal_iteratorINS9_10device_ptrIjEEEENS0_8identityIjEEEE10hipError_tT2_T3_mT4_P12ihipStream_tbEUlT_E_NS1_11comp_targetILNS1_3genE8ELNS1_11target_archE1030ELNS1_3gpuE2ELNS1_3repE0EEENS1_30default_config_static_selectorELNS0_4arch9wavefront6targetE1EEEvT1_,comdat
	.protected	_ZN7rocprim17ROCPRIM_400000_NS6detail17trampoline_kernelINS0_14default_configENS1_25transform_config_selectorIjLb0EEEZNS1_14transform_implILb0ES3_S5_PjN6thrust23THRUST_200600_302600_NS6detail15normal_iteratorINS9_10device_ptrIjEEEENS0_8identityIjEEEE10hipError_tT2_T3_mT4_P12ihipStream_tbEUlT_E_NS1_11comp_targetILNS1_3genE8ELNS1_11target_archE1030ELNS1_3gpuE2ELNS1_3repE0EEENS1_30default_config_static_selectorELNS0_4arch9wavefront6targetE1EEEvT1_ ; -- Begin function _ZN7rocprim17ROCPRIM_400000_NS6detail17trampoline_kernelINS0_14default_configENS1_25transform_config_selectorIjLb0EEEZNS1_14transform_implILb0ES3_S5_PjN6thrust23THRUST_200600_302600_NS6detail15normal_iteratorINS9_10device_ptrIjEEEENS0_8identityIjEEEE10hipError_tT2_T3_mT4_P12ihipStream_tbEUlT_E_NS1_11comp_targetILNS1_3genE8ELNS1_11target_archE1030ELNS1_3gpuE2ELNS1_3repE0EEENS1_30default_config_static_selectorELNS0_4arch9wavefront6targetE1EEEvT1_
	.globl	_ZN7rocprim17ROCPRIM_400000_NS6detail17trampoline_kernelINS0_14default_configENS1_25transform_config_selectorIjLb0EEEZNS1_14transform_implILb0ES3_S5_PjN6thrust23THRUST_200600_302600_NS6detail15normal_iteratorINS9_10device_ptrIjEEEENS0_8identityIjEEEE10hipError_tT2_T3_mT4_P12ihipStream_tbEUlT_E_NS1_11comp_targetILNS1_3genE8ELNS1_11target_archE1030ELNS1_3gpuE2ELNS1_3repE0EEENS1_30default_config_static_selectorELNS0_4arch9wavefront6targetE1EEEvT1_
	.p2align	8
	.type	_ZN7rocprim17ROCPRIM_400000_NS6detail17trampoline_kernelINS0_14default_configENS1_25transform_config_selectorIjLb0EEEZNS1_14transform_implILb0ES3_S5_PjN6thrust23THRUST_200600_302600_NS6detail15normal_iteratorINS9_10device_ptrIjEEEENS0_8identityIjEEEE10hipError_tT2_T3_mT4_P12ihipStream_tbEUlT_E_NS1_11comp_targetILNS1_3genE8ELNS1_11target_archE1030ELNS1_3gpuE2ELNS1_3repE0EEENS1_30default_config_static_selectorELNS0_4arch9wavefront6targetE1EEEvT1_,@function
_ZN7rocprim17ROCPRIM_400000_NS6detail17trampoline_kernelINS0_14default_configENS1_25transform_config_selectorIjLb0EEEZNS1_14transform_implILb0ES3_S5_PjN6thrust23THRUST_200600_302600_NS6detail15normal_iteratorINS9_10device_ptrIjEEEENS0_8identityIjEEEE10hipError_tT2_T3_mT4_P12ihipStream_tbEUlT_E_NS1_11comp_targetILNS1_3genE8ELNS1_11target_archE1030ELNS1_3gpuE2ELNS1_3repE0EEENS1_30default_config_static_selectorELNS0_4arch9wavefront6targetE1EEEvT1_: ; @_ZN7rocprim17ROCPRIM_400000_NS6detail17trampoline_kernelINS0_14default_configENS1_25transform_config_selectorIjLb0EEEZNS1_14transform_implILb0ES3_S5_PjN6thrust23THRUST_200600_302600_NS6detail15normal_iteratorINS9_10device_ptrIjEEEENS0_8identityIjEEEE10hipError_tT2_T3_mT4_P12ihipStream_tbEUlT_E_NS1_11comp_targetILNS1_3genE8ELNS1_11target_archE1030ELNS1_3gpuE2ELNS1_3repE0EEENS1_30default_config_static_selectorELNS0_4arch9wavefront6targetE1EEEvT1_
; %bb.0:
	.section	.rodata,"a",@progbits
	.p2align	6, 0x0
	.amdhsa_kernel _ZN7rocprim17ROCPRIM_400000_NS6detail17trampoline_kernelINS0_14default_configENS1_25transform_config_selectorIjLb0EEEZNS1_14transform_implILb0ES3_S5_PjN6thrust23THRUST_200600_302600_NS6detail15normal_iteratorINS9_10device_ptrIjEEEENS0_8identityIjEEEE10hipError_tT2_T3_mT4_P12ihipStream_tbEUlT_E_NS1_11comp_targetILNS1_3genE8ELNS1_11target_archE1030ELNS1_3gpuE2ELNS1_3repE0EEENS1_30default_config_static_selectorELNS0_4arch9wavefront6targetE1EEEvT1_
		.amdhsa_group_segment_fixed_size 0
		.amdhsa_private_segment_fixed_size 0
		.amdhsa_kernarg_size 40
		.amdhsa_user_sgpr_count 6
		.amdhsa_user_sgpr_private_segment_buffer 1
		.amdhsa_user_sgpr_dispatch_ptr 0
		.amdhsa_user_sgpr_queue_ptr 0
		.amdhsa_user_sgpr_kernarg_segment_ptr 1
		.amdhsa_user_sgpr_dispatch_id 0
		.amdhsa_user_sgpr_flat_scratch_init 0
		.amdhsa_user_sgpr_kernarg_preload_length 0
		.amdhsa_user_sgpr_kernarg_preload_offset 0
		.amdhsa_user_sgpr_private_segment_size 0
		.amdhsa_uses_dynamic_stack 0
		.amdhsa_system_sgpr_private_segment_wavefront_offset 0
		.amdhsa_system_sgpr_workgroup_id_x 1
		.amdhsa_system_sgpr_workgroup_id_y 0
		.amdhsa_system_sgpr_workgroup_id_z 0
		.amdhsa_system_sgpr_workgroup_info 0
		.amdhsa_system_vgpr_workitem_id 0
		.amdhsa_next_free_vgpr 1
		.amdhsa_next_free_sgpr 0
		.amdhsa_accum_offset 4
		.amdhsa_reserve_vcc 0
		.amdhsa_reserve_flat_scratch 0
		.amdhsa_float_round_mode_32 0
		.amdhsa_float_round_mode_16_64 0
		.amdhsa_float_denorm_mode_32 3
		.amdhsa_float_denorm_mode_16_64 3
		.amdhsa_dx10_clamp 1
		.amdhsa_ieee_mode 1
		.amdhsa_fp16_overflow 0
		.amdhsa_tg_split 0
		.amdhsa_exception_fp_ieee_invalid_op 0
		.amdhsa_exception_fp_denorm_src 0
		.amdhsa_exception_fp_ieee_div_zero 0
		.amdhsa_exception_fp_ieee_overflow 0
		.amdhsa_exception_fp_ieee_underflow 0
		.amdhsa_exception_fp_ieee_inexact 0
		.amdhsa_exception_int_div_zero 0
	.end_amdhsa_kernel
	.section	.text._ZN7rocprim17ROCPRIM_400000_NS6detail17trampoline_kernelINS0_14default_configENS1_25transform_config_selectorIjLb0EEEZNS1_14transform_implILb0ES3_S5_PjN6thrust23THRUST_200600_302600_NS6detail15normal_iteratorINS9_10device_ptrIjEEEENS0_8identityIjEEEE10hipError_tT2_T3_mT4_P12ihipStream_tbEUlT_E_NS1_11comp_targetILNS1_3genE8ELNS1_11target_archE1030ELNS1_3gpuE2ELNS1_3repE0EEENS1_30default_config_static_selectorELNS0_4arch9wavefront6targetE1EEEvT1_,"axG",@progbits,_ZN7rocprim17ROCPRIM_400000_NS6detail17trampoline_kernelINS0_14default_configENS1_25transform_config_selectorIjLb0EEEZNS1_14transform_implILb0ES3_S5_PjN6thrust23THRUST_200600_302600_NS6detail15normal_iteratorINS9_10device_ptrIjEEEENS0_8identityIjEEEE10hipError_tT2_T3_mT4_P12ihipStream_tbEUlT_E_NS1_11comp_targetILNS1_3genE8ELNS1_11target_archE1030ELNS1_3gpuE2ELNS1_3repE0EEENS1_30default_config_static_selectorELNS0_4arch9wavefront6targetE1EEEvT1_,comdat
.Lfunc_end81:
	.size	_ZN7rocprim17ROCPRIM_400000_NS6detail17trampoline_kernelINS0_14default_configENS1_25transform_config_selectorIjLb0EEEZNS1_14transform_implILb0ES3_S5_PjN6thrust23THRUST_200600_302600_NS6detail15normal_iteratorINS9_10device_ptrIjEEEENS0_8identityIjEEEE10hipError_tT2_T3_mT4_P12ihipStream_tbEUlT_E_NS1_11comp_targetILNS1_3genE8ELNS1_11target_archE1030ELNS1_3gpuE2ELNS1_3repE0EEENS1_30default_config_static_selectorELNS0_4arch9wavefront6targetE1EEEvT1_, .Lfunc_end81-_ZN7rocprim17ROCPRIM_400000_NS6detail17trampoline_kernelINS0_14default_configENS1_25transform_config_selectorIjLb0EEEZNS1_14transform_implILb0ES3_S5_PjN6thrust23THRUST_200600_302600_NS6detail15normal_iteratorINS9_10device_ptrIjEEEENS0_8identityIjEEEE10hipError_tT2_T3_mT4_P12ihipStream_tbEUlT_E_NS1_11comp_targetILNS1_3genE8ELNS1_11target_archE1030ELNS1_3gpuE2ELNS1_3repE0EEENS1_30default_config_static_selectorELNS0_4arch9wavefront6targetE1EEEvT1_
                                        ; -- End function
	.section	.AMDGPU.csdata,"",@progbits
; Kernel info:
; codeLenInByte = 0
; NumSgprs: 4
; NumVgprs: 0
; NumAgprs: 0
; TotalNumVgprs: 0
; ScratchSize: 0
; MemoryBound: 0
; FloatMode: 240
; IeeeMode: 1
; LDSByteSize: 0 bytes/workgroup (compile time only)
; SGPRBlocks: 0
; VGPRBlocks: 0
; NumSGPRsForWavesPerEU: 4
; NumVGPRsForWavesPerEU: 1
; AccumOffset: 4
; Occupancy: 8
; WaveLimiterHint : 0
; COMPUTE_PGM_RSRC2:SCRATCH_EN: 0
; COMPUTE_PGM_RSRC2:USER_SGPR: 6
; COMPUTE_PGM_RSRC2:TRAP_HANDLER: 0
; COMPUTE_PGM_RSRC2:TGID_X_EN: 1
; COMPUTE_PGM_RSRC2:TGID_Y_EN: 0
; COMPUTE_PGM_RSRC2:TGID_Z_EN: 0
; COMPUTE_PGM_RSRC2:TIDIG_COMP_CNT: 0
; COMPUTE_PGM_RSRC3_GFX90A:ACCUM_OFFSET: 0
; COMPUTE_PGM_RSRC3_GFX90A:TG_SPLIT: 0
	.section	.text._ZN7rocprim17ROCPRIM_400000_NS6detail17trampoline_kernelINS0_14default_configENS1_25transform_config_selectorIN6thrust23THRUST_200600_302600_NS5tupleIffNS6_9null_typeES8_S8_S8_S8_S8_S8_S8_EELb0EEEZNS1_14transform_implILb0ES3_SA_PS9_NS6_6detail15normal_iteratorINS6_10device_ptrIS9_EEEENS0_8identityIS9_EEEE10hipError_tT2_T3_mT4_P12ihipStream_tbEUlT_E_NS1_11comp_targetILNS1_3genE0ELNS1_11target_archE4294967295ELNS1_3gpuE0ELNS1_3repE0EEENS1_30default_config_static_selectorELNS0_4arch9wavefront6targetE1EEEvT1_,"axG",@progbits,_ZN7rocprim17ROCPRIM_400000_NS6detail17trampoline_kernelINS0_14default_configENS1_25transform_config_selectorIN6thrust23THRUST_200600_302600_NS5tupleIffNS6_9null_typeES8_S8_S8_S8_S8_S8_S8_EELb0EEEZNS1_14transform_implILb0ES3_SA_PS9_NS6_6detail15normal_iteratorINS6_10device_ptrIS9_EEEENS0_8identityIS9_EEEE10hipError_tT2_T3_mT4_P12ihipStream_tbEUlT_E_NS1_11comp_targetILNS1_3genE0ELNS1_11target_archE4294967295ELNS1_3gpuE0ELNS1_3repE0EEENS1_30default_config_static_selectorELNS0_4arch9wavefront6targetE1EEEvT1_,comdat
	.protected	_ZN7rocprim17ROCPRIM_400000_NS6detail17trampoline_kernelINS0_14default_configENS1_25transform_config_selectorIN6thrust23THRUST_200600_302600_NS5tupleIffNS6_9null_typeES8_S8_S8_S8_S8_S8_S8_EELb0EEEZNS1_14transform_implILb0ES3_SA_PS9_NS6_6detail15normal_iteratorINS6_10device_ptrIS9_EEEENS0_8identityIS9_EEEE10hipError_tT2_T3_mT4_P12ihipStream_tbEUlT_E_NS1_11comp_targetILNS1_3genE0ELNS1_11target_archE4294967295ELNS1_3gpuE0ELNS1_3repE0EEENS1_30default_config_static_selectorELNS0_4arch9wavefront6targetE1EEEvT1_ ; -- Begin function _ZN7rocprim17ROCPRIM_400000_NS6detail17trampoline_kernelINS0_14default_configENS1_25transform_config_selectorIN6thrust23THRUST_200600_302600_NS5tupleIffNS6_9null_typeES8_S8_S8_S8_S8_S8_S8_EELb0EEEZNS1_14transform_implILb0ES3_SA_PS9_NS6_6detail15normal_iteratorINS6_10device_ptrIS9_EEEENS0_8identityIS9_EEEE10hipError_tT2_T3_mT4_P12ihipStream_tbEUlT_E_NS1_11comp_targetILNS1_3genE0ELNS1_11target_archE4294967295ELNS1_3gpuE0ELNS1_3repE0EEENS1_30default_config_static_selectorELNS0_4arch9wavefront6targetE1EEEvT1_
	.globl	_ZN7rocprim17ROCPRIM_400000_NS6detail17trampoline_kernelINS0_14default_configENS1_25transform_config_selectorIN6thrust23THRUST_200600_302600_NS5tupleIffNS6_9null_typeES8_S8_S8_S8_S8_S8_S8_EELb0EEEZNS1_14transform_implILb0ES3_SA_PS9_NS6_6detail15normal_iteratorINS6_10device_ptrIS9_EEEENS0_8identityIS9_EEEE10hipError_tT2_T3_mT4_P12ihipStream_tbEUlT_E_NS1_11comp_targetILNS1_3genE0ELNS1_11target_archE4294967295ELNS1_3gpuE0ELNS1_3repE0EEENS1_30default_config_static_selectorELNS0_4arch9wavefront6targetE1EEEvT1_
	.p2align	8
	.type	_ZN7rocprim17ROCPRIM_400000_NS6detail17trampoline_kernelINS0_14default_configENS1_25transform_config_selectorIN6thrust23THRUST_200600_302600_NS5tupleIffNS6_9null_typeES8_S8_S8_S8_S8_S8_S8_EELb0EEEZNS1_14transform_implILb0ES3_SA_PS9_NS6_6detail15normal_iteratorINS6_10device_ptrIS9_EEEENS0_8identityIS9_EEEE10hipError_tT2_T3_mT4_P12ihipStream_tbEUlT_E_NS1_11comp_targetILNS1_3genE0ELNS1_11target_archE4294967295ELNS1_3gpuE0ELNS1_3repE0EEENS1_30default_config_static_selectorELNS0_4arch9wavefront6targetE1EEEvT1_,@function
_ZN7rocprim17ROCPRIM_400000_NS6detail17trampoline_kernelINS0_14default_configENS1_25transform_config_selectorIN6thrust23THRUST_200600_302600_NS5tupleIffNS6_9null_typeES8_S8_S8_S8_S8_S8_S8_EELb0EEEZNS1_14transform_implILb0ES3_SA_PS9_NS6_6detail15normal_iteratorINS6_10device_ptrIS9_EEEENS0_8identityIS9_EEEE10hipError_tT2_T3_mT4_P12ihipStream_tbEUlT_E_NS1_11comp_targetILNS1_3genE0ELNS1_11target_archE4294967295ELNS1_3gpuE0ELNS1_3repE0EEENS1_30default_config_static_selectorELNS0_4arch9wavefront6targetE1EEEvT1_: ; @_ZN7rocprim17ROCPRIM_400000_NS6detail17trampoline_kernelINS0_14default_configENS1_25transform_config_selectorIN6thrust23THRUST_200600_302600_NS5tupleIffNS6_9null_typeES8_S8_S8_S8_S8_S8_S8_EELb0EEEZNS1_14transform_implILb0ES3_SA_PS9_NS6_6detail15normal_iteratorINS6_10device_ptrIS9_EEEENS0_8identityIS9_EEEE10hipError_tT2_T3_mT4_P12ihipStream_tbEUlT_E_NS1_11comp_targetILNS1_3genE0ELNS1_11target_archE4294967295ELNS1_3gpuE0ELNS1_3repE0EEENS1_30default_config_static_selectorELNS0_4arch9wavefront6targetE1EEEvT1_
; %bb.0:
	.section	.rodata,"a",@progbits
	.p2align	6, 0x0
	.amdhsa_kernel _ZN7rocprim17ROCPRIM_400000_NS6detail17trampoline_kernelINS0_14default_configENS1_25transform_config_selectorIN6thrust23THRUST_200600_302600_NS5tupleIffNS6_9null_typeES8_S8_S8_S8_S8_S8_S8_EELb0EEEZNS1_14transform_implILb0ES3_SA_PS9_NS6_6detail15normal_iteratorINS6_10device_ptrIS9_EEEENS0_8identityIS9_EEEE10hipError_tT2_T3_mT4_P12ihipStream_tbEUlT_E_NS1_11comp_targetILNS1_3genE0ELNS1_11target_archE4294967295ELNS1_3gpuE0ELNS1_3repE0EEENS1_30default_config_static_selectorELNS0_4arch9wavefront6targetE1EEEvT1_
		.amdhsa_group_segment_fixed_size 0
		.amdhsa_private_segment_fixed_size 0
		.amdhsa_kernarg_size 40
		.amdhsa_user_sgpr_count 6
		.amdhsa_user_sgpr_private_segment_buffer 1
		.amdhsa_user_sgpr_dispatch_ptr 0
		.amdhsa_user_sgpr_queue_ptr 0
		.amdhsa_user_sgpr_kernarg_segment_ptr 1
		.amdhsa_user_sgpr_dispatch_id 0
		.amdhsa_user_sgpr_flat_scratch_init 0
		.amdhsa_user_sgpr_kernarg_preload_length 0
		.amdhsa_user_sgpr_kernarg_preload_offset 0
		.amdhsa_user_sgpr_private_segment_size 0
		.amdhsa_uses_dynamic_stack 0
		.amdhsa_system_sgpr_private_segment_wavefront_offset 0
		.amdhsa_system_sgpr_workgroup_id_x 1
		.amdhsa_system_sgpr_workgroup_id_y 0
		.amdhsa_system_sgpr_workgroup_id_z 0
		.amdhsa_system_sgpr_workgroup_info 0
		.amdhsa_system_vgpr_workitem_id 0
		.amdhsa_next_free_vgpr 1
		.amdhsa_next_free_sgpr 0
		.amdhsa_accum_offset 4
		.amdhsa_reserve_vcc 0
		.amdhsa_reserve_flat_scratch 0
		.amdhsa_float_round_mode_32 0
		.amdhsa_float_round_mode_16_64 0
		.amdhsa_float_denorm_mode_32 3
		.amdhsa_float_denorm_mode_16_64 3
		.amdhsa_dx10_clamp 1
		.amdhsa_ieee_mode 1
		.amdhsa_fp16_overflow 0
		.amdhsa_tg_split 0
		.amdhsa_exception_fp_ieee_invalid_op 0
		.amdhsa_exception_fp_denorm_src 0
		.amdhsa_exception_fp_ieee_div_zero 0
		.amdhsa_exception_fp_ieee_overflow 0
		.amdhsa_exception_fp_ieee_underflow 0
		.amdhsa_exception_fp_ieee_inexact 0
		.amdhsa_exception_int_div_zero 0
	.end_amdhsa_kernel
	.section	.text._ZN7rocprim17ROCPRIM_400000_NS6detail17trampoline_kernelINS0_14default_configENS1_25transform_config_selectorIN6thrust23THRUST_200600_302600_NS5tupleIffNS6_9null_typeES8_S8_S8_S8_S8_S8_S8_EELb0EEEZNS1_14transform_implILb0ES3_SA_PS9_NS6_6detail15normal_iteratorINS6_10device_ptrIS9_EEEENS0_8identityIS9_EEEE10hipError_tT2_T3_mT4_P12ihipStream_tbEUlT_E_NS1_11comp_targetILNS1_3genE0ELNS1_11target_archE4294967295ELNS1_3gpuE0ELNS1_3repE0EEENS1_30default_config_static_selectorELNS0_4arch9wavefront6targetE1EEEvT1_,"axG",@progbits,_ZN7rocprim17ROCPRIM_400000_NS6detail17trampoline_kernelINS0_14default_configENS1_25transform_config_selectorIN6thrust23THRUST_200600_302600_NS5tupleIffNS6_9null_typeES8_S8_S8_S8_S8_S8_S8_EELb0EEEZNS1_14transform_implILb0ES3_SA_PS9_NS6_6detail15normal_iteratorINS6_10device_ptrIS9_EEEENS0_8identityIS9_EEEE10hipError_tT2_T3_mT4_P12ihipStream_tbEUlT_E_NS1_11comp_targetILNS1_3genE0ELNS1_11target_archE4294967295ELNS1_3gpuE0ELNS1_3repE0EEENS1_30default_config_static_selectorELNS0_4arch9wavefront6targetE1EEEvT1_,comdat
.Lfunc_end82:
	.size	_ZN7rocprim17ROCPRIM_400000_NS6detail17trampoline_kernelINS0_14default_configENS1_25transform_config_selectorIN6thrust23THRUST_200600_302600_NS5tupleIffNS6_9null_typeES8_S8_S8_S8_S8_S8_S8_EELb0EEEZNS1_14transform_implILb0ES3_SA_PS9_NS6_6detail15normal_iteratorINS6_10device_ptrIS9_EEEENS0_8identityIS9_EEEE10hipError_tT2_T3_mT4_P12ihipStream_tbEUlT_E_NS1_11comp_targetILNS1_3genE0ELNS1_11target_archE4294967295ELNS1_3gpuE0ELNS1_3repE0EEENS1_30default_config_static_selectorELNS0_4arch9wavefront6targetE1EEEvT1_, .Lfunc_end82-_ZN7rocprim17ROCPRIM_400000_NS6detail17trampoline_kernelINS0_14default_configENS1_25transform_config_selectorIN6thrust23THRUST_200600_302600_NS5tupleIffNS6_9null_typeES8_S8_S8_S8_S8_S8_S8_EELb0EEEZNS1_14transform_implILb0ES3_SA_PS9_NS6_6detail15normal_iteratorINS6_10device_ptrIS9_EEEENS0_8identityIS9_EEEE10hipError_tT2_T3_mT4_P12ihipStream_tbEUlT_E_NS1_11comp_targetILNS1_3genE0ELNS1_11target_archE4294967295ELNS1_3gpuE0ELNS1_3repE0EEENS1_30default_config_static_selectorELNS0_4arch9wavefront6targetE1EEEvT1_
                                        ; -- End function
	.section	.AMDGPU.csdata,"",@progbits
; Kernel info:
; codeLenInByte = 0
; NumSgprs: 4
; NumVgprs: 0
; NumAgprs: 0
; TotalNumVgprs: 0
; ScratchSize: 0
; MemoryBound: 0
; FloatMode: 240
; IeeeMode: 1
; LDSByteSize: 0 bytes/workgroup (compile time only)
; SGPRBlocks: 0
; VGPRBlocks: 0
; NumSGPRsForWavesPerEU: 4
; NumVGPRsForWavesPerEU: 1
; AccumOffset: 4
; Occupancy: 8
; WaveLimiterHint : 0
; COMPUTE_PGM_RSRC2:SCRATCH_EN: 0
; COMPUTE_PGM_RSRC2:USER_SGPR: 6
; COMPUTE_PGM_RSRC2:TRAP_HANDLER: 0
; COMPUTE_PGM_RSRC2:TGID_X_EN: 1
; COMPUTE_PGM_RSRC2:TGID_Y_EN: 0
; COMPUTE_PGM_RSRC2:TGID_Z_EN: 0
; COMPUTE_PGM_RSRC2:TIDIG_COMP_CNT: 0
; COMPUTE_PGM_RSRC3_GFX90A:ACCUM_OFFSET: 0
; COMPUTE_PGM_RSRC3_GFX90A:TG_SPLIT: 0
	.section	.text._ZN7rocprim17ROCPRIM_400000_NS6detail17trampoline_kernelINS0_14default_configENS1_25transform_config_selectorIN6thrust23THRUST_200600_302600_NS5tupleIffNS6_9null_typeES8_S8_S8_S8_S8_S8_S8_EELb0EEEZNS1_14transform_implILb0ES3_SA_PS9_NS6_6detail15normal_iteratorINS6_10device_ptrIS9_EEEENS0_8identityIS9_EEEE10hipError_tT2_T3_mT4_P12ihipStream_tbEUlT_E_NS1_11comp_targetILNS1_3genE5ELNS1_11target_archE942ELNS1_3gpuE9ELNS1_3repE0EEENS1_30default_config_static_selectorELNS0_4arch9wavefront6targetE1EEEvT1_,"axG",@progbits,_ZN7rocprim17ROCPRIM_400000_NS6detail17trampoline_kernelINS0_14default_configENS1_25transform_config_selectorIN6thrust23THRUST_200600_302600_NS5tupleIffNS6_9null_typeES8_S8_S8_S8_S8_S8_S8_EELb0EEEZNS1_14transform_implILb0ES3_SA_PS9_NS6_6detail15normal_iteratorINS6_10device_ptrIS9_EEEENS0_8identityIS9_EEEE10hipError_tT2_T3_mT4_P12ihipStream_tbEUlT_E_NS1_11comp_targetILNS1_3genE5ELNS1_11target_archE942ELNS1_3gpuE9ELNS1_3repE0EEENS1_30default_config_static_selectorELNS0_4arch9wavefront6targetE1EEEvT1_,comdat
	.protected	_ZN7rocprim17ROCPRIM_400000_NS6detail17trampoline_kernelINS0_14default_configENS1_25transform_config_selectorIN6thrust23THRUST_200600_302600_NS5tupleIffNS6_9null_typeES8_S8_S8_S8_S8_S8_S8_EELb0EEEZNS1_14transform_implILb0ES3_SA_PS9_NS6_6detail15normal_iteratorINS6_10device_ptrIS9_EEEENS0_8identityIS9_EEEE10hipError_tT2_T3_mT4_P12ihipStream_tbEUlT_E_NS1_11comp_targetILNS1_3genE5ELNS1_11target_archE942ELNS1_3gpuE9ELNS1_3repE0EEENS1_30default_config_static_selectorELNS0_4arch9wavefront6targetE1EEEvT1_ ; -- Begin function _ZN7rocprim17ROCPRIM_400000_NS6detail17trampoline_kernelINS0_14default_configENS1_25transform_config_selectorIN6thrust23THRUST_200600_302600_NS5tupleIffNS6_9null_typeES8_S8_S8_S8_S8_S8_S8_EELb0EEEZNS1_14transform_implILb0ES3_SA_PS9_NS6_6detail15normal_iteratorINS6_10device_ptrIS9_EEEENS0_8identityIS9_EEEE10hipError_tT2_T3_mT4_P12ihipStream_tbEUlT_E_NS1_11comp_targetILNS1_3genE5ELNS1_11target_archE942ELNS1_3gpuE9ELNS1_3repE0EEENS1_30default_config_static_selectorELNS0_4arch9wavefront6targetE1EEEvT1_
	.globl	_ZN7rocprim17ROCPRIM_400000_NS6detail17trampoline_kernelINS0_14default_configENS1_25transform_config_selectorIN6thrust23THRUST_200600_302600_NS5tupleIffNS6_9null_typeES8_S8_S8_S8_S8_S8_S8_EELb0EEEZNS1_14transform_implILb0ES3_SA_PS9_NS6_6detail15normal_iteratorINS6_10device_ptrIS9_EEEENS0_8identityIS9_EEEE10hipError_tT2_T3_mT4_P12ihipStream_tbEUlT_E_NS1_11comp_targetILNS1_3genE5ELNS1_11target_archE942ELNS1_3gpuE9ELNS1_3repE0EEENS1_30default_config_static_selectorELNS0_4arch9wavefront6targetE1EEEvT1_
	.p2align	8
	.type	_ZN7rocprim17ROCPRIM_400000_NS6detail17trampoline_kernelINS0_14default_configENS1_25transform_config_selectorIN6thrust23THRUST_200600_302600_NS5tupleIffNS6_9null_typeES8_S8_S8_S8_S8_S8_S8_EELb0EEEZNS1_14transform_implILb0ES3_SA_PS9_NS6_6detail15normal_iteratorINS6_10device_ptrIS9_EEEENS0_8identityIS9_EEEE10hipError_tT2_T3_mT4_P12ihipStream_tbEUlT_E_NS1_11comp_targetILNS1_3genE5ELNS1_11target_archE942ELNS1_3gpuE9ELNS1_3repE0EEENS1_30default_config_static_selectorELNS0_4arch9wavefront6targetE1EEEvT1_,@function
_ZN7rocprim17ROCPRIM_400000_NS6detail17trampoline_kernelINS0_14default_configENS1_25transform_config_selectorIN6thrust23THRUST_200600_302600_NS5tupleIffNS6_9null_typeES8_S8_S8_S8_S8_S8_S8_EELb0EEEZNS1_14transform_implILb0ES3_SA_PS9_NS6_6detail15normal_iteratorINS6_10device_ptrIS9_EEEENS0_8identityIS9_EEEE10hipError_tT2_T3_mT4_P12ihipStream_tbEUlT_E_NS1_11comp_targetILNS1_3genE5ELNS1_11target_archE942ELNS1_3gpuE9ELNS1_3repE0EEENS1_30default_config_static_selectorELNS0_4arch9wavefront6targetE1EEEvT1_: ; @_ZN7rocprim17ROCPRIM_400000_NS6detail17trampoline_kernelINS0_14default_configENS1_25transform_config_selectorIN6thrust23THRUST_200600_302600_NS5tupleIffNS6_9null_typeES8_S8_S8_S8_S8_S8_S8_EELb0EEEZNS1_14transform_implILb0ES3_SA_PS9_NS6_6detail15normal_iteratorINS6_10device_ptrIS9_EEEENS0_8identityIS9_EEEE10hipError_tT2_T3_mT4_P12ihipStream_tbEUlT_E_NS1_11comp_targetILNS1_3genE5ELNS1_11target_archE942ELNS1_3gpuE9ELNS1_3repE0EEENS1_30default_config_static_selectorELNS0_4arch9wavefront6targetE1EEEvT1_
; %bb.0:
	.section	.rodata,"a",@progbits
	.p2align	6, 0x0
	.amdhsa_kernel _ZN7rocprim17ROCPRIM_400000_NS6detail17trampoline_kernelINS0_14default_configENS1_25transform_config_selectorIN6thrust23THRUST_200600_302600_NS5tupleIffNS6_9null_typeES8_S8_S8_S8_S8_S8_S8_EELb0EEEZNS1_14transform_implILb0ES3_SA_PS9_NS6_6detail15normal_iteratorINS6_10device_ptrIS9_EEEENS0_8identityIS9_EEEE10hipError_tT2_T3_mT4_P12ihipStream_tbEUlT_E_NS1_11comp_targetILNS1_3genE5ELNS1_11target_archE942ELNS1_3gpuE9ELNS1_3repE0EEENS1_30default_config_static_selectorELNS0_4arch9wavefront6targetE1EEEvT1_
		.amdhsa_group_segment_fixed_size 0
		.amdhsa_private_segment_fixed_size 0
		.amdhsa_kernarg_size 40
		.amdhsa_user_sgpr_count 6
		.amdhsa_user_sgpr_private_segment_buffer 1
		.amdhsa_user_sgpr_dispatch_ptr 0
		.amdhsa_user_sgpr_queue_ptr 0
		.amdhsa_user_sgpr_kernarg_segment_ptr 1
		.amdhsa_user_sgpr_dispatch_id 0
		.amdhsa_user_sgpr_flat_scratch_init 0
		.amdhsa_user_sgpr_kernarg_preload_length 0
		.amdhsa_user_sgpr_kernarg_preload_offset 0
		.amdhsa_user_sgpr_private_segment_size 0
		.amdhsa_uses_dynamic_stack 0
		.amdhsa_system_sgpr_private_segment_wavefront_offset 0
		.amdhsa_system_sgpr_workgroup_id_x 1
		.amdhsa_system_sgpr_workgroup_id_y 0
		.amdhsa_system_sgpr_workgroup_id_z 0
		.amdhsa_system_sgpr_workgroup_info 0
		.amdhsa_system_vgpr_workitem_id 0
		.amdhsa_next_free_vgpr 1
		.amdhsa_next_free_sgpr 0
		.amdhsa_accum_offset 4
		.amdhsa_reserve_vcc 0
		.amdhsa_reserve_flat_scratch 0
		.amdhsa_float_round_mode_32 0
		.amdhsa_float_round_mode_16_64 0
		.amdhsa_float_denorm_mode_32 3
		.amdhsa_float_denorm_mode_16_64 3
		.amdhsa_dx10_clamp 1
		.amdhsa_ieee_mode 1
		.amdhsa_fp16_overflow 0
		.amdhsa_tg_split 0
		.amdhsa_exception_fp_ieee_invalid_op 0
		.amdhsa_exception_fp_denorm_src 0
		.amdhsa_exception_fp_ieee_div_zero 0
		.amdhsa_exception_fp_ieee_overflow 0
		.amdhsa_exception_fp_ieee_underflow 0
		.amdhsa_exception_fp_ieee_inexact 0
		.amdhsa_exception_int_div_zero 0
	.end_amdhsa_kernel
	.section	.text._ZN7rocprim17ROCPRIM_400000_NS6detail17trampoline_kernelINS0_14default_configENS1_25transform_config_selectorIN6thrust23THRUST_200600_302600_NS5tupleIffNS6_9null_typeES8_S8_S8_S8_S8_S8_S8_EELb0EEEZNS1_14transform_implILb0ES3_SA_PS9_NS6_6detail15normal_iteratorINS6_10device_ptrIS9_EEEENS0_8identityIS9_EEEE10hipError_tT2_T3_mT4_P12ihipStream_tbEUlT_E_NS1_11comp_targetILNS1_3genE5ELNS1_11target_archE942ELNS1_3gpuE9ELNS1_3repE0EEENS1_30default_config_static_selectorELNS0_4arch9wavefront6targetE1EEEvT1_,"axG",@progbits,_ZN7rocprim17ROCPRIM_400000_NS6detail17trampoline_kernelINS0_14default_configENS1_25transform_config_selectorIN6thrust23THRUST_200600_302600_NS5tupleIffNS6_9null_typeES8_S8_S8_S8_S8_S8_S8_EELb0EEEZNS1_14transform_implILb0ES3_SA_PS9_NS6_6detail15normal_iteratorINS6_10device_ptrIS9_EEEENS0_8identityIS9_EEEE10hipError_tT2_T3_mT4_P12ihipStream_tbEUlT_E_NS1_11comp_targetILNS1_3genE5ELNS1_11target_archE942ELNS1_3gpuE9ELNS1_3repE0EEENS1_30default_config_static_selectorELNS0_4arch9wavefront6targetE1EEEvT1_,comdat
.Lfunc_end83:
	.size	_ZN7rocprim17ROCPRIM_400000_NS6detail17trampoline_kernelINS0_14default_configENS1_25transform_config_selectorIN6thrust23THRUST_200600_302600_NS5tupleIffNS6_9null_typeES8_S8_S8_S8_S8_S8_S8_EELb0EEEZNS1_14transform_implILb0ES3_SA_PS9_NS6_6detail15normal_iteratorINS6_10device_ptrIS9_EEEENS0_8identityIS9_EEEE10hipError_tT2_T3_mT4_P12ihipStream_tbEUlT_E_NS1_11comp_targetILNS1_3genE5ELNS1_11target_archE942ELNS1_3gpuE9ELNS1_3repE0EEENS1_30default_config_static_selectorELNS0_4arch9wavefront6targetE1EEEvT1_, .Lfunc_end83-_ZN7rocprim17ROCPRIM_400000_NS6detail17trampoline_kernelINS0_14default_configENS1_25transform_config_selectorIN6thrust23THRUST_200600_302600_NS5tupleIffNS6_9null_typeES8_S8_S8_S8_S8_S8_S8_EELb0EEEZNS1_14transform_implILb0ES3_SA_PS9_NS6_6detail15normal_iteratorINS6_10device_ptrIS9_EEEENS0_8identityIS9_EEEE10hipError_tT2_T3_mT4_P12ihipStream_tbEUlT_E_NS1_11comp_targetILNS1_3genE5ELNS1_11target_archE942ELNS1_3gpuE9ELNS1_3repE0EEENS1_30default_config_static_selectorELNS0_4arch9wavefront6targetE1EEEvT1_
                                        ; -- End function
	.section	.AMDGPU.csdata,"",@progbits
; Kernel info:
; codeLenInByte = 0
; NumSgprs: 4
; NumVgprs: 0
; NumAgprs: 0
; TotalNumVgprs: 0
; ScratchSize: 0
; MemoryBound: 0
; FloatMode: 240
; IeeeMode: 1
; LDSByteSize: 0 bytes/workgroup (compile time only)
; SGPRBlocks: 0
; VGPRBlocks: 0
; NumSGPRsForWavesPerEU: 4
; NumVGPRsForWavesPerEU: 1
; AccumOffset: 4
; Occupancy: 8
; WaveLimiterHint : 0
; COMPUTE_PGM_RSRC2:SCRATCH_EN: 0
; COMPUTE_PGM_RSRC2:USER_SGPR: 6
; COMPUTE_PGM_RSRC2:TRAP_HANDLER: 0
; COMPUTE_PGM_RSRC2:TGID_X_EN: 1
; COMPUTE_PGM_RSRC2:TGID_Y_EN: 0
; COMPUTE_PGM_RSRC2:TGID_Z_EN: 0
; COMPUTE_PGM_RSRC2:TIDIG_COMP_CNT: 0
; COMPUTE_PGM_RSRC3_GFX90A:ACCUM_OFFSET: 0
; COMPUTE_PGM_RSRC3_GFX90A:TG_SPLIT: 0
	.section	.text._ZN7rocprim17ROCPRIM_400000_NS6detail17trampoline_kernelINS0_14default_configENS1_25transform_config_selectorIN6thrust23THRUST_200600_302600_NS5tupleIffNS6_9null_typeES8_S8_S8_S8_S8_S8_S8_EELb0EEEZNS1_14transform_implILb0ES3_SA_PS9_NS6_6detail15normal_iteratorINS6_10device_ptrIS9_EEEENS0_8identityIS9_EEEE10hipError_tT2_T3_mT4_P12ihipStream_tbEUlT_E_NS1_11comp_targetILNS1_3genE4ELNS1_11target_archE910ELNS1_3gpuE8ELNS1_3repE0EEENS1_30default_config_static_selectorELNS0_4arch9wavefront6targetE1EEEvT1_,"axG",@progbits,_ZN7rocprim17ROCPRIM_400000_NS6detail17trampoline_kernelINS0_14default_configENS1_25transform_config_selectorIN6thrust23THRUST_200600_302600_NS5tupleIffNS6_9null_typeES8_S8_S8_S8_S8_S8_S8_EELb0EEEZNS1_14transform_implILb0ES3_SA_PS9_NS6_6detail15normal_iteratorINS6_10device_ptrIS9_EEEENS0_8identityIS9_EEEE10hipError_tT2_T3_mT4_P12ihipStream_tbEUlT_E_NS1_11comp_targetILNS1_3genE4ELNS1_11target_archE910ELNS1_3gpuE8ELNS1_3repE0EEENS1_30default_config_static_selectorELNS0_4arch9wavefront6targetE1EEEvT1_,comdat
	.protected	_ZN7rocprim17ROCPRIM_400000_NS6detail17trampoline_kernelINS0_14default_configENS1_25transform_config_selectorIN6thrust23THRUST_200600_302600_NS5tupleIffNS6_9null_typeES8_S8_S8_S8_S8_S8_S8_EELb0EEEZNS1_14transform_implILb0ES3_SA_PS9_NS6_6detail15normal_iteratorINS6_10device_ptrIS9_EEEENS0_8identityIS9_EEEE10hipError_tT2_T3_mT4_P12ihipStream_tbEUlT_E_NS1_11comp_targetILNS1_3genE4ELNS1_11target_archE910ELNS1_3gpuE8ELNS1_3repE0EEENS1_30default_config_static_selectorELNS0_4arch9wavefront6targetE1EEEvT1_ ; -- Begin function _ZN7rocprim17ROCPRIM_400000_NS6detail17trampoline_kernelINS0_14default_configENS1_25transform_config_selectorIN6thrust23THRUST_200600_302600_NS5tupleIffNS6_9null_typeES8_S8_S8_S8_S8_S8_S8_EELb0EEEZNS1_14transform_implILb0ES3_SA_PS9_NS6_6detail15normal_iteratorINS6_10device_ptrIS9_EEEENS0_8identityIS9_EEEE10hipError_tT2_T3_mT4_P12ihipStream_tbEUlT_E_NS1_11comp_targetILNS1_3genE4ELNS1_11target_archE910ELNS1_3gpuE8ELNS1_3repE0EEENS1_30default_config_static_selectorELNS0_4arch9wavefront6targetE1EEEvT1_
	.globl	_ZN7rocprim17ROCPRIM_400000_NS6detail17trampoline_kernelINS0_14default_configENS1_25transform_config_selectorIN6thrust23THRUST_200600_302600_NS5tupleIffNS6_9null_typeES8_S8_S8_S8_S8_S8_S8_EELb0EEEZNS1_14transform_implILb0ES3_SA_PS9_NS6_6detail15normal_iteratorINS6_10device_ptrIS9_EEEENS0_8identityIS9_EEEE10hipError_tT2_T3_mT4_P12ihipStream_tbEUlT_E_NS1_11comp_targetILNS1_3genE4ELNS1_11target_archE910ELNS1_3gpuE8ELNS1_3repE0EEENS1_30default_config_static_selectorELNS0_4arch9wavefront6targetE1EEEvT1_
	.p2align	8
	.type	_ZN7rocprim17ROCPRIM_400000_NS6detail17trampoline_kernelINS0_14default_configENS1_25transform_config_selectorIN6thrust23THRUST_200600_302600_NS5tupleIffNS6_9null_typeES8_S8_S8_S8_S8_S8_S8_EELb0EEEZNS1_14transform_implILb0ES3_SA_PS9_NS6_6detail15normal_iteratorINS6_10device_ptrIS9_EEEENS0_8identityIS9_EEEE10hipError_tT2_T3_mT4_P12ihipStream_tbEUlT_E_NS1_11comp_targetILNS1_3genE4ELNS1_11target_archE910ELNS1_3gpuE8ELNS1_3repE0EEENS1_30default_config_static_selectorELNS0_4arch9wavefront6targetE1EEEvT1_,@function
_ZN7rocprim17ROCPRIM_400000_NS6detail17trampoline_kernelINS0_14default_configENS1_25transform_config_selectorIN6thrust23THRUST_200600_302600_NS5tupleIffNS6_9null_typeES8_S8_S8_S8_S8_S8_S8_EELb0EEEZNS1_14transform_implILb0ES3_SA_PS9_NS6_6detail15normal_iteratorINS6_10device_ptrIS9_EEEENS0_8identityIS9_EEEE10hipError_tT2_T3_mT4_P12ihipStream_tbEUlT_E_NS1_11comp_targetILNS1_3genE4ELNS1_11target_archE910ELNS1_3gpuE8ELNS1_3repE0EEENS1_30default_config_static_selectorELNS0_4arch9wavefront6targetE1EEEvT1_: ; @_ZN7rocprim17ROCPRIM_400000_NS6detail17trampoline_kernelINS0_14default_configENS1_25transform_config_selectorIN6thrust23THRUST_200600_302600_NS5tupleIffNS6_9null_typeES8_S8_S8_S8_S8_S8_S8_EELb0EEEZNS1_14transform_implILb0ES3_SA_PS9_NS6_6detail15normal_iteratorINS6_10device_ptrIS9_EEEENS0_8identityIS9_EEEE10hipError_tT2_T3_mT4_P12ihipStream_tbEUlT_E_NS1_11comp_targetILNS1_3genE4ELNS1_11target_archE910ELNS1_3gpuE8ELNS1_3repE0EEENS1_30default_config_static_selectorELNS0_4arch9wavefront6targetE1EEEvT1_
; %bb.0:
	s_load_dwordx8 s[8:15], s[4:5], 0x0
	s_load_dword s2, s[4:5], 0x28
	v_lshlrev_b32_e32 v6, 3, v0
	s_waitcnt lgkmcnt(0)
	s_lshl_b64 s[0:1], s[10:11], 3
	s_add_u32 s3, s8, s0
	s_addc_u32 s9, s9, s1
	s_add_u32 s7, s14, s0
	s_addc_u32 s10, s15, s1
	s_lshl_b32 s0, s6, 9
	s_mov_b32 s1, 0
	s_add_i32 s2, s2, -1
	s_lshl_b64 s[4:5], s[0:1], 3
	s_add_u32 s8, s3, s4
	s_addc_u32 s9, s9, s5
	s_cmp_lg_u32 s6, s2
	s_mov_b64 s[2:3], -1
	s_cbranch_scc0 .LBB84_2
; %bb.1:
	global_load_dwordx2 v[2:3], v6, s[8:9]
	global_load_dwordx2 v[4:5], v6, s[8:9] offset:2048
	s_add_u32 s1, s7, s4
	s_addc_u32 s2, s10, s5
	v_mov_b32_e32 v1, s2
	v_add_co_u32_e32 v8, vcc, s1, v6
	v_addc_co_u32_e32 v9, vcc, 0, v1, vcc
	s_mov_b64 s[2:3], 0
	s_waitcnt vmcnt(1)
	flat_store_dwordx2 v[8:9], v[2:3]
	s_waitcnt vmcnt(0)
	flat_store_dwordx2 v[8:9], v[4:5] offset:2048
.LBB84_2:
	s_andn2_b64 vcc, exec, s[2:3]
	s_cbranch_vccnz .LBB84_13
; %bb.3:
	s_sub_i32 s2, s12, s0
	v_cmp_gt_u32_e32 vcc, s2, v0
	v_mov_b32_e32 v2, 0
	v_mov_b32_e32 v3, 0
	s_and_saveexec_b64 s[0:1], vcc
	s_cbranch_execz .LBB84_5
; %bb.4:
	global_load_dwordx2 v[2:3], v6, s[8:9]
.LBB84_5:
	s_or_b64 exec, exec, s[0:1]
	v_or_b32_e32 v1, 0x100, v0
	v_cmp_gt_u32_e64 s[0:1], s2, v1
	v_cmp_le_u32_e64 s[2:3], s2, v1
                                        ; implicit-def: $sgpr6
	s_and_saveexec_b64 s[12:13], s[2:3]
	s_xor_b64 s[2:3], exec, s[12:13]
; %bb.6:
	v_mov_b32_e32 v1, 0
	s_mov_b32 s6, 0
                                        ; implicit-def: $vgpr6
; %bb.7:
	s_or_saveexec_b64 s[2:3], s[2:3]
	v_mov_b32_e32 v4, s6
	v_mov_b32_e32 v5, s6
	s_xor_b64 exec, exec, s[2:3]
	s_cbranch_execz .LBB84_9
; %bb.8:
	global_load_dwordx2 v[4:5], v6, s[8:9] offset:2048
	v_mov_b32_e32 v1, 0
.LBB84_9:
	s_or_b64 exec, exec, s[2:3]
	s_add_u32 s2, s7, s4
	s_addc_u32 s3, s10, s5
	v_lshlrev_b64 v[0:1], 3, v[0:1]
	v_mov_b32_e32 v6, s3
	v_add_co_u32_e64 v0, s[2:3], s2, v0
	v_addc_co_u32_e64 v1, s[2:3], v6, v1, s[2:3]
	s_and_saveexec_b64 s[2:3], vcc
	s_cbranch_execz .LBB84_11
; %bb.10:
	s_waitcnt vmcnt(0)
	flat_store_dwordx2 v[0:1], v[2:3]
.LBB84_11:
	s_or_b64 exec, exec, s[2:3]
	s_and_saveexec_b64 s[2:3], s[0:1]
	s_cbranch_execz .LBB84_13
; %bb.12:
	s_waitcnt vmcnt(0)
	flat_store_dwordx2 v[0:1], v[4:5] offset:2048
.LBB84_13:
	s_endpgm
	.section	.rodata,"a",@progbits
	.p2align	6, 0x0
	.amdhsa_kernel _ZN7rocprim17ROCPRIM_400000_NS6detail17trampoline_kernelINS0_14default_configENS1_25transform_config_selectorIN6thrust23THRUST_200600_302600_NS5tupleIffNS6_9null_typeES8_S8_S8_S8_S8_S8_S8_EELb0EEEZNS1_14transform_implILb0ES3_SA_PS9_NS6_6detail15normal_iteratorINS6_10device_ptrIS9_EEEENS0_8identityIS9_EEEE10hipError_tT2_T3_mT4_P12ihipStream_tbEUlT_E_NS1_11comp_targetILNS1_3genE4ELNS1_11target_archE910ELNS1_3gpuE8ELNS1_3repE0EEENS1_30default_config_static_selectorELNS0_4arch9wavefront6targetE1EEEvT1_
		.amdhsa_group_segment_fixed_size 0
		.amdhsa_private_segment_fixed_size 0
		.amdhsa_kernarg_size 296
		.amdhsa_user_sgpr_count 6
		.amdhsa_user_sgpr_private_segment_buffer 1
		.amdhsa_user_sgpr_dispatch_ptr 0
		.amdhsa_user_sgpr_queue_ptr 0
		.amdhsa_user_sgpr_kernarg_segment_ptr 1
		.amdhsa_user_sgpr_dispatch_id 0
		.amdhsa_user_sgpr_flat_scratch_init 0
		.amdhsa_user_sgpr_kernarg_preload_length 0
		.amdhsa_user_sgpr_kernarg_preload_offset 0
		.amdhsa_user_sgpr_private_segment_size 0
		.amdhsa_uses_dynamic_stack 0
		.amdhsa_system_sgpr_private_segment_wavefront_offset 0
		.amdhsa_system_sgpr_workgroup_id_x 1
		.amdhsa_system_sgpr_workgroup_id_y 0
		.amdhsa_system_sgpr_workgroup_id_z 0
		.amdhsa_system_sgpr_workgroup_info 0
		.amdhsa_system_vgpr_workitem_id 0
		.amdhsa_next_free_vgpr 10
		.amdhsa_next_free_sgpr 16
		.amdhsa_accum_offset 12
		.amdhsa_reserve_vcc 1
		.amdhsa_reserve_flat_scratch 0
		.amdhsa_float_round_mode_32 0
		.amdhsa_float_round_mode_16_64 0
		.amdhsa_float_denorm_mode_32 3
		.amdhsa_float_denorm_mode_16_64 3
		.amdhsa_dx10_clamp 1
		.amdhsa_ieee_mode 1
		.amdhsa_fp16_overflow 0
		.amdhsa_tg_split 0
		.amdhsa_exception_fp_ieee_invalid_op 0
		.amdhsa_exception_fp_denorm_src 0
		.amdhsa_exception_fp_ieee_div_zero 0
		.amdhsa_exception_fp_ieee_overflow 0
		.amdhsa_exception_fp_ieee_underflow 0
		.amdhsa_exception_fp_ieee_inexact 0
		.amdhsa_exception_int_div_zero 0
	.end_amdhsa_kernel
	.section	.text._ZN7rocprim17ROCPRIM_400000_NS6detail17trampoline_kernelINS0_14default_configENS1_25transform_config_selectorIN6thrust23THRUST_200600_302600_NS5tupleIffNS6_9null_typeES8_S8_S8_S8_S8_S8_S8_EELb0EEEZNS1_14transform_implILb0ES3_SA_PS9_NS6_6detail15normal_iteratorINS6_10device_ptrIS9_EEEENS0_8identityIS9_EEEE10hipError_tT2_T3_mT4_P12ihipStream_tbEUlT_E_NS1_11comp_targetILNS1_3genE4ELNS1_11target_archE910ELNS1_3gpuE8ELNS1_3repE0EEENS1_30default_config_static_selectorELNS0_4arch9wavefront6targetE1EEEvT1_,"axG",@progbits,_ZN7rocprim17ROCPRIM_400000_NS6detail17trampoline_kernelINS0_14default_configENS1_25transform_config_selectorIN6thrust23THRUST_200600_302600_NS5tupleIffNS6_9null_typeES8_S8_S8_S8_S8_S8_S8_EELb0EEEZNS1_14transform_implILb0ES3_SA_PS9_NS6_6detail15normal_iteratorINS6_10device_ptrIS9_EEEENS0_8identityIS9_EEEE10hipError_tT2_T3_mT4_P12ihipStream_tbEUlT_E_NS1_11comp_targetILNS1_3genE4ELNS1_11target_archE910ELNS1_3gpuE8ELNS1_3repE0EEENS1_30default_config_static_selectorELNS0_4arch9wavefront6targetE1EEEvT1_,comdat
.Lfunc_end84:
	.size	_ZN7rocprim17ROCPRIM_400000_NS6detail17trampoline_kernelINS0_14default_configENS1_25transform_config_selectorIN6thrust23THRUST_200600_302600_NS5tupleIffNS6_9null_typeES8_S8_S8_S8_S8_S8_S8_EELb0EEEZNS1_14transform_implILb0ES3_SA_PS9_NS6_6detail15normal_iteratorINS6_10device_ptrIS9_EEEENS0_8identityIS9_EEEE10hipError_tT2_T3_mT4_P12ihipStream_tbEUlT_E_NS1_11comp_targetILNS1_3genE4ELNS1_11target_archE910ELNS1_3gpuE8ELNS1_3repE0EEENS1_30default_config_static_selectorELNS0_4arch9wavefront6targetE1EEEvT1_, .Lfunc_end84-_ZN7rocprim17ROCPRIM_400000_NS6detail17trampoline_kernelINS0_14default_configENS1_25transform_config_selectorIN6thrust23THRUST_200600_302600_NS5tupleIffNS6_9null_typeES8_S8_S8_S8_S8_S8_S8_EELb0EEEZNS1_14transform_implILb0ES3_SA_PS9_NS6_6detail15normal_iteratorINS6_10device_ptrIS9_EEEENS0_8identityIS9_EEEE10hipError_tT2_T3_mT4_P12ihipStream_tbEUlT_E_NS1_11comp_targetILNS1_3genE4ELNS1_11target_archE910ELNS1_3gpuE8ELNS1_3repE0EEENS1_30default_config_static_selectorELNS0_4arch9wavefront6targetE1EEEvT1_
                                        ; -- End function
	.section	.AMDGPU.csdata,"",@progbits
; Kernel info:
; codeLenInByte = 348
; NumSgprs: 20
; NumVgprs: 10
; NumAgprs: 0
; TotalNumVgprs: 10
; ScratchSize: 0
; MemoryBound: 0
; FloatMode: 240
; IeeeMode: 1
; LDSByteSize: 0 bytes/workgroup (compile time only)
; SGPRBlocks: 2
; VGPRBlocks: 1
; NumSGPRsForWavesPerEU: 20
; NumVGPRsForWavesPerEU: 10
; AccumOffset: 12
; Occupancy: 8
; WaveLimiterHint : 1
; COMPUTE_PGM_RSRC2:SCRATCH_EN: 0
; COMPUTE_PGM_RSRC2:USER_SGPR: 6
; COMPUTE_PGM_RSRC2:TRAP_HANDLER: 0
; COMPUTE_PGM_RSRC2:TGID_X_EN: 1
; COMPUTE_PGM_RSRC2:TGID_Y_EN: 0
; COMPUTE_PGM_RSRC2:TGID_Z_EN: 0
; COMPUTE_PGM_RSRC2:TIDIG_COMP_CNT: 0
; COMPUTE_PGM_RSRC3_GFX90A:ACCUM_OFFSET: 2
; COMPUTE_PGM_RSRC3_GFX90A:TG_SPLIT: 0
	.section	.text._ZN7rocprim17ROCPRIM_400000_NS6detail17trampoline_kernelINS0_14default_configENS1_25transform_config_selectorIN6thrust23THRUST_200600_302600_NS5tupleIffNS6_9null_typeES8_S8_S8_S8_S8_S8_S8_EELb0EEEZNS1_14transform_implILb0ES3_SA_PS9_NS6_6detail15normal_iteratorINS6_10device_ptrIS9_EEEENS0_8identityIS9_EEEE10hipError_tT2_T3_mT4_P12ihipStream_tbEUlT_E_NS1_11comp_targetILNS1_3genE3ELNS1_11target_archE908ELNS1_3gpuE7ELNS1_3repE0EEENS1_30default_config_static_selectorELNS0_4arch9wavefront6targetE1EEEvT1_,"axG",@progbits,_ZN7rocprim17ROCPRIM_400000_NS6detail17trampoline_kernelINS0_14default_configENS1_25transform_config_selectorIN6thrust23THRUST_200600_302600_NS5tupleIffNS6_9null_typeES8_S8_S8_S8_S8_S8_S8_EELb0EEEZNS1_14transform_implILb0ES3_SA_PS9_NS6_6detail15normal_iteratorINS6_10device_ptrIS9_EEEENS0_8identityIS9_EEEE10hipError_tT2_T3_mT4_P12ihipStream_tbEUlT_E_NS1_11comp_targetILNS1_3genE3ELNS1_11target_archE908ELNS1_3gpuE7ELNS1_3repE0EEENS1_30default_config_static_selectorELNS0_4arch9wavefront6targetE1EEEvT1_,comdat
	.protected	_ZN7rocprim17ROCPRIM_400000_NS6detail17trampoline_kernelINS0_14default_configENS1_25transform_config_selectorIN6thrust23THRUST_200600_302600_NS5tupleIffNS6_9null_typeES8_S8_S8_S8_S8_S8_S8_EELb0EEEZNS1_14transform_implILb0ES3_SA_PS9_NS6_6detail15normal_iteratorINS6_10device_ptrIS9_EEEENS0_8identityIS9_EEEE10hipError_tT2_T3_mT4_P12ihipStream_tbEUlT_E_NS1_11comp_targetILNS1_3genE3ELNS1_11target_archE908ELNS1_3gpuE7ELNS1_3repE0EEENS1_30default_config_static_selectorELNS0_4arch9wavefront6targetE1EEEvT1_ ; -- Begin function _ZN7rocprim17ROCPRIM_400000_NS6detail17trampoline_kernelINS0_14default_configENS1_25transform_config_selectorIN6thrust23THRUST_200600_302600_NS5tupleIffNS6_9null_typeES8_S8_S8_S8_S8_S8_S8_EELb0EEEZNS1_14transform_implILb0ES3_SA_PS9_NS6_6detail15normal_iteratorINS6_10device_ptrIS9_EEEENS0_8identityIS9_EEEE10hipError_tT2_T3_mT4_P12ihipStream_tbEUlT_E_NS1_11comp_targetILNS1_3genE3ELNS1_11target_archE908ELNS1_3gpuE7ELNS1_3repE0EEENS1_30default_config_static_selectorELNS0_4arch9wavefront6targetE1EEEvT1_
	.globl	_ZN7rocprim17ROCPRIM_400000_NS6detail17trampoline_kernelINS0_14default_configENS1_25transform_config_selectorIN6thrust23THRUST_200600_302600_NS5tupleIffNS6_9null_typeES8_S8_S8_S8_S8_S8_S8_EELb0EEEZNS1_14transform_implILb0ES3_SA_PS9_NS6_6detail15normal_iteratorINS6_10device_ptrIS9_EEEENS0_8identityIS9_EEEE10hipError_tT2_T3_mT4_P12ihipStream_tbEUlT_E_NS1_11comp_targetILNS1_3genE3ELNS1_11target_archE908ELNS1_3gpuE7ELNS1_3repE0EEENS1_30default_config_static_selectorELNS0_4arch9wavefront6targetE1EEEvT1_
	.p2align	8
	.type	_ZN7rocprim17ROCPRIM_400000_NS6detail17trampoline_kernelINS0_14default_configENS1_25transform_config_selectorIN6thrust23THRUST_200600_302600_NS5tupleIffNS6_9null_typeES8_S8_S8_S8_S8_S8_S8_EELb0EEEZNS1_14transform_implILb0ES3_SA_PS9_NS6_6detail15normal_iteratorINS6_10device_ptrIS9_EEEENS0_8identityIS9_EEEE10hipError_tT2_T3_mT4_P12ihipStream_tbEUlT_E_NS1_11comp_targetILNS1_3genE3ELNS1_11target_archE908ELNS1_3gpuE7ELNS1_3repE0EEENS1_30default_config_static_selectorELNS0_4arch9wavefront6targetE1EEEvT1_,@function
_ZN7rocprim17ROCPRIM_400000_NS6detail17trampoline_kernelINS0_14default_configENS1_25transform_config_selectorIN6thrust23THRUST_200600_302600_NS5tupleIffNS6_9null_typeES8_S8_S8_S8_S8_S8_S8_EELb0EEEZNS1_14transform_implILb0ES3_SA_PS9_NS6_6detail15normal_iteratorINS6_10device_ptrIS9_EEEENS0_8identityIS9_EEEE10hipError_tT2_T3_mT4_P12ihipStream_tbEUlT_E_NS1_11comp_targetILNS1_3genE3ELNS1_11target_archE908ELNS1_3gpuE7ELNS1_3repE0EEENS1_30default_config_static_selectorELNS0_4arch9wavefront6targetE1EEEvT1_: ; @_ZN7rocprim17ROCPRIM_400000_NS6detail17trampoline_kernelINS0_14default_configENS1_25transform_config_selectorIN6thrust23THRUST_200600_302600_NS5tupleIffNS6_9null_typeES8_S8_S8_S8_S8_S8_S8_EELb0EEEZNS1_14transform_implILb0ES3_SA_PS9_NS6_6detail15normal_iteratorINS6_10device_ptrIS9_EEEENS0_8identityIS9_EEEE10hipError_tT2_T3_mT4_P12ihipStream_tbEUlT_E_NS1_11comp_targetILNS1_3genE3ELNS1_11target_archE908ELNS1_3gpuE7ELNS1_3repE0EEENS1_30default_config_static_selectorELNS0_4arch9wavefront6targetE1EEEvT1_
; %bb.0:
	.section	.rodata,"a",@progbits
	.p2align	6, 0x0
	.amdhsa_kernel _ZN7rocprim17ROCPRIM_400000_NS6detail17trampoline_kernelINS0_14default_configENS1_25transform_config_selectorIN6thrust23THRUST_200600_302600_NS5tupleIffNS6_9null_typeES8_S8_S8_S8_S8_S8_S8_EELb0EEEZNS1_14transform_implILb0ES3_SA_PS9_NS6_6detail15normal_iteratorINS6_10device_ptrIS9_EEEENS0_8identityIS9_EEEE10hipError_tT2_T3_mT4_P12ihipStream_tbEUlT_E_NS1_11comp_targetILNS1_3genE3ELNS1_11target_archE908ELNS1_3gpuE7ELNS1_3repE0EEENS1_30default_config_static_selectorELNS0_4arch9wavefront6targetE1EEEvT1_
		.amdhsa_group_segment_fixed_size 0
		.amdhsa_private_segment_fixed_size 0
		.amdhsa_kernarg_size 40
		.amdhsa_user_sgpr_count 6
		.amdhsa_user_sgpr_private_segment_buffer 1
		.amdhsa_user_sgpr_dispatch_ptr 0
		.amdhsa_user_sgpr_queue_ptr 0
		.amdhsa_user_sgpr_kernarg_segment_ptr 1
		.amdhsa_user_sgpr_dispatch_id 0
		.amdhsa_user_sgpr_flat_scratch_init 0
		.amdhsa_user_sgpr_kernarg_preload_length 0
		.amdhsa_user_sgpr_kernarg_preload_offset 0
		.amdhsa_user_sgpr_private_segment_size 0
		.amdhsa_uses_dynamic_stack 0
		.amdhsa_system_sgpr_private_segment_wavefront_offset 0
		.amdhsa_system_sgpr_workgroup_id_x 1
		.amdhsa_system_sgpr_workgroup_id_y 0
		.amdhsa_system_sgpr_workgroup_id_z 0
		.amdhsa_system_sgpr_workgroup_info 0
		.amdhsa_system_vgpr_workitem_id 0
		.amdhsa_next_free_vgpr 1
		.amdhsa_next_free_sgpr 0
		.amdhsa_accum_offset 4
		.amdhsa_reserve_vcc 0
		.amdhsa_reserve_flat_scratch 0
		.amdhsa_float_round_mode_32 0
		.amdhsa_float_round_mode_16_64 0
		.amdhsa_float_denorm_mode_32 3
		.amdhsa_float_denorm_mode_16_64 3
		.amdhsa_dx10_clamp 1
		.amdhsa_ieee_mode 1
		.amdhsa_fp16_overflow 0
		.amdhsa_tg_split 0
		.amdhsa_exception_fp_ieee_invalid_op 0
		.amdhsa_exception_fp_denorm_src 0
		.amdhsa_exception_fp_ieee_div_zero 0
		.amdhsa_exception_fp_ieee_overflow 0
		.amdhsa_exception_fp_ieee_underflow 0
		.amdhsa_exception_fp_ieee_inexact 0
		.amdhsa_exception_int_div_zero 0
	.end_amdhsa_kernel
	.section	.text._ZN7rocprim17ROCPRIM_400000_NS6detail17trampoline_kernelINS0_14default_configENS1_25transform_config_selectorIN6thrust23THRUST_200600_302600_NS5tupleIffNS6_9null_typeES8_S8_S8_S8_S8_S8_S8_EELb0EEEZNS1_14transform_implILb0ES3_SA_PS9_NS6_6detail15normal_iteratorINS6_10device_ptrIS9_EEEENS0_8identityIS9_EEEE10hipError_tT2_T3_mT4_P12ihipStream_tbEUlT_E_NS1_11comp_targetILNS1_3genE3ELNS1_11target_archE908ELNS1_3gpuE7ELNS1_3repE0EEENS1_30default_config_static_selectorELNS0_4arch9wavefront6targetE1EEEvT1_,"axG",@progbits,_ZN7rocprim17ROCPRIM_400000_NS6detail17trampoline_kernelINS0_14default_configENS1_25transform_config_selectorIN6thrust23THRUST_200600_302600_NS5tupleIffNS6_9null_typeES8_S8_S8_S8_S8_S8_S8_EELb0EEEZNS1_14transform_implILb0ES3_SA_PS9_NS6_6detail15normal_iteratorINS6_10device_ptrIS9_EEEENS0_8identityIS9_EEEE10hipError_tT2_T3_mT4_P12ihipStream_tbEUlT_E_NS1_11comp_targetILNS1_3genE3ELNS1_11target_archE908ELNS1_3gpuE7ELNS1_3repE0EEENS1_30default_config_static_selectorELNS0_4arch9wavefront6targetE1EEEvT1_,comdat
.Lfunc_end85:
	.size	_ZN7rocprim17ROCPRIM_400000_NS6detail17trampoline_kernelINS0_14default_configENS1_25transform_config_selectorIN6thrust23THRUST_200600_302600_NS5tupleIffNS6_9null_typeES8_S8_S8_S8_S8_S8_S8_EELb0EEEZNS1_14transform_implILb0ES3_SA_PS9_NS6_6detail15normal_iteratorINS6_10device_ptrIS9_EEEENS0_8identityIS9_EEEE10hipError_tT2_T3_mT4_P12ihipStream_tbEUlT_E_NS1_11comp_targetILNS1_3genE3ELNS1_11target_archE908ELNS1_3gpuE7ELNS1_3repE0EEENS1_30default_config_static_selectorELNS0_4arch9wavefront6targetE1EEEvT1_, .Lfunc_end85-_ZN7rocprim17ROCPRIM_400000_NS6detail17trampoline_kernelINS0_14default_configENS1_25transform_config_selectorIN6thrust23THRUST_200600_302600_NS5tupleIffNS6_9null_typeES8_S8_S8_S8_S8_S8_S8_EELb0EEEZNS1_14transform_implILb0ES3_SA_PS9_NS6_6detail15normal_iteratorINS6_10device_ptrIS9_EEEENS0_8identityIS9_EEEE10hipError_tT2_T3_mT4_P12ihipStream_tbEUlT_E_NS1_11comp_targetILNS1_3genE3ELNS1_11target_archE908ELNS1_3gpuE7ELNS1_3repE0EEENS1_30default_config_static_selectorELNS0_4arch9wavefront6targetE1EEEvT1_
                                        ; -- End function
	.section	.AMDGPU.csdata,"",@progbits
; Kernel info:
; codeLenInByte = 0
; NumSgprs: 4
; NumVgprs: 0
; NumAgprs: 0
; TotalNumVgprs: 0
; ScratchSize: 0
; MemoryBound: 0
; FloatMode: 240
; IeeeMode: 1
; LDSByteSize: 0 bytes/workgroup (compile time only)
; SGPRBlocks: 0
; VGPRBlocks: 0
; NumSGPRsForWavesPerEU: 4
; NumVGPRsForWavesPerEU: 1
; AccumOffset: 4
; Occupancy: 8
; WaveLimiterHint : 0
; COMPUTE_PGM_RSRC2:SCRATCH_EN: 0
; COMPUTE_PGM_RSRC2:USER_SGPR: 6
; COMPUTE_PGM_RSRC2:TRAP_HANDLER: 0
; COMPUTE_PGM_RSRC2:TGID_X_EN: 1
; COMPUTE_PGM_RSRC2:TGID_Y_EN: 0
; COMPUTE_PGM_RSRC2:TGID_Z_EN: 0
; COMPUTE_PGM_RSRC2:TIDIG_COMP_CNT: 0
; COMPUTE_PGM_RSRC3_GFX90A:ACCUM_OFFSET: 0
; COMPUTE_PGM_RSRC3_GFX90A:TG_SPLIT: 0
	.section	.text._ZN7rocprim17ROCPRIM_400000_NS6detail17trampoline_kernelINS0_14default_configENS1_25transform_config_selectorIN6thrust23THRUST_200600_302600_NS5tupleIffNS6_9null_typeES8_S8_S8_S8_S8_S8_S8_EELb0EEEZNS1_14transform_implILb0ES3_SA_PS9_NS6_6detail15normal_iteratorINS6_10device_ptrIS9_EEEENS0_8identityIS9_EEEE10hipError_tT2_T3_mT4_P12ihipStream_tbEUlT_E_NS1_11comp_targetILNS1_3genE2ELNS1_11target_archE906ELNS1_3gpuE6ELNS1_3repE0EEENS1_30default_config_static_selectorELNS0_4arch9wavefront6targetE1EEEvT1_,"axG",@progbits,_ZN7rocprim17ROCPRIM_400000_NS6detail17trampoline_kernelINS0_14default_configENS1_25transform_config_selectorIN6thrust23THRUST_200600_302600_NS5tupleIffNS6_9null_typeES8_S8_S8_S8_S8_S8_S8_EELb0EEEZNS1_14transform_implILb0ES3_SA_PS9_NS6_6detail15normal_iteratorINS6_10device_ptrIS9_EEEENS0_8identityIS9_EEEE10hipError_tT2_T3_mT4_P12ihipStream_tbEUlT_E_NS1_11comp_targetILNS1_3genE2ELNS1_11target_archE906ELNS1_3gpuE6ELNS1_3repE0EEENS1_30default_config_static_selectorELNS0_4arch9wavefront6targetE1EEEvT1_,comdat
	.protected	_ZN7rocprim17ROCPRIM_400000_NS6detail17trampoline_kernelINS0_14default_configENS1_25transform_config_selectorIN6thrust23THRUST_200600_302600_NS5tupleIffNS6_9null_typeES8_S8_S8_S8_S8_S8_S8_EELb0EEEZNS1_14transform_implILb0ES3_SA_PS9_NS6_6detail15normal_iteratorINS6_10device_ptrIS9_EEEENS0_8identityIS9_EEEE10hipError_tT2_T3_mT4_P12ihipStream_tbEUlT_E_NS1_11comp_targetILNS1_3genE2ELNS1_11target_archE906ELNS1_3gpuE6ELNS1_3repE0EEENS1_30default_config_static_selectorELNS0_4arch9wavefront6targetE1EEEvT1_ ; -- Begin function _ZN7rocprim17ROCPRIM_400000_NS6detail17trampoline_kernelINS0_14default_configENS1_25transform_config_selectorIN6thrust23THRUST_200600_302600_NS5tupleIffNS6_9null_typeES8_S8_S8_S8_S8_S8_S8_EELb0EEEZNS1_14transform_implILb0ES3_SA_PS9_NS6_6detail15normal_iteratorINS6_10device_ptrIS9_EEEENS0_8identityIS9_EEEE10hipError_tT2_T3_mT4_P12ihipStream_tbEUlT_E_NS1_11comp_targetILNS1_3genE2ELNS1_11target_archE906ELNS1_3gpuE6ELNS1_3repE0EEENS1_30default_config_static_selectorELNS0_4arch9wavefront6targetE1EEEvT1_
	.globl	_ZN7rocprim17ROCPRIM_400000_NS6detail17trampoline_kernelINS0_14default_configENS1_25transform_config_selectorIN6thrust23THRUST_200600_302600_NS5tupleIffNS6_9null_typeES8_S8_S8_S8_S8_S8_S8_EELb0EEEZNS1_14transform_implILb0ES3_SA_PS9_NS6_6detail15normal_iteratorINS6_10device_ptrIS9_EEEENS0_8identityIS9_EEEE10hipError_tT2_T3_mT4_P12ihipStream_tbEUlT_E_NS1_11comp_targetILNS1_3genE2ELNS1_11target_archE906ELNS1_3gpuE6ELNS1_3repE0EEENS1_30default_config_static_selectorELNS0_4arch9wavefront6targetE1EEEvT1_
	.p2align	8
	.type	_ZN7rocprim17ROCPRIM_400000_NS6detail17trampoline_kernelINS0_14default_configENS1_25transform_config_selectorIN6thrust23THRUST_200600_302600_NS5tupleIffNS6_9null_typeES8_S8_S8_S8_S8_S8_S8_EELb0EEEZNS1_14transform_implILb0ES3_SA_PS9_NS6_6detail15normal_iteratorINS6_10device_ptrIS9_EEEENS0_8identityIS9_EEEE10hipError_tT2_T3_mT4_P12ihipStream_tbEUlT_E_NS1_11comp_targetILNS1_3genE2ELNS1_11target_archE906ELNS1_3gpuE6ELNS1_3repE0EEENS1_30default_config_static_selectorELNS0_4arch9wavefront6targetE1EEEvT1_,@function
_ZN7rocprim17ROCPRIM_400000_NS6detail17trampoline_kernelINS0_14default_configENS1_25transform_config_selectorIN6thrust23THRUST_200600_302600_NS5tupleIffNS6_9null_typeES8_S8_S8_S8_S8_S8_S8_EELb0EEEZNS1_14transform_implILb0ES3_SA_PS9_NS6_6detail15normal_iteratorINS6_10device_ptrIS9_EEEENS0_8identityIS9_EEEE10hipError_tT2_T3_mT4_P12ihipStream_tbEUlT_E_NS1_11comp_targetILNS1_3genE2ELNS1_11target_archE906ELNS1_3gpuE6ELNS1_3repE0EEENS1_30default_config_static_selectorELNS0_4arch9wavefront6targetE1EEEvT1_: ; @_ZN7rocprim17ROCPRIM_400000_NS6detail17trampoline_kernelINS0_14default_configENS1_25transform_config_selectorIN6thrust23THRUST_200600_302600_NS5tupleIffNS6_9null_typeES8_S8_S8_S8_S8_S8_S8_EELb0EEEZNS1_14transform_implILb0ES3_SA_PS9_NS6_6detail15normal_iteratorINS6_10device_ptrIS9_EEEENS0_8identityIS9_EEEE10hipError_tT2_T3_mT4_P12ihipStream_tbEUlT_E_NS1_11comp_targetILNS1_3genE2ELNS1_11target_archE906ELNS1_3gpuE6ELNS1_3repE0EEENS1_30default_config_static_selectorELNS0_4arch9wavefront6targetE1EEEvT1_
; %bb.0:
	.section	.rodata,"a",@progbits
	.p2align	6, 0x0
	.amdhsa_kernel _ZN7rocprim17ROCPRIM_400000_NS6detail17trampoline_kernelINS0_14default_configENS1_25transform_config_selectorIN6thrust23THRUST_200600_302600_NS5tupleIffNS6_9null_typeES8_S8_S8_S8_S8_S8_S8_EELb0EEEZNS1_14transform_implILb0ES3_SA_PS9_NS6_6detail15normal_iteratorINS6_10device_ptrIS9_EEEENS0_8identityIS9_EEEE10hipError_tT2_T3_mT4_P12ihipStream_tbEUlT_E_NS1_11comp_targetILNS1_3genE2ELNS1_11target_archE906ELNS1_3gpuE6ELNS1_3repE0EEENS1_30default_config_static_selectorELNS0_4arch9wavefront6targetE1EEEvT1_
		.amdhsa_group_segment_fixed_size 0
		.amdhsa_private_segment_fixed_size 0
		.amdhsa_kernarg_size 40
		.amdhsa_user_sgpr_count 6
		.amdhsa_user_sgpr_private_segment_buffer 1
		.amdhsa_user_sgpr_dispatch_ptr 0
		.amdhsa_user_sgpr_queue_ptr 0
		.amdhsa_user_sgpr_kernarg_segment_ptr 1
		.amdhsa_user_sgpr_dispatch_id 0
		.amdhsa_user_sgpr_flat_scratch_init 0
		.amdhsa_user_sgpr_kernarg_preload_length 0
		.amdhsa_user_sgpr_kernarg_preload_offset 0
		.amdhsa_user_sgpr_private_segment_size 0
		.amdhsa_uses_dynamic_stack 0
		.amdhsa_system_sgpr_private_segment_wavefront_offset 0
		.amdhsa_system_sgpr_workgroup_id_x 1
		.amdhsa_system_sgpr_workgroup_id_y 0
		.amdhsa_system_sgpr_workgroup_id_z 0
		.amdhsa_system_sgpr_workgroup_info 0
		.amdhsa_system_vgpr_workitem_id 0
		.amdhsa_next_free_vgpr 1
		.amdhsa_next_free_sgpr 0
		.amdhsa_accum_offset 4
		.amdhsa_reserve_vcc 0
		.amdhsa_reserve_flat_scratch 0
		.amdhsa_float_round_mode_32 0
		.amdhsa_float_round_mode_16_64 0
		.amdhsa_float_denorm_mode_32 3
		.amdhsa_float_denorm_mode_16_64 3
		.amdhsa_dx10_clamp 1
		.amdhsa_ieee_mode 1
		.amdhsa_fp16_overflow 0
		.amdhsa_tg_split 0
		.amdhsa_exception_fp_ieee_invalid_op 0
		.amdhsa_exception_fp_denorm_src 0
		.amdhsa_exception_fp_ieee_div_zero 0
		.amdhsa_exception_fp_ieee_overflow 0
		.amdhsa_exception_fp_ieee_underflow 0
		.amdhsa_exception_fp_ieee_inexact 0
		.amdhsa_exception_int_div_zero 0
	.end_amdhsa_kernel
	.section	.text._ZN7rocprim17ROCPRIM_400000_NS6detail17trampoline_kernelINS0_14default_configENS1_25transform_config_selectorIN6thrust23THRUST_200600_302600_NS5tupleIffNS6_9null_typeES8_S8_S8_S8_S8_S8_S8_EELb0EEEZNS1_14transform_implILb0ES3_SA_PS9_NS6_6detail15normal_iteratorINS6_10device_ptrIS9_EEEENS0_8identityIS9_EEEE10hipError_tT2_T3_mT4_P12ihipStream_tbEUlT_E_NS1_11comp_targetILNS1_3genE2ELNS1_11target_archE906ELNS1_3gpuE6ELNS1_3repE0EEENS1_30default_config_static_selectorELNS0_4arch9wavefront6targetE1EEEvT1_,"axG",@progbits,_ZN7rocprim17ROCPRIM_400000_NS6detail17trampoline_kernelINS0_14default_configENS1_25transform_config_selectorIN6thrust23THRUST_200600_302600_NS5tupleIffNS6_9null_typeES8_S8_S8_S8_S8_S8_S8_EELb0EEEZNS1_14transform_implILb0ES3_SA_PS9_NS6_6detail15normal_iteratorINS6_10device_ptrIS9_EEEENS0_8identityIS9_EEEE10hipError_tT2_T3_mT4_P12ihipStream_tbEUlT_E_NS1_11comp_targetILNS1_3genE2ELNS1_11target_archE906ELNS1_3gpuE6ELNS1_3repE0EEENS1_30default_config_static_selectorELNS0_4arch9wavefront6targetE1EEEvT1_,comdat
.Lfunc_end86:
	.size	_ZN7rocprim17ROCPRIM_400000_NS6detail17trampoline_kernelINS0_14default_configENS1_25transform_config_selectorIN6thrust23THRUST_200600_302600_NS5tupleIffNS6_9null_typeES8_S8_S8_S8_S8_S8_S8_EELb0EEEZNS1_14transform_implILb0ES3_SA_PS9_NS6_6detail15normal_iteratorINS6_10device_ptrIS9_EEEENS0_8identityIS9_EEEE10hipError_tT2_T3_mT4_P12ihipStream_tbEUlT_E_NS1_11comp_targetILNS1_3genE2ELNS1_11target_archE906ELNS1_3gpuE6ELNS1_3repE0EEENS1_30default_config_static_selectorELNS0_4arch9wavefront6targetE1EEEvT1_, .Lfunc_end86-_ZN7rocprim17ROCPRIM_400000_NS6detail17trampoline_kernelINS0_14default_configENS1_25transform_config_selectorIN6thrust23THRUST_200600_302600_NS5tupleIffNS6_9null_typeES8_S8_S8_S8_S8_S8_S8_EELb0EEEZNS1_14transform_implILb0ES3_SA_PS9_NS6_6detail15normal_iteratorINS6_10device_ptrIS9_EEEENS0_8identityIS9_EEEE10hipError_tT2_T3_mT4_P12ihipStream_tbEUlT_E_NS1_11comp_targetILNS1_3genE2ELNS1_11target_archE906ELNS1_3gpuE6ELNS1_3repE0EEENS1_30default_config_static_selectorELNS0_4arch9wavefront6targetE1EEEvT1_
                                        ; -- End function
	.section	.AMDGPU.csdata,"",@progbits
; Kernel info:
; codeLenInByte = 0
; NumSgprs: 4
; NumVgprs: 0
; NumAgprs: 0
; TotalNumVgprs: 0
; ScratchSize: 0
; MemoryBound: 0
; FloatMode: 240
; IeeeMode: 1
; LDSByteSize: 0 bytes/workgroup (compile time only)
; SGPRBlocks: 0
; VGPRBlocks: 0
; NumSGPRsForWavesPerEU: 4
; NumVGPRsForWavesPerEU: 1
; AccumOffset: 4
; Occupancy: 8
; WaveLimiterHint : 0
; COMPUTE_PGM_RSRC2:SCRATCH_EN: 0
; COMPUTE_PGM_RSRC2:USER_SGPR: 6
; COMPUTE_PGM_RSRC2:TRAP_HANDLER: 0
; COMPUTE_PGM_RSRC2:TGID_X_EN: 1
; COMPUTE_PGM_RSRC2:TGID_Y_EN: 0
; COMPUTE_PGM_RSRC2:TGID_Z_EN: 0
; COMPUTE_PGM_RSRC2:TIDIG_COMP_CNT: 0
; COMPUTE_PGM_RSRC3_GFX90A:ACCUM_OFFSET: 0
; COMPUTE_PGM_RSRC3_GFX90A:TG_SPLIT: 0
	.section	.text._ZN7rocprim17ROCPRIM_400000_NS6detail17trampoline_kernelINS0_14default_configENS1_25transform_config_selectorIN6thrust23THRUST_200600_302600_NS5tupleIffNS6_9null_typeES8_S8_S8_S8_S8_S8_S8_EELb0EEEZNS1_14transform_implILb0ES3_SA_PS9_NS6_6detail15normal_iteratorINS6_10device_ptrIS9_EEEENS0_8identityIS9_EEEE10hipError_tT2_T3_mT4_P12ihipStream_tbEUlT_E_NS1_11comp_targetILNS1_3genE10ELNS1_11target_archE1201ELNS1_3gpuE5ELNS1_3repE0EEENS1_30default_config_static_selectorELNS0_4arch9wavefront6targetE1EEEvT1_,"axG",@progbits,_ZN7rocprim17ROCPRIM_400000_NS6detail17trampoline_kernelINS0_14default_configENS1_25transform_config_selectorIN6thrust23THRUST_200600_302600_NS5tupleIffNS6_9null_typeES8_S8_S8_S8_S8_S8_S8_EELb0EEEZNS1_14transform_implILb0ES3_SA_PS9_NS6_6detail15normal_iteratorINS6_10device_ptrIS9_EEEENS0_8identityIS9_EEEE10hipError_tT2_T3_mT4_P12ihipStream_tbEUlT_E_NS1_11comp_targetILNS1_3genE10ELNS1_11target_archE1201ELNS1_3gpuE5ELNS1_3repE0EEENS1_30default_config_static_selectorELNS0_4arch9wavefront6targetE1EEEvT1_,comdat
	.protected	_ZN7rocprim17ROCPRIM_400000_NS6detail17trampoline_kernelINS0_14default_configENS1_25transform_config_selectorIN6thrust23THRUST_200600_302600_NS5tupleIffNS6_9null_typeES8_S8_S8_S8_S8_S8_S8_EELb0EEEZNS1_14transform_implILb0ES3_SA_PS9_NS6_6detail15normal_iteratorINS6_10device_ptrIS9_EEEENS0_8identityIS9_EEEE10hipError_tT2_T3_mT4_P12ihipStream_tbEUlT_E_NS1_11comp_targetILNS1_3genE10ELNS1_11target_archE1201ELNS1_3gpuE5ELNS1_3repE0EEENS1_30default_config_static_selectorELNS0_4arch9wavefront6targetE1EEEvT1_ ; -- Begin function _ZN7rocprim17ROCPRIM_400000_NS6detail17trampoline_kernelINS0_14default_configENS1_25transform_config_selectorIN6thrust23THRUST_200600_302600_NS5tupleIffNS6_9null_typeES8_S8_S8_S8_S8_S8_S8_EELb0EEEZNS1_14transform_implILb0ES3_SA_PS9_NS6_6detail15normal_iteratorINS6_10device_ptrIS9_EEEENS0_8identityIS9_EEEE10hipError_tT2_T3_mT4_P12ihipStream_tbEUlT_E_NS1_11comp_targetILNS1_3genE10ELNS1_11target_archE1201ELNS1_3gpuE5ELNS1_3repE0EEENS1_30default_config_static_selectorELNS0_4arch9wavefront6targetE1EEEvT1_
	.globl	_ZN7rocprim17ROCPRIM_400000_NS6detail17trampoline_kernelINS0_14default_configENS1_25transform_config_selectorIN6thrust23THRUST_200600_302600_NS5tupleIffNS6_9null_typeES8_S8_S8_S8_S8_S8_S8_EELb0EEEZNS1_14transform_implILb0ES3_SA_PS9_NS6_6detail15normal_iteratorINS6_10device_ptrIS9_EEEENS0_8identityIS9_EEEE10hipError_tT2_T3_mT4_P12ihipStream_tbEUlT_E_NS1_11comp_targetILNS1_3genE10ELNS1_11target_archE1201ELNS1_3gpuE5ELNS1_3repE0EEENS1_30default_config_static_selectorELNS0_4arch9wavefront6targetE1EEEvT1_
	.p2align	8
	.type	_ZN7rocprim17ROCPRIM_400000_NS6detail17trampoline_kernelINS0_14default_configENS1_25transform_config_selectorIN6thrust23THRUST_200600_302600_NS5tupleIffNS6_9null_typeES8_S8_S8_S8_S8_S8_S8_EELb0EEEZNS1_14transform_implILb0ES3_SA_PS9_NS6_6detail15normal_iteratorINS6_10device_ptrIS9_EEEENS0_8identityIS9_EEEE10hipError_tT2_T3_mT4_P12ihipStream_tbEUlT_E_NS1_11comp_targetILNS1_3genE10ELNS1_11target_archE1201ELNS1_3gpuE5ELNS1_3repE0EEENS1_30default_config_static_selectorELNS0_4arch9wavefront6targetE1EEEvT1_,@function
_ZN7rocprim17ROCPRIM_400000_NS6detail17trampoline_kernelINS0_14default_configENS1_25transform_config_selectorIN6thrust23THRUST_200600_302600_NS5tupleIffNS6_9null_typeES8_S8_S8_S8_S8_S8_S8_EELb0EEEZNS1_14transform_implILb0ES3_SA_PS9_NS6_6detail15normal_iteratorINS6_10device_ptrIS9_EEEENS0_8identityIS9_EEEE10hipError_tT2_T3_mT4_P12ihipStream_tbEUlT_E_NS1_11comp_targetILNS1_3genE10ELNS1_11target_archE1201ELNS1_3gpuE5ELNS1_3repE0EEENS1_30default_config_static_selectorELNS0_4arch9wavefront6targetE1EEEvT1_: ; @_ZN7rocprim17ROCPRIM_400000_NS6detail17trampoline_kernelINS0_14default_configENS1_25transform_config_selectorIN6thrust23THRUST_200600_302600_NS5tupleIffNS6_9null_typeES8_S8_S8_S8_S8_S8_S8_EELb0EEEZNS1_14transform_implILb0ES3_SA_PS9_NS6_6detail15normal_iteratorINS6_10device_ptrIS9_EEEENS0_8identityIS9_EEEE10hipError_tT2_T3_mT4_P12ihipStream_tbEUlT_E_NS1_11comp_targetILNS1_3genE10ELNS1_11target_archE1201ELNS1_3gpuE5ELNS1_3repE0EEENS1_30default_config_static_selectorELNS0_4arch9wavefront6targetE1EEEvT1_
; %bb.0:
	.section	.rodata,"a",@progbits
	.p2align	6, 0x0
	.amdhsa_kernel _ZN7rocprim17ROCPRIM_400000_NS6detail17trampoline_kernelINS0_14default_configENS1_25transform_config_selectorIN6thrust23THRUST_200600_302600_NS5tupleIffNS6_9null_typeES8_S8_S8_S8_S8_S8_S8_EELb0EEEZNS1_14transform_implILb0ES3_SA_PS9_NS6_6detail15normal_iteratorINS6_10device_ptrIS9_EEEENS0_8identityIS9_EEEE10hipError_tT2_T3_mT4_P12ihipStream_tbEUlT_E_NS1_11comp_targetILNS1_3genE10ELNS1_11target_archE1201ELNS1_3gpuE5ELNS1_3repE0EEENS1_30default_config_static_selectorELNS0_4arch9wavefront6targetE1EEEvT1_
		.amdhsa_group_segment_fixed_size 0
		.amdhsa_private_segment_fixed_size 0
		.amdhsa_kernarg_size 40
		.amdhsa_user_sgpr_count 6
		.amdhsa_user_sgpr_private_segment_buffer 1
		.amdhsa_user_sgpr_dispatch_ptr 0
		.amdhsa_user_sgpr_queue_ptr 0
		.amdhsa_user_sgpr_kernarg_segment_ptr 1
		.amdhsa_user_sgpr_dispatch_id 0
		.amdhsa_user_sgpr_flat_scratch_init 0
		.amdhsa_user_sgpr_kernarg_preload_length 0
		.amdhsa_user_sgpr_kernarg_preload_offset 0
		.amdhsa_user_sgpr_private_segment_size 0
		.amdhsa_uses_dynamic_stack 0
		.amdhsa_system_sgpr_private_segment_wavefront_offset 0
		.amdhsa_system_sgpr_workgroup_id_x 1
		.amdhsa_system_sgpr_workgroup_id_y 0
		.amdhsa_system_sgpr_workgroup_id_z 0
		.amdhsa_system_sgpr_workgroup_info 0
		.amdhsa_system_vgpr_workitem_id 0
		.amdhsa_next_free_vgpr 1
		.amdhsa_next_free_sgpr 0
		.amdhsa_accum_offset 4
		.amdhsa_reserve_vcc 0
		.amdhsa_reserve_flat_scratch 0
		.amdhsa_float_round_mode_32 0
		.amdhsa_float_round_mode_16_64 0
		.amdhsa_float_denorm_mode_32 3
		.amdhsa_float_denorm_mode_16_64 3
		.amdhsa_dx10_clamp 1
		.amdhsa_ieee_mode 1
		.amdhsa_fp16_overflow 0
		.amdhsa_tg_split 0
		.amdhsa_exception_fp_ieee_invalid_op 0
		.amdhsa_exception_fp_denorm_src 0
		.amdhsa_exception_fp_ieee_div_zero 0
		.amdhsa_exception_fp_ieee_overflow 0
		.amdhsa_exception_fp_ieee_underflow 0
		.amdhsa_exception_fp_ieee_inexact 0
		.amdhsa_exception_int_div_zero 0
	.end_amdhsa_kernel
	.section	.text._ZN7rocprim17ROCPRIM_400000_NS6detail17trampoline_kernelINS0_14default_configENS1_25transform_config_selectorIN6thrust23THRUST_200600_302600_NS5tupleIffNS6_9null_typeES8_S8_S8_S8_S8_S8_S8_EELb0EEEZNS1_14transform_implILb0ES3_SA_PS9_NS6_6detail15normal_iteratorINS6_10device_ptrIS9_EEEENS0_8identityIS9_EEEE10hipError_tT2_T3_mT4_P12ihipStream_tbEUlT_E_NS1_11comp_targetILNS1_3genE10ELNS1_11target_archE1201ELNS1_3gpuE5ELNS1_3repE0EEENS1_30default_config_static_selectorELNS0_4arch9wavefront6targetE1EEEvT1_,"axG",@progbits,_ZN7rocprim17ROCPRIM_400000_NS6detail17trampoline_kernelINS0_14default_configENS1_25transform_config_selectorIN6thrust23THRUST_200600_302600_NS5tupleIffNS6_9null_typeES8_S8_S8_S8_S8_S8_S8_EELb0EEEZNS1_14transform_implILb0ES3_SA_PS9_NS6_6detail15normal_iteratorINS6_10device_ptrIS9_EEEENS0_8identityIS9_EEEE10hipError_tT2_T3_mT4_P12ihipStream_tbEUlT_E_NS1_11comp_targetILNS1_3genE10ELNS1_11target_archE1201ELNS1_3gpuE5ELNS1_3repE0EEENS1_30default_config_static_selectorELNS0_4arch9wavefront6targetE1EEEvT1_,comdat
.Lfunc_end87:
	.size	_ZN7rocprim17ROCPRIM_400000_NS6detail17trampoline_kernelINS0_14default_configENS1_25transform_config_selectorIN6thrust23THRUST_200600_302600_NS5tupleIffNS6_9null_typeES8_S8_S8_S8_S8_S8_S8_EELb0EEEZNS1_14transform_implILb0ES3_SA_PS9_NS6_6detail15normal_iteratorINS6_10device_ptrIS9_EEEENS0_8identityIS9_EEEE10hipError_tT2_T3_mT4_P12ihipStream_tbEUlT_E_NS1_11comp_targetILNS1_3genE10ELNS1_11target_archE1201ELNS1_3gpuE5ELNS1_3repE0EEENS1_30default_config_static_selectorELNS0_4arch9wavefront6targetE1EEEvT1_, .Lfunc_end87-_ZN7rocprim17ROCPRIM_400000_NS6detail17trampoline_kernelINS0_14default_configENS1_25transform_config_selectorIN6thrust23THRUST_200600_302600_NS5tupleIffNS6_9null_typeES8_S8_S8_S8_S8_S8_S8_EELb0EEEZNS1_14transform_implILb0ES3_SA_PS9_NS6_6detail15normal_iteratorINS6_10device_ptrIS9_EEEENS0_8identityIS9_EEEE10hipError_tT2_T3_mT4_P12ihipStream_tbEUlT_E_NS1_11comp_targetILNS1_3genE10ELNS1_11target_archE1201ELNS1_3gpuE5ELNS1_3repE0EEENS1_30default_config_static_selectorELNS0_4arch9wavefront6targetE1EEEvT1_
                                        ; -- End function
	.section	.AMDGPU.csdata,"",@progbits
; Kernel info:
; codeLenInByte = 0
; NumSgprs: 4
; NumVgprs: 0
; NumAgprs: 0
; TotalNumVgprs: 0
; ScratchSize: 0
; MemoryBound: 0
; FloatMode: 240
; IeeeMode: 1
; LDSByteSize: 0 bytes/workgroup (compile time only)
; SGPRBlocks: 0
; VGPRBlocks: 0
; NumSGPRsForWavesPerEU: 4
; NumVGPRsForWavesPerEU: 1
; AccumOffset: 4
; Occupancy: 8
; WaveLimiterHint : 0
; COMPUTE_PGM_RSRC2:SCRATCH_EN: 0
; COMPUTE_PGM_RSRC2:USER_SGPR: 6
; COMPUTE_PGM_RSRC2:TRAP_HANDLER: 0
; COMPUTE_PGM_RSRC2:TGID_X_EN: 1
; COMPUTE_PGM_RSRC2:TGID_Y_EN: 0
; COMPUTE_PGM_RSRC2:TGID_Z_EN: 0
; COMPUTE_PGM_RSRC2:TIDIG_COMP_CNT: 0
; COMPUTE_PGM_RSRC3_GFX90A:ACCUM_OFFSET: 0
; COMPUTE_PGM_RSRC3_GFX90A:TG_SPLIT: 0
	.section	.text._ZN7rocprim17ROCPRIM_400000_NS6detail17trampoline_kernelINS0_14default_configENS1_25transform_config_selectorIN6thrust23THRUST_200600_302600_NS5tupleIffNS6_9null_typeES8_S8_S8_S8_S8_S8_S8_EELb0EEEZNS1_14transform_implILb0ES3_SA_PS9_NS6_6detail15normal_iteratorINS6_10device_ptrIS9_EEEENS0_8identityIS9_EEEE10hipError_tT2_T3_mT4_P12ihipStream_tbEUlT_E_NS1_11comp_targetILNS1_3genE10ELNS1_11target_archE1200ELNS1_3gpuE4ELNS1_3repE0EEENS1_30default_config_static_selectorELNS0_4arch9wavefront6targetE1EEEvT1_,"axG",@progbits,_ZN7rocprim17ROCPRIM_400000_NS6detail17trampoline_kernelINS0_14default_configENS1_25transform_config_selectorIN6thrust23THRUST_200600_302600_NS5tupleIffNS6_9null_typeES8_S8_S8_S8_S8_S8_S8_EELb0EEEZNS1_14transform_implILb0ES3_SA_PS9_NS6_6detail15normal_iteratorINS6_10device_ptrIS9_EEEENS0_8identityIS9_EEEE10hipError_tT2_T3_mT4_P12ihipStream_tbEUlT_E_NS1_11comp_targetILNS1_3genE10ELNS1_11target_archE1200ELNS1_3gpuE4ELNS1_3repE0EEENS1_30default_config_static_selectorELNS0_4arch9wavefront6targetE1EEEvT1_,comdat
	.protected	_ZN7rocprim17ROCPRIM_400000_NS6detail17trampoline_kernelINS0_14default_configENS1_25transform_config_selectorIN6thrust23THRUST_200600_302600_NS5tupleIffNS6_9null_typeES8_S8_S8_S8_S8_S8_S8_EELb0EEEZNS1_14transform_implILb0ES3_SA_PS9_NS6_6detail15normal_iteratorINS6_10device_ptrIS9_EEEENS0_8identityIS9_EEEE10hipError_tT2_T3_mT4_P12ihipStream_tbEUlT_E_NS1_11comp_targetILNS1_3genE10ELNS1_11target_archE1200ELNS1_3gpuE4ELNS1_3repE0EEENS1_30default_config_static_selectorELNS0_4arch9wavefront6targetE1EEEvT1_ ; -- Begin function _ZN7rocprim17ROCPRIM_400000_NS6detail17trampoline_kernelINS0_14default_configENS1_25transform_config_selectorIN6thrust23THRUST_200600_302600_NS5tupleIffNS6_9null_typeES8_S8_S8_S8_S8_S8_S8_EELb0EEEZNS1_14transform_implILb0ES3_SA_PS9_NS6_6detail15normal_iteratorINS6_10device_ptrIS9_EEEENS0_8identityIS9_EEEE10hipError_tT2_T3_mT4_P12ihipStream_tbEUlT_E_NS1_11comp_targetILNS1_3genE10ELNS1_11target_archE1200ELNS1_3gpuE4ELNS1_3repE0EEENS1_30default_config_static_selectorELNS0_4arch9wavefront6targetE1EEEvT1_
	.globl	_ZN7rocprim17ROCPRIM_400000_NS6detail17trampoline_kernelINS0_14default_configENS1_25transform_config_selectorIN6thrust23THRUST_200600_302600_NS5tupleIffNS6_9null_typeES8_S8_S8_S8_S8_S8_S8_EELb0EEEZNS1_14transform_implILb0ES3_SA_PS9_NS6_6detail15normal_iteratorINS6_10device_ptrIS9_EEEENS0_8identityIS9_EEEE10hipError_tT2_T3_mT4_P12ihipStream_tbEUlT_E_NS1_11comp_targetILNS1_3genE10ELNS1_11target_archE1200ELNS1_3gpuE4ELNS1_3repE0EEENS1_30default_config_static_selectorELNS0_4arch9wavefront6targetE1EEEvT1_
	.p2align	8
	.type	_ZN7rocprim17ROCPRIM_400000_NS6detail17trampoline_kernelINS0_14default_configENS1_25transform_config_selectorIN6thrust23THRUST_200600_302600_NS5tupleIffNS6_9null_typeES8_S8_S8_S8_S8_S8_S8_EELb0EEEZNS1_14transform_implILb0ES3_SA_PS9_NS6_6detail15normal_iteratorINS6_10device_ptrIS9_EEEENS0_8identityIS9_EEEE10hipError_tT2_T3_mT4_P12ihipStream_tbEUlT_E_NS1_11comp_targetILNS1_3genE10ELNS1_11target_archE1200ELNS1_3gpuE4ELNS1_3repE0EEENS1_30default_config_static_selectorELNS0_4arch9wavefront6targetE1EEEvT1_,@function
_ZN7rocprim17ROCPRIM_400000_NS6detail17trampoline_kernelINS0_14default_configENS1_25transform_config_selectorIN6thrust23THRUST_200600_302600_NS5tupleIffNS6_9null_typeES8_S8_S8_S8_S8_S8_S8_EELb0EEEZNS1_14transform_implILb0ES3_SA_PS9_NS6_6detail15normal_iteratorINS6_10device_ptrIS9_EEEENS0_8identityIS9_EEEE10hipError_tT2_T3_mT4_P12ihipStream_tbEUlT_E_NS1_11comp_targetILNS1_3genE10ELNS1_11target_archE1200ELNS1_3gpuE4ELNS1_3repE0EEENS1_30default_config_static_selectorELNS0_4arch9wavefront6targetE1EEEvT1_: ; @_ZN7rocprim17ROCPRIM_400000_NS6detail17trampoline_kernelINS0_14default_configENS1_25transform_config_selectorIN6thrust23THRUST_200600_302600_NS5tupleIffNS6_9null_typeES8_S8_S8_S8_S8_S8_S8_EELb0EEEZNS1_14transform_implILb0ES3_SA_PS9_NS6_6detail15normal_iteratorINS6_10device_ptrIS9_EEEENS0_8identityIS9_EEEE10hipError_tT2_T3_mT4_P12ihipStream_tbEUlT_E_NS1_11comp_targetILNS1_3genE10ELNS1_11target_archE1200ELNS1_3gpuE4ELNS1_3repE0EEENS1_30default_config_static_selectorELNS0_4arch9wavefront6targetE1EEEvT1_
; %bb.0:
	.section	.rodata,"a",@progbits
	.p2align	6, 0x0
	.amdhsa_kernel _ZN7rocprim17ROCPRIM_400000_NS6detail17trampoline_kernelINS0_14default_configENS1_25transform_config_selectorIN6thrust23THRUST_200600_302600_NS5tupleIffNS6_9null_typeES8_S8_S8_S8_S8_S8_S8_EELb0EEEZNS1_14transform_implILb0ES3_SA_PS9_NS6_6detail15normal_iteratorINS6_10device_ptrIS9_EEEENS0_8identityIS9_EEEE10hipError_tT2_T3_mT4_P12ihipStream_tbEUlT_E_NS1_11comp_targetILNS1_3genE10ELNS1_11target_archE1200ELNS1_3gpuE4ELNS1_3repE0EEENS1_30default_config_static_selectorELNS0_4arch9wavefront6targetE1EEEvT1_
		.amdhsa_group_segment_fixed_size 0
		.amdhsa_private_segment_fixed_size 0
		.amdhsa_kernarg_size 40
		.amdhsa_user_sgpr_count 6
		.amdhsa_user_sgpr_private_segment_buffer 1
		.amdhsa_user_sgpr_dispatch_ptr 0
		.amdhsa_user_sgpr_queue_ptr 0
		.amdhsa_user_sgpr_kernarg_segment_ptr 1
		.amdhsa_user_sgpr_dispatch_id 0
		.amdhsa_user_sgpr_flat_scratch_init 0
		.amdhsa_user_sgpr_kernarg_preload_length 0
		.amdhsa_user_sgpr_kernarg_preload_offset 0
		.amdhsa_user_sgpr_private_segment_size 0
		.amdhsa_uses_dynamic_stack 0
		.amdhsa_system_sgpr_private_segment_wavefront_offset 0
		.amdhsa_system_sgpr_workgroup_id_x 1
		.amdhsa_system_sgpr_workgroup_id_y 0
		.amdhsa_system_sgpr_workgroup_id_z 0
		.amdhsa_system_sgpr_workgroup_info 0
		.amdhsa_system_vgpr_workitem_id 0
		.amdhsa_next_free_vgpr 1
		.amdhsa_next_free_sgpr 0
		.amdhsa_accum_offset 4
		.amdhsa_reserve_vcc 0
		.amdhsa_reserve_flat_scratch 0
		.amdhsa_float_round_mode_32 0
		.amdhsa_float_round_mode_16_64 0
		.amdhsa_float_denorm_mode_32 3
		.amdhsa_float_denorm_mode_16_64 3
		.amdhsa_dx10_clamp 1
		.amdhsa_ieee_mode 1
		.amdhsa_fp16_overflow 0
		.amdhsa_tg_split 0
		.amdhsa_exception_fp_ieee_invalid_op 0
		.amdhsa_exception_fp_denorm_src 0
		.amdhsa_exception_fp_ieee_div_zero 0
		.amdhsa_exception_fp_ieee_overflow 0
		.amdhsa_exception_fp_ieee_underflow 0
		.amdhsa_exception_fp_ieee_inexact 0
		.amdhsa_exception_int_div_zero 0
	.end_amdhsa_kernel
	.section	.text._ZN7rocprim17ROCPRIM_400000_NS6detail17trampoline_kernelINS0_14default_configENS1_25transform_config_selectorIN6thrust23THRUST_200600_302600_NS5tupleIffNS6_9null_typeES8_S8_S8_S8_S8_S8_S8_EELb0EEEZNS1_14transform_implILb0ES3_SA_PS9_NS6_6detail15normal_iteratorINS6_10device_ptrIS9_EEEENS0_8identityIS9_EEEE10hipError_tT2_T3_mT4_P12ihipStream_tbEUlT_E_NS1_11comp_targetILNS1_3genE10ELNS1_11target_archE1200ELNS1_3gpuE4ELNS1_3repE0EEENS1_30default_config_static_selectorELNS0_4arch9wavefront6targetE1EEEvT1_,"axG",@progbits,_ZN7rocprim17ROCPRIM_400000_NS6detail17trampoline_kernelINS0_14default_configENS1_25transform_config_selectorIN6thrust23THRUST_200600_302600_NS5tupleIffNS6_9null_typeES8_S8_S8_S8_S8_S8_S8_EELb0EEEZNS1_14transform_implILb0ES3_SA_PS9_NS6_6detail15normal_iteratorINS6_10device_ptrIS9_EEEENS0_8identityIS9_EEEE10hipError_tT2_T3_mT4_P12ihipStream_tbEUlT_E_NS1_11comp_targetILNS1_3genE10ELNS1_11target_archE1200ELNS1_3gpuE4ELNS1_3repE0EEENS1_30default_config_static_selectorELNS0_4arch9wavefront6targetE1EEEvT1_,comdat
.Lfunc_end88:
	.size	_ZN7rocprim17ROCPRIM_400000_NS6detail17trampoline_kernelINS0_14default_configENS1_25transform_config_selectorIN6thrust23THRUST_200600_302600_NS5tupleIffNS6_9null_typeES8_S8_S8_S8_S8_S8_S8_EELb0EEEZNS1_14transform_implILb0ES3_SA_PS9_NS6_6detail15normal_iteratorINS6_10device_ptrIS9_EEEENS0_8identityIS9_EEEE10hipError_tT2_T3_mT4_P12ihipStream_tbEUlT_E_NS1_11comp_targetILNS1_3genE10ELNS1_11target_archE1200ELNS1_3gpuE4ELNS1_3repE0EEENS1_30default_config_static_selectorELNS0_4arch9wavefront6targetE1EEEvT1_, .Lfunc_end88-_ZN7rocprim17ROCPRIM_400000_NS6detail17trampoline_kernelINS0_14default_configENS1_25transform_config_selectorIN6thrust23THRUST_200600_302600_NS5tupleIffNS6_9null_typeES8_S8_S8_S8_S8_S8_S8_EELb0EEEZNS1_14transform_implILb0ES3_SA_PS9_NS6_6detail15normal_iteratorINS6_10device_ptrIS9_EEEENS0_8identityIS9_EEEE10hipError_tT2_T3_mT4_P12ihipStream_tbEUlT_E_NS1_11comp_targetILNS1_3genE10ELNS1_11target_archE1200ELNS1_3gpuE4ELNS1_3repE0EEENS1_30default_config_static_selectorELNS0_4arch9wavefront6targetE1EEEvT1_
                                        ; -- End function
	.section	.AMDGPU.csdata,"",@progbits
; Kernel info:
; codeLenInByte = 0
; NumSgprs: 4
; NumVgprs: 0
; NumAgprs: 0
; TotalNumVgprs: 0
; ScratchSize: 0
; MemoryBound: 0
; FloatMode: 240
; IeeeMode: 1
; LDSByteSize: 0 bytes/workgroup (compile time only)
; SGPRBlocks: 0
; VGPRBlocks: 0
; NumSGPRsForWavesPerEU: 4
; NumVGPRsForWavesPerEU: 1
; AccumOffset: 4
; Occupancy: 8
; WaveLimiterHint : 0
; COMPUTE_PGM_RSRC2:SCRATCH_EN: 0
; COMPUTE_PGM_RSRC2:USER_SGPR: 6
; COMPUTE_PGM_RSRC2:TRAP_HANDLER: 0
; COMPUTE_PGM_RSRC2:TGID_X_EN: 1
; COMPUTE_PGM_RSRC2:TGID_Y_EN: 0
; COMPUTE_PGM_RSRC2:TGID_Z_EN: 0
; COMPUTE_PGM_RSRC2:TIDIG_COMP_CNT: 0
; COMPUTE_PGM_RSRC3_GFX90A:ACCUM_OFFSET: 0
; COMPUTE_PGM_RSRC3_GFX90A:TG_SPLIT: 0
	.section	.text._ZN7rocprim17ROCPRIM_400000_NS6detail17trampoline_kernelINS0_14default_configENS1_25transform_config_selectorIN6thrust23THRUST_200600_302600_NS5tupleIffNS6_9null_typeES8_S8_S8_S8_S8_S8_S8_EELb0EEEZNS1_14transform_implILb0ES3_SA_PS9_NS6_6detail15normal_iteratorINS6_10device_ptrIS9_EEEENS0_8identityIS9_EEEE10hipError_tT2_T3_mT4_P12ihipStream_tbEUlT_E_NS1_11comp_targetILNS1_3genE9ELNS1_11target_archE1100ELNS1_3gpuE3ELNS1_3repE0EEENS1_30default_config_static_selectorELNS0_4arch9wavefront6targetE1EEEvT1_,"axG",@progbits,_ZN7rocprim17ROCPRIM_400000_NS6detail17trampoline_kernelINS0_14default_configENS1_25transform_config_selectorIN6thrust23THRUST_200600_302600_NS5tupleIffNS6_9null_typeES8_S8_S8_S8_S8_S8_S8_EELb0EEEZNS1_14transform_implILb0ES3_SA_PS9_NS6_6detail15normal_iteratorINS6_10device_ptrIS9_EEEENS0_8identityIS9_EEEE10hipError_tT2_T3_mT4_P12ihipStream_tbEUlT_E_NS1_11comp_targetILNS1_3genE9ELNS1_11target_archE1100ELNS1_3gpuE3ELNS1_3repE0EEENS1_30default_config_static_selectorELNS0_4arch9wavefront6targetE1EEEvT1_,comdat
	.protected	_ZN7rocprim17ROCPRIM_400000_NS6detail17trampoline_kernelINS0_14default_configENS1_25transform_config_selectorIN6thrust23THRUST_200600_302600_NS5tupleIffNS6_9null_typeES8_S8_S8_S8_S8_S8_S8_EELb0EEEZNS1_14transform_implILb0ES3_SA_PS9_NS6_6detail15normal_iteratorINS6_10device_ptrIS9_EEEENS0_8identityIS9_EEEE10hipError_tT2_T3_mT4_P12ihipStream_tbEUlT_E_NS1_11comp_targetILNS1_3genE9ELNS1_11target_archE1100ELNS1_3gpuE3ELNS1_3repE0EEENS1_30default_config_static_selectorELNS0_4arch9wavefront6targetE1EEEvT1_ ; -- Begin function _ZN7rocprim17ROCPRIM_400000_NS6detail17trampoline_kernelINS0_14default_configENS1_25transform_config_selectorIN6thrust23THRUST_200600_302600_NS5tupleIffNS6_9null_typeES8_S8_S8_S8_S8_S8_S8_EELb0EEEZNS1_14transform_implILb0ES3_SA_PS9_NS6_6detail15normal_iteratorINS6_10device_ptrIS9_EEEENS0_8identityIS9_EEEE10hipError_tT2_T3_mT4_P12ihipStream_tbEUlT_E_NS1_11comp_targetILNS1_3genE9ELNS1_11target_archE1100ELNS1_3gpuE3ELNS1_3repE0EEENS1_30default_config_static_selectorELNS0_4arch9wavefront6targetE1EEEvT1_
	.globl	_ZN7rocprim17ROCPRIM_400000_NS6detail17trampoline_kernelINS0_14default_configENS1_25transform_config_selectorIN6thrust23THRUST_200600_302600_NS5tupleIffNS6_9null_typeES8_S8_S8_S8_S8_S8_S8_EELb0EEEZNS1_14transform_implILb0ES3_SA_PS9_NS6_6detail15normal_iteratorINS6_10device_ptrIS9_EEEENS0_8identityIS9_EEEE10hipError_tT2_T3_mT4_P12ihipStream_tbEUlT_E_NS1_11comp_targetILNS1_3genE9ELNS1_11target_archE1100ELNS1_3gpuE3ELNS1_3repE0EEENS1_30default_config_static_selectorELNS0_4arch9wavefront6targetE1EEEvT1_
	.p2align	8
	.type	_ZN7rocprim17ROCPRIM_400000_NS6detail17trampoline_kernelINS0_14default_configENS1_25transform_config_selectorIN6thrust23THRUST_200600_302600_NS5tupleIffNS6_9null_typeES8_S8_S8_S8_S8_S8_S8_EELb0EEEZNS1_14transform_implILb0ES3_SA_PS9_NS6_6detail15normal_iteratorINS6_10device_ptrIS9_EEEENS0_8identityIS9_EEEE10hipError_tT2_T3_mT4_P12ihipStream_tbEUlT_E_NS1_11comp_targetILNS1_3genE9ELNS1_11target_archE1100ELNS1_3gpuE3ELNS1_3repE0EEENS1_30default_config_static_selectorELNS0_4arch9wavefront6targetE1EEEvT1_,@function
_ZN7rocprim17ROCPRIM_400000_NS6detail17trampoline_kernelINS0_14default_configENS1_25transform_config_selectorIN6thrust23THRUST_200600_302600_NS5tupleIffNS6_9null_typeES8_S8_S8_S8_S8_S8_S8_EELb0EEEZNS1_14transform_implILb0ES3_SA_PS9_NS6_6detail15normal_iteratorINS6_10device_ptrIS9_EEEENS0_8identityIS9_EEEE10hipError_tT2_T3_mT4_P12ihipStream_tbEUlT_E_NS1_11comp_targetILNS1_3genE9ELNS1_11target_archE1100ELNS1_3gpuE3ELNS1_3repE0EEENS1_30default_config_static_selectorELNS0_4arch9wavefront6targetE1EEEvT1_: ; @_ZN7rocprim17ROCPRIM_400000_NS6detail17trampoline_kernelINS0_14default_configENS1_25transform_config_selectorIN6thrust23THRUST_200600_302600_NS5tupleIffNS6_9null_typeES8_S8_S8_S8_S8_S8_S8_EELb0EEEZNS1_14transform_implILb0ES3_SA_PS9_NS6_6detail15normal_iteratorINS6_10device_ptrIS9_EEEENS0_8identityIS9_EEEE10hipError_tT2_T3_mT4_P12ihipStream_tbEUlT_E_NS1_11comp_targetILNS1_3genE9ELNS1_11target_archE1100ELNS1_3gpuE3ELNS1_3repE0EEENS1_30default_config_static_selectorELNS0_4arch9wavefront6targetE1EEEvT1_
; %bb.0:
	.section	.rodata,"a",@progbits
	.p2align	6, 0x0
	.amdhsa_kernel _ZN7rocprim17ROCPRIM_400000_NS6detail17trampoline_kernelINS0_14default_configENS1_25transform_config_selectorIN6thrust23THRUST_200600_302600_NS5tupleIffNS6_9null_typeES8_S8_S8_S8_S8_S8_S8_EELb0EEEZNS1_14transform_implILb0ES3_SA_PS9_NS6_6detail15normal_iteratorINS6_10device_ptrIS9_EEEENS0_8identityIS9_EEEE10hipError_tT2_T3_mT4_P12ihipStream_tbEUlT_E_NS1_11comp_targetILNS1_3genE9ELNS1_11target_archE1100ELNS1_3gpuE3ELNS1_3repE0EEENS1_30default_config_static_selectorELNS0_4arch9wavefront6targetE1EEEvT1_
		.amdhsa_group_segment_fixed_size 0
		.amdhsa_private_segment_fixed_size 0
		.amdhsa_kernarg_size 40
		.amdhsa_user_sgpr_count 6
		.amdhsa_user_sgpr_private_segment_buffer 1
		.amdhsa_user_sgpr_dispatch_ptr 0
		.amdhsa_user_sgpr_queue_ptr 0
		.amdhsa_user_sgpr_kernarg_segment_ptr 1
		.amdhsa_user_sgpr_dispatch_id 0
		.amdhsa_user_sgpr_flat_scratch_init 0
		.amdhsa_user_sgpr_kernarg_preload_length 0
		.amdhsa_user_sgpr_kernarg_preload_offset 0
		.amdhsa_user_sgpr_private_segment_size 0
		.amdhsa_uses_dynamic_stack 0
		.amdhsa_system_sgpr_private_segment_wavefront_offset 0
		.amdhsa_system_sgpr_workgroup_id_x 1
		.amdhsa_system_sgpr_workgroup_id_y 0
		.amdhsa_system_sgpr_workgroup_id_z 0
		.amdhsa_system_sgpr_workgroup_info 0
		.amdhsa_system_vgpr_workitem_id 0
		.amdhsa_next_free_vgpr 1
		.amdhsa_next_free_sgpr 0
		.amdhsa_accum_offset 4
		.amdhsa_reserve_vcc 0
		.amdhsa_reserve_flat_scratch 0
		.amdhsa_float_round_mode_32 0
		.amdhsa_float_round_mode_16_64 0
		.amdhsa_float_denorm_mode_32 3
		.amdhsa_float_denorm_mode_16_64 3
		.amdhsa_dx10_clamp 1
		.amdhsa_ieee_mode 1
		.amdhsa_fp16_overflow 0
		.amdhsa_tg_split 0
		.amdhsa_exception_fp_ieee_invalid_op 0
		.amdhsa_exception_fp_denorm_src 0
		.amdhsa_exception_fp_ieee_div_zero 0
		.amdhsa_exception_fp_ieee_overflow 0
		.amdhsa_exception_fp_ieee_underflow 0
		.amdhsa_exception_fp_ieee_inexact 0
		.amdhsa_exception_int_div_zero 0
	.end_amdhsa_kernel
	.section	.text._ZN7rocprim17ROCPRIM_400000_NS6detail17trampoline_kernelINS0_14default_configENS1_25transform_config_selectorIN6thrust23THRUST_200600_302600_NS5tupleIffNS6_9null_typeES8_S8_S8_S8_S8_S8_S8_EELb0EEEZNS1_14transform_implILb0ES3_SA_PS9_NS6_6detail15normal_iteratorINS6_10device_ptrIS9_EEEENS0_8identityIS9_EEEE10hipError_tT2_T3_mT4_P12ihipStream_tbEUlT_E_NS1_11comp_targetILNS1_3genE9ELNS1_11target_archE1100ELNS1_3gpuE3ELNS1_3repE0EEENS1_30default_config_static_selectorELNS0_4arch9wavefront6targetE1EEEvT1_,"axG",@progbits,_ZN7rocprim17ROCPRIM_400000_NS6detail17trampoline_kernelINS0_14default_configENS1_25transform_config_selectorIN6thrust23THRUST_200600_302600_NS5tupleIffNS6_9null_typeES8_S8_S8_S8_S8_S8_S8_EELb0EEEZNS1_14transform_implILb0ES3_SA_PS9_NS6_6detail15normal_iteratorINS6_10device_ptrIS9_EEEENS0_8identityIS9_EEEE10hipError_tT2_T3_mT4_P12ihipStream_tbEUlT_E_NS1_11comp_targetILNS1_3genE9ELNS1_11target_archE1100ELNS1_3gpuE3ELNS1_3repE0EEENS1_30default_config_static_selectorELNS0_4arch9wavefront6targetE1EEEvT1_,comdat
.Lfunc_end89:
	.size	_ZN7rocprim17ROCPRIM_400000_NS6detail17trampoline_kernelINS0_14default_configENS1_25transform_config_selectorIN6thrust23THRUST_200600_302600_NS5tupleIffNS6_9null_typeES8_S8_S8_S8_S8_S8_S8_EELb0EEEZNS1_14transform_implILb0ES3_SA_PS9_NS6_6detail15normal_iteratorINS6_10device_ptrIS9_EEEENS0_8identityIS9_EEEE10hipError_tT2_T3_mT4_P12ihipStream_tbEUlT_E_NS1_11comp_targetILNS1_3genE9ELNS1_11target_archE1100ELNS1_3gpuE3ELNS1_3repE0EEENS1_30default_config_static_selectorELNS0_4arch9wavefront6targetE1EEEvT1_, .Lfunc_end89-_ZN7rocprim17ROCPRIM_400000_NS6detail17trampoline_kernelINS0_14default_configENS1_25transform_config_selectorIN6thrust23THRUST_200600_302600_NS5tupleIffNS6_9null_typeES8_S8_S8_S8_S8_S8_S8_EELb0EEEZNS1_14transform_implILb0ES3_SA_PS9_NS6_6detail15normal_iteratorINS6_10device_ptrIS9_EEEENS0_8identityIS9_EEEE10hipError_tT2_T3_mT4_P12ihipStream_tbEUlT_E_NS1_11comp_targetILNS1_3genE9ELNS1_11target_archE1100ELNS1_3gpuE3ELNS1_3repE0EEENS1_30default_config_static_selectorELNS0_4arch9wavefront6targetE1EEEvT1_
                                        ; -- End function
	.section	.AMDGPU.csdata,"",@progbits
; Kernel info:
; codeLenInByte = 0
; NumSgprs: 4
; NumVgprs: 0
; NumAgprs: 0
; TotalNumVgprs: 0
; ScratchSize: 0
; MemoryBound: 0
; FloatMode: 240
; IeeeMode: 1
; LDSByteSize: 0 bytes/workgroup (compile time only)
; SGPRBlocks: 0
; VGPRBlocks: 0
; NumSGPRsForWavesPerEU: 4
; NumVGPRsForWavesPerEU: 1
; AccumOffset: 4
; Occupancy: 8
; WaveLimiterHint : 0
; COMPUTE_PGM_RSRC2:SCRATCH_EN: 0
; COMPUTE_PGM_RSRC2:USER_SGPR: 6
; COMPUTE_PGM_RSRC2:TRAP_HANDLER: 0
; COMPUTE_PGM_RSRC2:TGID_X_EN: 1
; COMPUTE_PGM_RSRC2:TGID_Y_EN: 0
; COMPUTE_PGM_RSRC2:TGID_Z_EN: 0
; COMPUTE_PGM_RSRC2:TIDIG_COMP_CNT: 0
; COMPUTE_PGM_RSRC3_GFX90A:ACCUM_OFFSET: 0
; COMPUTE_PGM_RSRC3_GFX90A:TG_SPLIT: 0
	.section	.text._ZN7rocprim17ROCPRIM_400000_NS6detail17trampoline_kernelINS0_14default_configENS1_25transform_config_selectorIN6thrust23THRUST_200600_302600_NS5tupleIffNS6_9null_typeES8_S8_S8_S8_S8_S8_S8_EELb0EEEZNS1_14transform_implILb0ES3_SA_PS9_NS6_6detail15normal_iteratorINS6_10device_ptrIS9_EEEENS0_8identityIS9_EEEE10hipError_tT2_T3_mT4_P12ihipStream_tbEUlT_E_NS1_11comp_targetILNS1_3genE8ELNS1_11target_archE1030ELNS1_3gpuE2ELNS1_3repE0EEENS1_30default_config_static_selectorELNS0_4arch9wavefront6targetE1EEEvT1_,"axG",@progbits,_ZN7rocprim17ROCPRIM_400000_NS6detail17trampoline_kernelINS0_14default_configENS1_25transform_config_selectorIN6thrust23THRUST_200600_302600_NS5tupleIffNS6_9null_typeES8_S8_S8_S8_S8_S8_S8_EELb0EEEZNS1_14transform_implILb0ES3_SA_PS9_NS6_6detail15normal_iteratorINS6_10device_ptrIS9_EEEENS0_8identityIS9_EEEE10hipError_tT2_T3_mT4_P12ihipStream_tbEUlT_E_NS1_11comp_targetILNS1_3genE8ELNS1_11target_archE1030ELNS1_3gpuE2ELNS1_3repE0EEENS1_30default_config_static_selectorELNS0_4arch9wavefront6targetE1EEEvT1_,comdat
	.protected	_ZN7rocprim17ROCPRIM_400000_NS6detail17trampoline_kernelINS0_14default_configENS1_25transform_config_selectorIN6thrust23THRUST_200600_302600_NS5tupleIffNS6_9null_typeES8_S8_S8_S8_S8_S8_S8_EELb0EEEZNS1_14transform_implILb0ES3_SA_PS9_NS6_6detail15normal_iteratorINS6_10device_ptrIS9_EEEENS0_8identityIS9_EEEE10hipError_tT2_T3_mT4_P12ihipStream_tbEUlT_E_NS1_11comp_targetILNS1_3genE8ELNS1_11target_archE1030ELNS1_3gpuE2ELNS1_3repE0EEENS1_30default_config_static_selectorELNS0_4arch9wavefront6targetE1EEEvT1_ ; -- Begin function _ZN7rocprim17ROCPRIM_400000_NS6detail17trampoline_kernelINS0_14default_configENS1_25transform_config_selectorIN6thrust23THRUST_200600_302600_NS5tupleIffNS6_9null_typeES8_S8_S8_S8_S8_S8_S8_EELb0EEEZNS1_14transform_implILb0ES3_SA_PS9_NS6_6detail15normal_iteratorINS6_10device_ptrIS9_EEEENS0_8identityIS9_EEEE10hipError_tT2_T3_mT4_P12ihipStream_tbEUlT_E_NS1_11comp_targetILNS1_3genE8ELNS1_11target_archE1030ELNS1_3gpuE2ELNS1_3repE0EEENS1_30default_config_static_selectorELNS0_4arch9wavefront6targetE1EEEvT1_
	.globl	_ZN7rocprim17ROCPRIM_400000_NS6detail17trampoline_kernelINS0_14default_configENS1_25transform_config_selectorIN6thrust23THRUST_200600_302600_NS5tupleIffNS6_9null_typeES8_S8_S8_S8_S8_S8_S8_EELb0EEEZNS1_14transform_implILb0ES3_SA_PS9_NS6_6detail15normal_iteratorINS6_10device_ptrIS9_EEEENS0_8identityIS9_EEEE10hipError_tT2_T3_mT4_P12ihipStream_tbEUlT_E_NS1_11comp_targetILNS1_3genE8ELNS1_11target_archE1030ELNS1_3gpuE2ELNS1_3repE0EEENS1_30default_config_static_selectorELNS0_4arch9wavefront6targetE1EEEvT1_
	.p2align	8
	.type	_ZN7rocprim17ROCPRIM_400000_NS6detail17trampoline_kernelINS0_14default_configENS1_25transform_config_selectorIN6thrust23THRUST_200600_302600_NS5tupleIffNS6_9null_typeES8_S8_S8_S8_S8_S8_S8_EELb0EEEZNS1_14transform_implILb0ES3_SA_PS9_NS6_6detail15normal_iteratorINS6_10device_ptrIS9_EEEENS0_8identityIS9_EEEE10hipError_tT2_T3_mT4_P12ihipStream_tbEUlT_E_NS1_11comp_targetILNS1_3genE8ELNS1_11target_archE1030ELNS1_3gpuE2ELNS1_3repE0EEENS1_30default_config_static_selectorELNS0_4arch9wavefront6targetE1EEEvT1_,@function
_ZN7rocprim17ROCPRIM_400000_NS6detail17trampoline_kernelINS0_14default_configENS1_25transform_config_selectorIN6thrust23THRUST_200600_302600_NS5tupleIffNS6_9null_typeES8_S8_S8_S8_S8_S8_S8_EELb0EEEZNS1_14transform_implILb0ES3_SA_PS9_NS6_6detail15normal_iteratorINS6_10device_ptrIS9_EEEENS0_8identityIS9_EEEE10hipError_tT2_T3_mT4_P12ihipStream_tbEUlT_E_NS1_11comp_targetILNS1_3genE8ELNS1_11target_archE1030ELNS1_3gpuE2ELNS1_3repE0EEENS1_30default_config_static_selectorELNS0_4arch9wavefront6targetE1EEEvT1_: ; @_ZN7rocprim17ROCPRIM_400000_NS6detail17trampoline_kernelINS0_14default_configENS1_25transform_config_selectorIN6thrust23THRUST_200600_302600_NS5tupleIffNS6_9null_typeES8_S8_S8_S8_S8_S8_S8_EELb0EEEZNS1_14transform_implILb0ES3_SA_PS9_NS6_6detail15normal_iteratorINS6_10device_ptrIS9_EEEENS0_8identityIS9_EEEE10hipError_tT2_T3_mT4_P12ihipStream_tbEUlT_E_NS1_11comp_targetILNS1_3genE8ELNS1_11target_archE1030ELNS1_3gpuE2ELNS1_3repE0EEENS1_30default_config_static_selectorELNS0_4arch9wavefront6targetE1EEEvT1_
; %bb.0:
	.section	.rodata,"a",@progbits
	.p2align	6, 0x0
	.amdhsa_kernel _ZN7rocprim17ROCPRIM_400000_NS6detail17trampoline_kernelINS0_14default_configENS1_25transform_config_selectorIN6thrust23THRUST_200600_302600_NS5tupleIffNS6_9null_typeES8_S8_S8_S8_S8_S8_S8_EELb0EEEZNS1_14transform_implILb0ES3_SA_PS9_NS6_6detail15normal_iteratorINS6_10device_ptrIS9_EEEENS0_8identityIS9_EEEE10hipError_tT2_T3_mT4_P12ihipStream_tbEUlT_E_NS1_11comp_targetILNS1_3genE8ELNS1_11target_archE1030ELNS1_3gpuE2ELNS1_3repE0EEENS1_30default_config_static_selectorELNS0_4arch9wavefront6targetE1EEEvT1_
		.amdhsa_group_segment_fixed_size 0
		.amdhsa_private_segment_fixed_size 0
		.amdhsa_kernarg_size 40
		.amdhsa_user_sgpr_count 6
		.amdhsa_user_sgpr_private_segment_buffer 1
		.amdhsa_user_sgpr_dispatch_ptr 0
		.amdhsa_user_sgpr_queue_ptr 0
		.amdhsa_user_sgpr_kernarg_segment_ptr 1
		.amdhsa_user_sgpr_dispatch_id 0
		.amdhsa_user_sgpr_flat_scratch_init 0
		.amdhsa_user_sgpr_kernarg_preload_length 0
		.amdhsa_user_sgpr_kernarg_preload_offset 0
		.amdhsa_user_sgpr_private_segment_size 0
		.amdhsa_uses_dynamic_stack 0
		.amdhsa_system_sgpr_private_segment_wavefront_offset 0
		.amdhsa_system_sgpr_workgroup_id_x 1
		.amdhsa_system_sgpr_workgroup_id_y 0
		.amdhsa_system_sgpr_workgroup_id_z 0
		.amdhsa_system_sgpr_workgroup_info 0
		.amdhsa_system_vgpr_workitem_id 0
		.amdhsa_next_free_vgpr 1
		.amdhsa_next_free_sgpr 0
		.amdhsa_accum_offset 4
		.amdhsa_reserve_vcc 0
		.amdhsa_reserve_flat_scratch 0
		.amdhsa_float_round_mode_32 0
		.amdhsa_float_round_mode_16_64 0
		.amdhsa_float_denorm_mode_32 3
		.amdhsa_float_denorm_mode_16_64 3
		.amdhsa_dx10_clamp 1
		.amdhsa_ieee_mode 1
		.amdhsa_fp16_overflow 0
		.amdhsa_tg_split 0
		.amdhsa_exception_fp_ieee_invalid_op 0
		.amdhsa_exception_fp_denorm_src 0
		.amdhsa_exception_fp_ieee_div_zero 0
		.amdhsa_exception_fp_ieee_overflow 0
		.amdhsa_exception_fp_ieee_underflow 0
		.amdhsa_exception_fp_ieee_inexact 0
		.amdhsa_exception_int_div_zero 0
	.end_amdhsa_kernel
	.section	.text._ZN7rocprim17ROCPRIM_400000_NS6detail17trampoline_kernelINS0_14default_configENS1_25transform_config_selectorIN6thrust23THRUST_200600_302600_NS5tupleIffNS6_9null_typeES8_S8_S8_S8_S8_S8_S8_EELb0EEEZNS1_14transform_implILb0ES3_SA_PS9_NS6_6detail15normal_iteratorINS6_10device_ptrIS9_EEEENS0_8identityIS9_EEEE10hipError_tT2_T3_mT4_P12ihipStream_tbEUlT_E_NS1_11comp_targetILNS1_3genE8ELNS1_11target_archE1030ELNS1_3gpuE2ELNS1_3repE0EEENS1_30default_config_static_selectorELNS0_4arch9wavefront6targetE1EEEvT1_,"axG",@progbits,_ZN7rocprim17ROCPRIM_400000_NS6detail17trampoline_kernelINS0_14default_configENS1_25transform_config_selectorIN6thrust23THRUST_200600_302600_NS5tupleIffNS6_9null_typeES8_S8_S8_S8_S8_S8_S8_EELb0EEEZNS1_14transform_implILb0ES3_SA_PS9_NS6_6detail15normal_iteratorINS6_10device_ptrIS9_EEEENS0_8identityIS9_EEEE10hipError_tT2_T3_mT4_P12ihipStream_tbEUlT_E_NS1_11comp_targetILNS1_3genE8ELNS1_11target_archE1030ELNS1_3gpuE2ELNS1_3repE0EEENS1_30default_config_static_selectorELNS0_4arch9wavefront6targetE1EEEvT1_,comdat
.Lfunc_end90:
	.size	_ZN7rocprim17ROCPRIM_400000_NS6detail17trampoline_kernelINS0_14default_configENS1_25transform_config_selectorIN6thrust23THRUST_200600_302600_NS5tupleIffNS6_9null_typeES8_S8_S8_S8_S8_S8_S8_EELb0EEEZNS1_14transform_implILb0ES3_SA_PS9_NS6_6detail15normal_iteratorINS6_10device_ptrIS9_EEEENS0_8identityIS9_EEEE10hipError_tT2_T3_mT4_P12ihipStream_tbEUlT_E_NS1_11comp_targetILNS1_3genE8ELNS1_11target_archE1030ELNS1_3gpuE2ELNS1_3repE0EEENS1_30default_config_static_selectorELNS0_4arch9wavefront6targetE1EEEvT1_, .Lfunc_end90-_ZN7rocprim17ROCPRIM_400000_NS6detail17trampoline_kernelINS0_14default_configENS1_25transform_config_selectorIN6thrust23THRUST_200600_302600_NS5tupleIffNS6_9null_typeES8_S8_S8_S8_S8_S8_S8_EELb0EEEZNS1_14transform_implILb0ES3_SA_PS9_NS6_6detail15normal_iteratorINS6_10device_ptrIS9_EEEENS0_8identityIS9_EEEE10hipError_tT2_T3_mT4_P12ihipStream_tbEUlT_E_NS1_11comp_targetILNS1_3genE8ELNS1_11target_archE1030ELNS1_3gpuE2ELNS1_3repE0EEENS1_30default_config_static_selectorELNS0_4arch9wavefront6targetE1EEEvT1_
                                        ; -- End function
	.section	.AMDGPU.csdata,"",@progbits
; Kernel info:
; codeLenInByte = 0
; NumSgprs: 4
; NumVgprs: 0
; NumAgprs: 0
; TotalNumVgprs: 0
; ScratchSize: 0
; MemoryBound: 0
; FloatMode: 240
; IeeeMode: 1
; LDSByteSize: 0 bytes/workgroup (compile time only)
; SGPRBlocks: 0
; VGPRBlocks: 0
; NumSGPRsForWavesPerEU: 4
; NumVGPRsForWavesPerEU: 1
; AccumOffset: 4
; Occupancy: 8
; WaveLimiterHint : 0
; COMPUTE_PGM_RSRC2:SCRATCH_EN: 0
; COMPUTE_PGM_RSRC2:USER_SGPR: 6
; COMPUTE_PGM_RSRC2:TRAP_HANDLER: 0
; COMPUTE_PGM_RSRC2:TGID_X_EN: 1
; COMPUTE_PGM_RSRC2:TGID_Y_EN: 0
; COMPUTE_PGM_RSRC2:TGID_Z_EN: 0
; COMPUTE_PGM_RSRC2:TIDIG_COMP_CNT: 0
; COMPUTE_PGM_RSRC3_GFX90A:ACCUM_OFFSET: 0
; COMPUTE_PGM_RSRC3_GFX90A:TG_SPLIT: 0
	.section	.text._ZN7rocprim17ROCPRIM_400000_NS6detail17trampoline_kernelINS0_14default_configENS1_38merge_sort_block_merge_config_selectorIjN6thrust23THRUST_200600_302600_NS5tupleIffNS6_9null_typeES8_S8_S8_S8_S8_S8_S8_EEEEZZNS1_27merge_sort_block_merge_implIS3_NS6_6detail15normal_iteratorINS6_10device_ptrIjEEEENSD_INSE_IS9_EEEEjNS1_19radix_merge_compareILb0ELb1EjNS0_19identity_decomposerEEEEE10hipError_tT0_T1_T2_jT3_P12ihipStream_tbPNSt15iterator_traitsISN_E10value_typeEPNST_ISO_E10value_typeEPSP_NS1_7vsmem_tEENKUlT_SN_SO_SP_E_clIPjSG_PS9_SI_EESM_S12_SN_SO_SP_EUlS12_E_NS1_11comp_targetILNS1_3genE0ELNS1_11target_archE4294967295ELNS1_3gpuE0ELNS1_3repE0EEENS1_48merge_mergepath_partition_config_static_selectorELNS0_4arch9wavefront6targetE1EEEvSO_,"axG",@progbits,_ZN7rocprim17ROCPRIM_400000_NS6detail17trampoline_kernelINS0_14default_configENS1_38merge_sort_block_merge_config_selectorIjN6thrust23THRUST_200600_302600_NS5tupleIffNS6_9null_typeES8_S8_S8_S8_S8_S8_S8_EEEEZZNS1_27merge_sort_block_merge_implIS3_NS6_6detail15normal_iteratorINS6_10device_ptrIjEEEENSD_INSE_IS9_EEEEjNS1_19radix_merge_compareILb0ELb1EjNS0_19identity_decomposerEEEEE10hipError_tT0_T1_T2_jT3_P12ihipStream_tbPNSt15iterator_traitsISN_E10value_typeEPNST_ISO_E10value_typeEPSP_NS1_7vsmem_tEENKUlT_SN_SO_SP_E_clIPjSG_PS9_SI_EESM_S12_SN_SO_SP_EUlS12_E_NS1_11comp_targetILNS1_3genE0ELNS1_11target_archE4294967295ELNS1_3gpuE0ELNS1_3repE0EEENS1_48merge_mergepath_partition_config_static_selectorELNS0_4arch9wavefront6targetE1EEEvSO_,comdat
	.protected	_ZN7rocprim17ROCPRIM_400000_NS6detail17trampoline_kernelINS0_14default_configENS1_38merge_sort_block_merge_config_selectorIjN6thrust23THRUST_200600_302600_NS5tupleIffNS6_9null_typeES8_S8_S8_S8_S8_S8_S8_EEEEZZNS1_27merge_sort_block_merge_implIS3_NS6_6detail15normal_iteratorINS6_10device_ptrIjEEEENSD_INSE_IS9_EEEEjNS1_19radix_merge_compareILb0ELb1EjNS0_19identity_decomposerEEEEE10hipError_tT0_T1_T2_jT3_P12ihipStream_tbPNSt15iterator_traitsISN_E10value_typeEPNST_ISO_E10value_typeEPSP_NS1_7vsmem_tEENKUlT_SN_SO_SP_E_clIPjSG_PS9_SI_EESM_S12_SN_SO_SP_EUlS12_E_NS1_11comp_targetILNS1_3genE0ELNS1_11target_archE4294967295ELNS1_3gpuE0ELNS1_3repE0EEENS1_48merge_mergepath_partition_config_static_selectorELNS0_4arch9wavefront6targetE1EEEvSO_ ; -- Begin function _ZN7rocprim17ROCPRIM_400000_NS6detail17trampoline_kernelINS0_14default_configENS1_38merge_sort_block_merge_config_selectorIjN6thrust23THRUST_200600_302600_NS5tupleIffNS6_9null_typeES8_S8_S8_S8_S8_S8_S8_EEEEZZNS1_27merge_sort_block_merge_implIS3_NS6_6detail15normal_iteratorINS6_10device_ptrIjEEEENSD_INSE_IS9_EEEEjNS1_19radix_merge_compareILb0ELb1EjNS0_19identity_decomposerEEEEE10hipError_tT0_T1_T2_jT3_P12ihipStream_tbPNSt15iterator_traitsISN_E10value_typeEPNST_ISO_E10value_typeEPSP_NS1_7vsmem_tEENKUlT_SN_SO_SP_E_clIPjSG_PS9_SI_EESM_S12_SN_SO_SP_EUlS12_E_NS1_11comp_targetILNS1_3genE0ELNS1_11target_archE4294967295ELNS1_3gpuE0ELNS1_3repE0EEENS1_48merge_mergepath_partition_config_static_selectorELNS0_4arch9wavefront6targetE1EEEvSO_
	.globl	_ZN7rocprim17ROCPRIM_400000_NS6detail17trampoline_kernelINS0_14default_configENS1_38merge_sort_block_merge_config_selectorIjN6thrust23THRUST_200600_302600_NS5tupleIffNS6_9null_typeES8_S8_S8_S8_S8_S8_S8_EEEEZZNS1_27merge_sort_block_merge_implIS3_NS6_6detail15normal_iteratorINS6_10device_ptrIjEEEENSD_INSE_IS9_EEEEjNS1_19radix_merge_compareILb0ELb1EjNS0_19identity_decomposerEEEEE10hipError_tT0_T1_T2_jT3_P12ihipStream_tbPNSt15iterator_traitsISN_E10value_typeEPNST_ISO_E10value_typeEPSP_NS1_7vsmem_tEENKUlT_SN_SO_SP_E_clIPjSG_PS9_SI_EESM_S12_SN_SO_SP_EUlS12_E_NS1_11comp_targetILNS1_3genE0ELNS1_11target_archE4294967295ELNS1_3gpuE0ELNS1_3repE0EEENS1_48merge_mergepath_partition_config_static_selectorELNS0_4arch9wavefront6targetE1EEEvSO_
	.p2align	8
	.type	_ZN7rocprim17ROCPRIM_400000_NS6detail17trampoline_kernelINS0_14default_configENS1_38merge_sort_block_merge_config_selectorIjN6thrust23THRUST_200600_302600_NS5tupleIffNS6_9null_typeES8_S8_S8_S8_S8_S8_S8_EEEEZZNS1_27merge_sort_block_merge_implIS3_NS6_6detail15normal_iteratorINS6_10device_ptrIjEEEENSD_INSE_IS9_EEEEjNS1_19radix_merge_compareILb0ELb1EjNS0_19identity_decomposerEEEEE10hipError_tT0_T1_T2_jT3_P12ihipStream_tbPNSt15iterator_traitsISN_E10value_typeEPNST_ISO_E10value_typeEPSP_NS1_7vsmem_tEENKUlT_SN_SO_SP_E_clIPjSG_PS9_SI_EESM_S12_SN_SO_SP_EUlS12_E_NS1_11comp_targetILNS1_3genE0ELNS1_11target_archE4294967295ELNS1_3gpuE0ELNS1_3repE0EEENS1_48merge_mergepath_partition_config_static_selectorELNS0_4arch9wavefront6targetE1EEEvSO_,@function
_ZN7rocprim17ROCPRIM_400000_NS6detail17trampoline_kernelINS0_14default_configENS1_38merge_sort_block_merge_config_selectorIjN6thrust23THRUST_200600_302600_NS5tupleIffNS6_9null_typeES8_S8_S8_S8_S8_S8_S8_EEEEZZNS1_27merge_sort_block_merge_implIS3_NS6_6detail15normal_iteratorINS6_10device_ptrIjEEEENSD_INSE_IS9_EEEEjNS1_19radix_merge_compareILb0ELb1EjNS0_19identity_decomposerEEEEE10hipError_tT0_T1_T2_jT3_P12ihipStream_tbPNSt15iterator_traitsISN_E10value_typeEPNST_ISO_E10value_typeEPSP_NS1_7vsmem_tEENKUlT_SN_SO_SP_E_clIPjSG_PS9_SI_EESM_S12_SN_SO_SP_EUlS12_E_NS1_11comp_targetILNS1_3genE0ELNS1_11target_archE4294967295ELNS1_3gpuE0ELNS1_3repE0EEENS1_48merge_mergepath_partition_config_static_selectorELNS0_4arch9wavefront6targetE1EEEvSO_: ; @_ZN7rocprim17ROCPRIM_400000_NS6detail17trampoline_kernelINS0_14default_configENS1_38merge_sort_block_merge_config_selectorIjN6thrust23THRUST_200600_302600_NS5tupleIffNS6_9null_typeES8_S8_S8_S8_S8_S8_S8_EEEEZZNS1_27merge_sort_block_merge_implIS3_NS6_6detail15normal_iteratorINS6_10device_ptrIjEEEENSD_INSE_IS9_EEEEjNS1_19radix_merge_compareILb0ELb1EjNS0_19identity_decomposerEEEEE10hipError_tT0_T1_T2_jT3_P12ihipStream_tbPNSt15iterator_traitsISN_E10value_typeEPNST_ISO_E10value_typeEPSP_NS1_7vsmem_tEENKUlT_SN_SO_SP_E_clIPjSG_PS9_SI_EESM_S12_SN_SO_SP_EUlS12_E_NS1_11comp_targetILNS1_3genE0ELNS1_11target_archE4294967295ELNS1_3gpuE0ELNS1_3repE0EEENS1_48merge_mergepath_partition_config_static_selectorELNS0_4arch9wavefront6targetE1EEEvSO_
; %bb.0:
	.section	.rodata,"a",@progbits
	.p2align	6, 0x0
	.amdhsa_kernel _ZN7rocprim17ROCPRIM_400000_NS6detail17trampoline_kernelINS0_14default_configENS1_38merge_sort_block_merge_config_selectorIjN6thrust23THRUST_200600_302600_NS5tupleIffNS6_9null_typeES8_S8_S8_S8_S8_S8_S8_EEEEZZNS1_27merge_sort_block_merge_implIS3_NS6_6detail15normal_iteratorINS6_10device_ptrIjEEEENSD_INSE_IS9_EEEEjNS1_19radix_merge_compareILb0ELb1EjNS0_19identity_decomposerEEEEE10hipError_tT0_T1_T2_jT3_P12ihipStream_tbPNSt15iterator_traitsISN_E10value_typeEPNST_ISO_E10value_typeEPSP_NS1_7vsmem_tEENKUlT_SN_SO_SP_E_clIPjSG_PS9_SI_EESM_S12_SN_SO_SP_EUlS12_E_NS1_11comp_targetILNS1_3genE0ELNS1_11target_archE4294967295ELNS1_3gpuE0ELNS1_3repE0EEENS1_48merge_mergepath_partition_config_static_selectorELNS0_4arch9wavefront6targetE1EEEvSO_
		.amdhsa_group_segment_fixed_size 0
		.amdhsa_private_segment_fixed_size 0
		.amdhsa_kernarg_size 40
		.amdhsa_user_sgpr_count 6
		.amdhsa_user_sgpr_private_segment_buffer 1
		.amdhsa_user_sgpr_dispatch_ptr 0
		.amdhsa_user_sgpr_queue_ptr 0
		.amdhsa_user_sgpr_kernarg_segment_ptr 1
		.amdhsa_user_sgpr_dispatch_id 0
		.amdhsa_user_sgpr_flat_scratch_init 0
		.amdhsa_user_sgpr_kernarg_preload_length 0
		.amdhsa_user_sgpr_kernarg_preload_offset 0
		.amdhsa_user_sgpr_private_segment_size 0
		.amdhsa_uses_dynamic_stack 0
		.amdhsa_system_sgpr_private_segment_wavefront_offset 0
		.amdhsa_system_sgpr_workgroup_id_x 1
		.amdhsa_system_sgpr_workgroup_id_y 0
		.amdhsa_system_sgpr_workgroup_id_z 0
		.amdhsa_system_sgpr_workgroup_info 0
		.amdhsa_system_vgpr_workitem_id 0
		.amdhsa_next_free_vgpr 1
		.amdhsa_next_free_sgpr 0
		.amdhsa_accum_offset 4
		.amdhsa_reserve_vcc 0
		.amdhsa_reserve_flat_scratch 0
		.amdhsa_float_round_mode_32 0
		.amdhsa_float_round_mode_16_64 0
		.amdhsa_float_denorm_mode_32 3
		.amdhsa_float_denorm_mode_16_64 3
		.amdhsa_dx10_clamp 1
		.amdhsa_ieee_mode 1
		.amdhsa_fp16_overflow 0
		.amdhsa_tg_split 0
		.amdhsa_exception_fp_ieee_invalid_op 0
		.amdhsa_exception_fp_denorm_src 0
		.amdhsa_exception_fp_ieee_div_zero 0
		.amdhsa_exception_fp_ieee_overflow 0
		.amdhsa_exception_fp_ieee_underflow 0
		.amdhsa_exception_fp_ieee_inexact 0
		.amdhsa_exception_int_div_zero 0
	.end_amdhsa_kernel
	.section	.text._ZN7rocprim17ROCPRIM_400000_NS6detail17trampoline_kernelINS0_14default_configENS1_38merge_sort_block_merge_config_selectorIjN6thrust23THRUST_200600_302600_NS5tupleIffNS6_9null_typeES8_S8_S8_S8_S8_S8_S8_EEEEZZNS1_27merge_sort_block_merge_implIS3_NS6_6detail15normal_iteratorINS6_10device_ptrIjEEEENSD_INSE_IS9_EEEEjNS1_19radix_merge_compareILb0ELb1EjNS0_19identity_decomposerEEEEE10hipError_tT0_T1_T2_jT3_P12ihipStream_tbPNSt15iterator_traitsISN_E10value_typeEPNST_ISO_E10value_typeEPSP_NS1_7vsmem_tEENKUlT_SN_SO_SP_E_clIPjSG_PS9_SI_EESM_S12_SN_SO_SP_EUlS12_E_NS1_11comp_targetILNS1_3genE0ELNS1_11target_archE4294967295ELNS1_3gpuE0ELNS1_3repE0EEENS1_48merge_mergepath_partition_config_static_selectorELNS0_4arch9wavefront6targetE1EEEvSO_,"axG",@progbits,_ZN7rocprim17ROCPRIM_400000_NS6detail17trampoline_kernelINS0_14default_configENS1_38merge_sort_block_merge_config_selectorIjN6thrust23THRUST_200600_302600_NS5tupleIffNS6_9null_typeES8_S8_S8_S8_S8_S8_S8_EEEEZZNS1_27merge_sort_block_merge_implIS3_NS6_6detail15normal_iteratorINS6_10device_ptrIjEEEENSD_INSE_IS9_EEEEjNS1_19radix_merge_compareILb0ELb1EjNS0_19identity_decomposerEEEEE10hipError_tT0_T1_T2_jT3_P12ihipStream_tbPNSt15iterator_traitsISN_E10value_typeEPNST_ISO_E10value_typeEPSP_NS1_7vsmem_tEENKUlT_SN_SO_SP_E_clIPjSG_PS9_SI_EESM_S12_SN_SO_SP_EUlS12_E_NS1_11comp_targetILNS1_3genE0ELNS1_11target_archE4294967295ELNS1_3gpuE0ELNS1_3repE0EEENS1_48merge_mergepath_partition_config_static_selectorELNS0_4arch9wavefront6targetE1EEEvSO_,comdat
.Lfunc_end91:
	.size	_ZN7rocprim17ROCPRIM_400000_NS6detail17trampoline_kernelINS0_14default_configENS1_38merge_sort_block_merge_config_selectorIjN6thrust23THRUST_200600_302600_NS5tupleIffNS6_9null_typeES8_S8_S8_S8_S8_S8_S8_EEEEZZNS1_27merge_sort_block_merge_implIS3_NS6_6detail15normal_iteratorINS6_10device_ptrIjEEEENSD_INSE_IS9_EEEEjNS1_19radix_merge_compareILb0ELb1EjNS0_19identity_decomposerEEEEE10hipError_tT0_T1_T2_jT3_P12ihipStream_tbPNSt15iterator_traitsISN_E10value_typeEPNST_ISO_E10value_typeEPSP_NS1_7vsmem_tEENKUlT_SN_SO_SP_E_clIPjSG_PS9_SI_EESM_S12_SN_SO_SP_EUlS12_E_NS1_11comp_targetILNS1_3genE0ELNS1_11target_archE4294967295ELNS1_3gpuE0ELNS1_3repE0EEENS1_48merge_mergepath_partition_config_static_selectorELNS0_4arch9wavefront6targetE1EEEvSO_, .Lfunc_end91-_ZN7rocprim17ROCPRIM_400000_NS6detail17trampoline_kernelINS0_14default_configENS1_38merge_sort_block_merge_config_selectorIjN6thrust23THRUST_200600_302600_NS5tupleIffNS6_9null_typeES8_S8_S8_S8_S8_S8_S8_EEEEZZNS1_27merge_sort_block_merge_implIS3_NS6_6detail15normal_iteratorINS6_10device_ptrIjEEEENSD_INSE_IS9_EEEEjNS1_19radix_merge_compareILb0ELb1EjNS0_19identity_decomposerEEEEE10hipError_tT0_T1_T2_jT3_P12ihipStream_tbPNSt15iterator_traitsISN_E10value_typeEPNST_ISO_E10value_typeEPSP_NS1_7vsmem_tEENKUlT_SN_SO_SP_E_clIPjSG_PS9_SI_EESM_S12_SN_SO_SP_EUlS12_E_NS1_11comp_targetILNS1_3genE0ELNS1_11target_archE4294967295ELNS1_3gpuE0ELNS1_3repE0EEENS1_48merge_mergepath_partition_config_static_selectorELNS0_4arch9wavefront6targetE1EEEvSO_
                                        ; -- End function
	.section	.AMDGPU.csdata,"",@progbits
; Kernel info:
; codeLenInByte = 0
; NumSgprs: 4
; NumVgprs: 0
; NumAgprs: 0
; TotalNumVgprs: 0
; ScratchSize: 0
; MemoryBound: 0
; FloatMode: 240
; IeeeMode: 1
; LDSByteSize: 0 bytes/workgroup (compile time only)
; SGPRBlocks: 0
; VGPRBlocks: 0
; NumSGPRsForWavesPerEU: 4
; NumVGPRsForWavesPerEU: 1
; AccumOffset: 4
; Occupancy: 8
; WaveLimiterHint : 0
; COMPUTE_PGM_RSRC2:SCRATCH_EN: 0
; COMPUTE_PGM_RSRC2:USER_SGPR: 6
; COMPUTE_PGM_RSRC2:TRAP_HANDLER: 0
; COMPUTE_PGM_RSRC2:TGID_X_EN: 1
; COMPUTE_PGM_RSRC2:TGID_Y_EN: 0
; COMPUTE_PGM_RSRC2:TGID_Z_EN: 0
; COMPUTE_PGM_RSRC2:TIDIG_COMP_CNT: 0
; COMPUTE_PGM_RSRC3_GFX90A:ACCUM_OFFSET: 0
; COMPUTE_PGM_RSRC3_GFX90A:TG_SPLIT: 0
	.section	.text._ZN7rocprim17ROCPRIM_400000_NS6detail17trampoline_kernelINS0_14default_configENS1_38merge_sort_block_merge_config_selectorIjN6thrust23THRUST_200600_302600_NS5tupleIffNS6_9null_typeES8_S8_S8_S8_S8_S8_S8_EEEEZZNS1_27merge_sort_block_merge_implIS3_NS6_6detail15normal_iteratorINS6_10device_ptrIjEEEENSD_INSE_IS9_EEEEjNS1_19radix_merge_compareILb0ELb1EjNS0_19identity_decomposerEEEEE10hipError_tT0_T1_T2_jT3_P12ihipStream_tbPNSt15iterator_traitsISN_E10value_typeEPNST_ISO_E10value_typeEPSP_NS1_7vsmem_tEENKUlT_SN_SO_SP_E_clIPjSG_PS9_SI_EESM_S12_SN_SO_SP_EUlS12_E_NS1_11comp_targetILNS1_3genE10ELNS1_11target_archE1201ELNS1_3gpuE5ELNS1_3repE0EEENS1_48merge_mergepath_partition_config_static_selectorELNS0_4arch9wavefront6targetE1EEEvSO_,"axG",@progbits,_ZN7rocprim17ROCPRIM_400000_NS6detail17trampoline_kernelINS0_14default_configENS1_38merge_sort_block_merge_config_selectorIjN6thrust23THRUST_200600_302600_NS5tupleIffNS6_9null_typeES8_S8_S8_S8_S8_S8_S8_EEEEZZNS1_27merge_sort_block_merge_implIS3_NS6_6detail15normal_iteratorINS6_10device_ptrIjEEEENSD_INSE_IS9_EEEEjNS1_19radix_merge_compareILb0ELb1EjNS0_19identity_decomposerEEEEE10hipError_tT0_T1_T2_jT3_P12ihipStream_tbPNSt15iterator_traitsISN_E10value_typeEPNST_ISO_E10value_typeEPSP_NS1_7vsmem_tEENKUlT_SN_SO_SP_E_clIPjSG_PS9_SI_EESM_S12_SN_SO_SP_EUlS12_E_NS1_11comp_targetILNS1_3genE10ELNS1_11target_archE1201ELNS1_3gpuE5ELNS1_3repE0EEENS1_48merge_mergepath_partition_config_static_selectorELNS0_4arch9wavefront6targetE1EEEvSO_,comdat
	.protected	_ZN7rocprim17ROCPRIM_400000_NS6detail17trampoline_kernelINS0_14default_configENS1_38merge_sort_block_merge_config_selectorIjN6thrust23THRUST_200600_302600_NS5tupleIffNS6_9null_typeES8_S8_S8_S8_S8_S8_S8_EEEEZZNS1_27merge_sort_block_merge_implIS3_NS6_6detail15normal_iteratorINS6_10device_ptrIjEEEENSD_INSE_IS9_EEEEjNS1_19radix_merge_compareILb0ELb1EjNS0_19identity_decomposerEEEEE10hipError_tT0_T1_T2_jT3_P12ihipStream_tbPNSt15iterator_traitsISN_E10value_typeEPNST_ISO_E10value_typeEPSP_NS1_7vsmem_tEENKUlT_SN_SO_SP_E_clIPjSG_PS9_SI_EESM_S12_SN_SO_SP_EUlS12_E_NS1_11comp_targetILNS1_3genE10ELNS1_11target_archE1201ELNS1_3gpuE5ELNS1_3repE0EEENS1_48merge_mergepath_partition_config_static_selectorELNS0_4arch9wavefront6targetE1EEEvSO_ ; -- Begin function _ZN7rocprim17ROCPRIM_400000_NS6detail17trampoline_kernelINS0_14default_configENS1_38merge_sort_block_merge_config_selectorIjN6thrust23THRUST_200600_302600_NS5tupleIffNS6_9null_typeES8_S8_S8_S8_S8_S8_S8_EEEEZZNS1_27merge_sort_block_merge_implIS3_NS6_6detail15normal_iteratorINS6_10device_ptrIjEEEENSD_INSE_IS9_EEEEjNS1_19radix_merge_compareILb0ELb1EjNS0_19identity_decomposerEEEEE10hipError_tT0_T1_T2_jT3_P12ihipStream_tbPNSt15iterator_traitsISN_E10value_typeEPNST_ISO_E10value_typeEPSP_NS1_7vsmem_tEENKUlT_SN_SO_SP_E_clIPjSG_PS9_SI_EESM_S12_SN_SO_SP_EUlS12_E_NS1_11comp_targetILNS1_3genE10ELNS1_11target_archE1201ELNS1_3gpuE5ELNS1_3repE0EEENS1_48merge_mergepath_partition_config_static_selectorELNS0_4arch9wavefront6targetE1EEEvSO_
	.globl	_ZN7rocprim17ROCPRIM_400000_NS6detail17trampoline_kernelINS0_14default_configENS1_38merge_sort_block_merge_config_selectorIjN6thrust23THRUST_200600_302600_NS5tupleIffNS6_9null_typeES8_S8_S8_S8_S8_S8_S8_EEEEZZNS1_27merge_sort_block_merge_implIS3_NS6_6detail15normal_iteratorINS6_10device_ptrIjEEEENSD_INSE_IS9_EEEEjNS1_19radix_merge_compareILb0ELb1EjNS0_19identity_decomposerEEEEE10hipError_tT0_T1_T2_jT3_P12ihipStream_tbPNSt15iterator_traitsISN_E10value_typeEPNST_ISO_E10value_typeEPSP_NS1_7vsmem_tEENKUlT_SN_SO_SP_E_clIPjSG_PS9_SI_EESM_S12_SN_SO_SP_EUlS12_E_NS1_11comp_targetILNS1_3genE10ELNS1_11target_archE1201ELNS1_3gpuE5ELNS1_3repE0EEENS1_48merge_mergepath_partition_config_static_selectorELNS0_4arch9wavefront6targetE1EEEvSO_
	.p2align	8
	.type	_ZN7rocprim17ROCPRIM_400000_NS6detail17trampoline_kernelINS0_14default_configENS1_38merge_sort_block_merge_config_selectorIjN6thrust23THRUST_200600_302600_NS5tupleIffNS6_9null_typeES8_S8_S8_S8_S8_S8_S8_EEEEZZNS1_27merge_sort_block_merge_implIS3_NS6_6detail15normal_iteratorINS6_10device_ptrIjEEEENSD_INSE_IS9_EEEEjNS1_19radix_merge_compareILb0ELb1EjNS0_19identity_decomposerEEEEE10hipError_tT0_T1_T2_jT3_P12ihipStream_tbPNSt15iterator_traitsISN_E10value_typeEPNST_ISO_E10value_typeEPSP_NS1_7vsmem_tEENKUlT_SN_SO_SP_E_clIPjSG_PS9_SI_EESM_S12_SN_SO_SP_EUlS12_E_NS1_11comp_targetILNS1_3genE10ELNS1_11target_archE1201ELNS1_3gpuE5ELNS1_3repE0EEENS1_48merge_mergepath_partition_config_static_selectorELNS0_4arch9wavefront6targetE1EEEvSO_,@function
_ZN7rocprim17ROCPRIM_400000_NS6detail17trampoline_kernelINS0_14default_configENS1_38merge_sort_block_merge_config_selectorIjN6thrust23THRUST_200600_302600_NS5tupleIffNS6_9null_typeES8_S8_S8_S8_S8_S8_S8_EEEEZZNS1_27merge_sort_block_merge_implIS3_NS6_6detail15normal_iteratorINS6_10device_ptrIjEEEENSD_INSE_IS9_EEEEjNS1_19radix_merge_compareILb0ELb1EjNS0_19identity_decomposerEEEEE10hipError_tT0_T1_T2_jT3_P12ihipStream_tbPNSt15iterator_traitsISN_E10value_typeEPNST_ISO_E10value_typeEPSP_NS1_7vsmem_tEENKUlT_SN_SO_SP_E_clIPjSG_PS9_SI_EESM_S12_SN_SO_SP_EUlS12_E_NS1_11comp_targetILNS1_3genE10ELNS1_11target_archE1201ELNS1_3gpuE5ELNS1_3repE0EEENS1_48merge_mergepath_partition_config_static_selectorELNS0_4arch9wavefront6targetE1EEEvSO_: ; @_ZN7rocprim17ROCPRIM_400000_NS6detail17trampoline_kernelINS0_14default_configENS1_38merge_sort_block_merge_config_selectorIjN6thrust23THRUST_200600_302600_NS5tupleIffNS6_9null_typeES8_S8_S8_S8_S8_S8_S8_EEEEZZNS1_27merge_sort_block_merge_implIS3_NS6_6detail15normal_iteratorINS6_10device_ptrIjEEEENSD_INSE_IS9_EEEEjNS1_19radix_merge_compareILb0ELb1EjNS0_19identity_decomposerEEEEE10hipError_tT0_T1_T2_jT3_P12ihipStream_tbPNSt15iterator_traitsISN_E10value_typeEPNST_ISO_E10value_typeEPSP_NS1_7vsmem_tEENKUlT_SN_SO_SP_E_clIPjSG_PS9_SI_EESM_S12_SN_SO_SP_EUlS12_E_NS1_11comp_targetILNS1_3genE10ELNS1_11target_archE1201ELNS1_3gpuE5ELNS1_3repE0EEENS1_48merge_mergepath_partition_config_static_selectorELNS0_4arch9wavefront6targetE1EEEvSO_
; %bb.0:
	.section	.rodata,"a",@progbits
	.p2align	6, 0x0
	.amdhsa_kernel _ZN7rocprim17ROCPRIM_400000_NS6detail17trampoline_kernelINS0_14default_configENS1_38merge_sort_block_merge_config_selectorIjN6thrust23THRUST_200600_302600_NS5tupleIffNS6_9null_typeES8_S8_S8_S8_S8_S8_S8_EEEEZZNS1_27merge_sort_block_merge_implIS3_NS6_6detail15normal_iteratorINS6_10device_ptrIjEEEENSD_INSE_IS9_EEEEjNS1_19radix_merge_compareILb0ELb1EjNS0_19identity_decomposerEEEEE10hipError_tT0_T1_T2_jT3_P12ihipStream_tbPNSt15iterator_traitsISN_E10value_typeEPNST_ISO_E10value_typeEPSP_NS1_7vsmem_tEENKUlT_SN_SO_SP_E_clIPjSG_PS9_SI_EESM_S12_SN_SO_SP_EUlS12_E_NS1_11comp_targetILNS1_3genE10ELNS1_11target_archE1201ELNS1_3gpuE5ELNS1_3repE0EEENS1_48merge_mergepath_partition_config_static_selectorELNS0_4arch9wavefront6targetE1EEEvSO_
		.amdhsa_group_segment_fixed_size 0
		.amdhsa_private_segment_fixed_size 0
		.amdhsa_kernarg_size 40
		.amdhsa_user_sgpr_count 6
		.amdhsa_user_sgpr_private_segment_buffer 1
		.amdhsa_user_sgpr_dispatch_ptr 0
		.amdhsa_user_sgpr_queue_ptr 0
		.amdhsa_user_sgpr_kernarg_segment_ptr 1
		.amdhsa_user_sgpr_dispatch_id 0
		.amdhsa_user_sgpr_flat_scratch_init 0
		.amdhsa_user_sgpr_kernarg_preload_length 0
		.amdhsa_user_sgpr_kernarg_preload_offset 0
		.amdhsa_user_sgpr_private_segment_size 0
		.amdhsa_uses_dynamic_stack 0
		.amdhsa_system_sgpr_private_segment_wavefront_offset 0
		.amdhsa_system_sgpr_workgroup_id_x 1
		.amdhsa_system_sgpr_workgroup_id_y 0
		.amdhsa_system_sgpr_workgroup_id_z 0
		.amdhsa_system_sgpr_workgroup_info 0
		.amdhsa_system_vgpr_workitem_id 0
		.amdhsa_next_free_vgpr 1
		.amdhsa_next_free_sgpr 0
		.amdhsa_accum_offset 4
		.amdhsa_reserve_vcc 0
		.amdhsa_reserve_flat_scratch 0
		.amdhsa_float_round_mode_32 0
		.amdhsa_float_round_mode_16_64 0
		.amdhsa_float_denorm_mode_32 3
		.amdhsa_float_denorm_mode_16_64 3
		.amdhsa_dx10_clamp 1
		.amdhsa_ieee_mode 1
		.amdhsa_fp16_overflow 0
		.amdhsa_tg_split 0
		.amdhsa_exception_fp_ieee_invalid_op 0
		.amdhsa_exception_fp_denorm_src 0
		.amdhsa_exception_fp_ieee_div_zero 0
		.amdhsa_exception_fp_ieee_overflow 0
		.amdhsa_exception_fp_ieee_underflow 0
		.amdhsa_exception_fp_ieee_inexact 0
		.amdhsa_exception_int_div_zero 0
	.end_amdhsa_kernel
	.section	.text._ZN7rocprim17ROCPRIM_400000_NS6detail17trampoline_kernelINS0_14default_configENS1_38merge_sort_block_merge_config_selectorIjN6thrust23THRUST_200600_302600_NS5tupleIffNS6_9null_typeES8_S8_S8_S8_S8_S8_S8_EEEEZZNS1_27merge_sort_block_merge_implIS3_NS6_6detail15normal_iteratorINS6_10device_ptrIjEEEENSD_INSE_IS9_EEEEjNS1_19radix_merge_compareILb0ELb1EjNS0_19identity_decomposerEEEEE10hipError_tT0_T1_T2_jT3_P12ihipStream_tbPNSt15iterator_traitsISN_E10value_typeEPNST_ISO_E10value_typeEPSP_NS1_7vsmem_tEENKUlT_SN_SO_SP_E_clIPjSG_PS9_SI_EESM_S12_SN_SO_SP_EUlS12_E_NS1_11comp_targetILNS1_3genE10ELNS1_11target_archE1201ELNS1_3gpuE5ELNS1_3repE0EEENS1_48merge_mergepath_partition_config_static_selectorELNS0_4arch9wavefront6targetE1EEEvSO_,"axG",@progbits,_ZN7rocprim17ROCPRIM_400000_NS6detail17trampoline_kernelINS0_14default_configENS1_38merge_sort_block_merge_config_selectorIjN6thrust23THRUST_200600_302600_NS5tupleIffNS6_9null_typeES8_S8_S8_S8_S8_S8_S8_EEEEZZNS1_27merge_sort_block_merge_implIS3_NS6_6detail15normal_iteratorINS6_10device_ptrIjEEEENSD_INSE_IS9_EEEEjNS1_19radix_merge_compareILb0ELb1EjNS0_19identity_decomposerEEEEE10hipError_tT0_T1_T2_jT3_P12ihipStream_tbPNSt15iterator_traitsISN_E10value_typeEPNST_ISO_E10value_typeEPSP_NS1_7vsmem_tEENKUlT_SN_SO_SP_E_clIPjSG_PS9_SI_EESM_S12_SN_SO_SP_EUlS12_E_NS1_11comp_targetILNS1_3genE10ELNS1_11target_archE1201ELNS1_3gpuE5ELNS1_3repE0EEENS1_48merge_mergepath_partition_config_static_selectorELNS0_4arch9wavefront6targetE1EEEvSO_,comdat
.Lfunc_end92:
	.size	_ZN7rocprim17ROCPRIM_400000_NS6detail17trampoline_kernelINS0_14default_configENS1_38merge_sort_block_merge_config_selectorIjN6thrust23THRUST_200600_302600_NS5tupleIffNS6_9null_typeES8_S8_S8_S8_S8_S8_S8_EEEEZZNS1_27merge_sort_block_merge_implIS3_NS6_6detail15normal_iteratorINS6_10device_ptrIjEEEENSD_INSE_IS9_EEEEjNS1_19radix_merge_compareILb0ELb1EjNS0_19identity_decomposerEEEEE10hipError_tT0_T1_T2_jT3_P12ihipStream_tbPNSt15iterator_traitsISN_E10value_typeEPNST_ISO_E10value_typeEPSP_NS1_7vsmem_tEENKUlT_SN_SO_SP_E_clIPjSG_PS9_SI_EESM_S12_SN_SO_SP_EUlS12_E_NS1_11comp_targetILNS1_3genE10ELNS1_11target_archE1201ELNS1_3gpuE5ELNS1_3repE0EEENS1_48merge_mergepath_partition_config_static_selectorELNS0_4arch9wavefront6targetE1EEEvSO_, .Lfunc_end92-_ZN7rocprim17ROCPRIM_400000_NS6detail17trampoline_kernelINS0_14default_configENS1_38merge_sort_block_merge_config_selectorIjN6thrust23THRUST_200600_302600_NS5tupleIffNS6_9null_typeES8_S8_S8_S8_S8_S8_S8_EEEEZZNS1_27merge_sort_block_merge_implIS3_NS6_6detail15normal_iteratorINS6_10device_ptrIjEEEENSD_INSE_IS9_EEEEjNS1_19radix_merge_compareILb0ELb1EjNS0_19identity_decomposerEEEEE10hipError_tT0_T1_T2_jT3_P12ihipStream_tbPNSt15iterator_traitsISN_E10value_typeEPNST_ISO_E10value_typeEPSP_NS1_7vsmem_tEENKUlT_SN_SO_SP_E_clIPjSG_PS9_SI_EESM_S12_SN_SO_SP_EUlS12_E_NS1_11comp_targetILNS1_3genE10ELNS1_11target_archE1201ELNS1_3gpuE5ELNS1_3repE0EEENS1_48merge_mergepath_partition_config_static_selectorELNS0_4arch9wavefront6targetE1EEEvSO_
                                        ; -- End function
	.section	.AMDGPU.csdata,"",@progbits
; Kernel info:
; codeLenInByte = 0
; NumSgprs: 4
; NumVgprs: 0
; NumAgprs: 0
; TotalNumVgprs: 0
; ScratchSize: 0
; MemoryBound: 0
; FloatMode: 240
; IeeeMode: 1
; LDSByteSize: 0 bytes/workgroup (compile time only)
; SGPRBlocks: 0
; VGPRBlocks: 0
; NumSGPRsForWavesPerEU: 4
; NumVGPRsForWavesPerEU: 1
; AccumOffset: 4
; Occupancy: 8
; WaveLimiterHint : 0
; COMPUTE_PGM_RSRC2:SCRATCH_EN: 0
; COMPUTE_PGM_RSRC2:USER_SGPR: 6
; COMPUTE_PGM_RSRC2:TRAP_HANDLER: 0
; COMPUTE_PGM_RSRC2:TGID_X_EN: 1
; COMPUTE_PGM_RSRC2:TGID_Y_EN: 0
; COMPUTE_PGM_RSRC2:TGID_Z_EN: 0
; COMPUTE_PGM_RSRC2:TIDIG_COMP_CNT: 0
; COMPUTE_PGM_RSRC3_GFX90A:ACCUM_OFFSET: 0
; COMPUTE_PGM_RSRC3_GFX90A:TG_SPLIT: 0
	.section	.text._ZN7rocprim17ROCPRIM_400000_NS6detail17trampoline_kernelINS0_14default_configENS1_38merge_sort_block_merge_config_selectorIjN6thrust23THRUST_200600_302600_NS5tupleIffNS6_9null_typeES8_S8_S8_S8_S8_S8_S8_EEEEZZNS1_27merge_sort_block_merge_implIS3_NS6_6detail15normal_iteratorINS6_10device_ptrIjEEEENSD_INSE_IS9_EEEEjNS1_19radix_merge_compareILb0ELb1EjNS0_19identity_decomposerEEEEE10hipError_tT0_T1_T2_jT3_P12ihipStream_tbPNSt15iterator_traitsISN_E10value_typeEPNST_ISO_E10value_typeEPSP_NS1_7vsmem_tEENKUlT_SN_SO_SP_E_clIPjSG_PS9_SI_EESM_S12_SN_SO_SP_EUlS12_E_NS1_11comp_targetILNS1_3genE5ELNS1_11target_archE942ELNS1_3gpuE9ELNS1_3repE0EEENS1_48merge_mergepath_partition_config_static_selectorELNS0_4arch9wavefront6targetE1EEEvSO_,"axG",@progbits,_ZN7rocprim17ROCPRIM_400000_NS6detail17trampoline_kernelINS0_14default_configENS1_38merge_sort_block_merge_config_selectorIjN6thrust23THRUST_200600_302600_NS5tupleIffNS6_9null_typeES8_S8_S8_S8_S8_S8_S8_EEEEZZNS1_27merge_sort_block_merge_implIS3_NS6_6detail15normal_iteratorINS6_10device_ptrIjEEEENSD_INSE_IS9_EEEEjNS1_19radix_merge_compareILb0ELb1EjNS0_19identity_decomposerEEEEE10hipError_tT0_T1_T2_jT3_P12ihipStream_tbPNSt15iterator_traitsISN_E10value_typeEPNST_ISO_E10value_typeEPSP_NS1_7vsmem_tEENKUlT_SN_SO_SP_E_clIPjSG_PS9_SI_EESM_S12_SN_SO_SP_EUlS12_E_NS1_11comp_targetILNS1_3genE5ELNS1_11target_archE942ELNS1_3gpuE9ELNS1_3repE0EEENS1_48merge_mergepath_partition_config_static_selectorELNS0_4arch9wavefront6targetE1EEEvSO_,comdat
	.protected	_ZN7rocprim17ROCPRIM_400000_NS6detail17trampoline_kernelINS0_14default_configENS1_38merge_sort_block_merge_config_selectorIjN6thrust23THRUST_200600_302600_NS5tupleIffNS6_9null_typeES8_S8_S8_S8_S8_S8_S8_EEEEZZNS1_27merge_sort_block_merge_implIS3_NS6_6detail15normal_iteratorINS6_10device_ptrIjEEEENSD_INSE_IS9_EEEEjNS1_19radix_merge_compareILb0ELb1EjNS0_19identity_decomposerEEEEE10hipError_tT0_T1_T2_jT3_P12ihipStream_tbPNSt15iterator_traitsISN_E10value_typeEPNST_ISO_E10value_typeEPSP_NS1_7vsmem_tEENKUlT_SN_SO_SP_E_clIPjSG_PS9_SI_EESM_S12_SN_SO_SP_EUlS12_E_NS1_11comp_targetILNS1_3genE5ELNS1_11target_archE942ELNS1_3gpuE9ELNS1_3repE0EEENS1_48merge_mergepath_partition_config_static_selectorELNS0_4arch9wavefront6targetE1EEEvSO_ ; -- Begin function _ZN7rocprim17ROCPRIM_400000_NS6detail17trampoline_kernelINS0_14default_configENS1_38merge_sort_block_merge_config_selectorIjN6thrust23THRUST_200600_302600_NS5tupleIffNS6_9null_typeES8_S8_S8_S8_S8_S8_S8_EEEEZZNS1_27merge_sort_block_merge_implIS3_NS6_6detail15normal_iteratorINS6_10device_ptrIjEEEENSD_INSE_IS9_EEEEjNS1_19radix_merge_compareILb0ELb1EjNS0_19identity_decomposerEEEEE10hipError_tT0_T1_T2_jT3_P12ihipStream_tbPNSt15iterator_traitsISN_E10value_typeEPNST_ISO_E10value_typeEPSP_NS1_7vsmem_tEENKUlT_SN_SO_SP_E_clIPjSG_PS9_SI_EESM_S12_SN_SO_SP_EUlS12_E_NS1_11comp_targetILNS1_3genE5ELNS1_11target_archE942ELNS1_3gpuE9ELNS1_3repE0EEENS1_48merge_mergepath_partition_config_static_selectorELNS0_4arch9wavefront6targetE1EEEvSO_
	.globl	_ZN7rocprim17ROCPRIM_400000_NS6detail17trampoline_kernelINS0_14default_configENS1_38merge_sort_block_merge_config_selectorIjN6thrust23THRUST_200600_302600_NS5tupleIffNS6_9null_typeES8_S8_S8_S8_S8_S8_S8_EEEEZZNS1_27merge_sort_block_merge_implIS3_NS6_6detail15normal_iteratorINS6_10device_ptrIjEEEENSD_INSE_IS9_EEEEjNS1_19radix_merge_compareILb0ELb1EjNS0_19identity_decomposerEEEEE10hipError_tT0_T1_T2_jT3_P12ihipStream_tbPNSt15iterator_traitsISN_E10value_typeEPNST_ISO_E10value_typeEPSP_NS1_7vsmem_tEENKUlT_SN_SO_SP_E_clIPjSG_PS9_SI_EESM_S12_SN_SO_SP_EUlS12_E_NS1_11comp_targetILNS1_3genE5ELNS1_11target_archE942ELNS1_3gpuE9ELNS1_3repE0EEENS1_48merge_mergepath_partition_config_static_selectorELNS0_4arch9wavefront6targetE1EEEvSO_
	.p2align	8
	.type	_ZN7rocprim17ROCPRIM_400000_NS6detail17trampoline_kernelINS0_14default_configENS1_38merge_sort_block_merge_config_selectorIjN6thrust23THRUST_200600_302600_NS5tupleIffNS6_9null_typeES8_S8_S8_S8_S8_S8_S8_EEEEZZNS1_27merge_sort_block_merge_implIS3_NS6_6detail15normal_iteratorINS6_10device_ptrIjEEEENSD_INSE_IS9_EEEEjNS1_19radix_merge_compareILb0ELb1EjNS0_19identity_decomposerEEEEE10hipError_tT0_T1_T2_jT3_P12ihipStream_tbPNSt15iterator_traitsISN_E10value_typeEPNST_ISO_E10value_typeEPSP_NS1_7vsmem_tEENKUlT_SN_SO_SP_E_clIPjSG_PS9_SI_EESM_S12_SN_SO_SP_EUlS12_E_NS1_11comp_targetILNS1_3genE5ELNS1_11target_archE942ELNS1_3gpuE9ELNS1_3repE0EEENS1_48merge_mergepath_partition_config_static_selectorELNS0_4arch9wavefront6targetE1EEEvSO_,@function
_ZN7rocprim17ROCPRIM_400000_NS6detail17trampoline_kernelINS0_14default_configENS1_38merge_sort_block_merge_config_selectorIjN6thrust23THRUST_200600_302600_NS5tupleIffNS6_9null_typeES8_S8_S8_S8_S8_S8_S8_EEEEZZNS1_27merge_sort_block_merge_implIS3_NS6_6detail15normal_iteratorINS6_10device_ptrIjEEEENSD_INSE_IS9_EEEEjNS1_19radix_merge_compareILb0ELb1EjNS0_19identity_decomposerEEEEE10hipError_tT0_T1_T2_jT3_P12ihipStream_tbPNSt15iterator_traitsISN_E10value_typeEPNST_ISO_E10value_typeEPSP_NS1_7vsmem_tEENKUlT_SN_SO_SP_E_clIPjSG_PS9_SI_EESM_S12_SN_SO_SP_EUlS12_E_NS1_11comp_targetILNS1_3genE5ELNS1_11target_archE942ELNS1_3gpuE9ELNS1_3repE0EEENS1_48merge_mergepath_partition_config_static_selectorELNS0_4arch9wavefront6targetE1EEEvSO_: ; @_ZN7rocprim17ROCPRIM_400000_NS6detail17trampoline_kernelINS0_14default_configENS1_38merge_sort_block_merge_config_selectorIjN6thrust23THRUST_200600_302600_NS5tupleIffNS6_9null_typeES8_S8_S8_S8_S8_S8_S8_EEEEZZNS1_27merge_sort_block_merge_implIS3_NS6_6detail15normal_iteratorINS6_10device_ptrIjEEEENSD_INSE_IS9_EEEEjNS1_19radix_merge_compareILb0ELb1EjNS0_19identity_decomposerEEEEE10hipError_tT0_T1_T2_jT3_P12ihipStream_tbPNSt15iterator_traitsISN_E10value_typeEPNST_ISO_E10value_typeEPSP_NS1_7vsmem_tEENKUlT_SN_SO_SP_E_clIPjSG_PS9_SI_EESM_S12_SN_SO_SP_EUlS12_E_NS1_11comp_targetILNS1_3genE5ELNS1_11target_archE942ELNS1_3gpuE9ELNS1_3repE0EEENS1_48merge_mergepath_partition_config_static_selectorELNS0_4arch9wavefront6targetE1EEEvSO_
; %bb.0:
	.section	.rodata,"a",@progbits
	.p2align	6, 0x0
	.amdhsa_kernel _ZN7rocprim17ROCPRIM_400000_NS6detail17trampoline_kernelINS0_14default_configENS1_38merge_sort_block_merge_config_selectorIjN6thrust23THRUST_200600_302600_NS5tupleIffNS6_9null_typeES8_S8_S8_S8_S8_S8_S8_EEEEZZNS1_27merge_sort_block_merge_implIS3_NS6_6detail15normal_iteratorINS6_10device_ptrIjEEEENSD_INSE_IS9_EEEEjNS1_19radix_merge_compareILb0ELb1EjNS0_19identity_decomposerEEEEE10hipError_tT0_T1_T2_jT3_P12ihipStream_tbPNSt15iterator_traitsISN_E10value_typeEPNST_ISO_E10value_typeEPSP_NS1_7vsmem_tEENKUlT_SN_SO_SP_E_clIPjSG_PS9_SI_EESM_S12_SN_SO_SP_EUlS12_E_NS1_11comp_targetILNS1_3genE5ELNS1_11target_archE942ELNS1_3gpuE9ELNS1_3repE0EEENS1_48merge_mergepath_partition_config_static_selectorELNS0_4arch9wavefront6targetE1EEEvSO_
		.amdhsa_group_segment_fixed_size 0
		.amdhsa_private_segment_fixed_size 0
		.amdhsa_kernarg_size 40
		.amdhsa_user_sgpr_count 6
		.amdhsa_user_sgpr_private_segment_buffer 1
		.amdhsa_user_sgpr_dispatch_ptr 0
		.amdhsa_user_sgpr_queue_ptr 0
		.amdhsa_user_sgpr_kernarg_segment_ptr 1
		.amdhsa_user_sgpr_dispatch_id 0
		.amdhsa_user_sgpr_flat_scratch_init 0
		.amdhsa_user_sgpr_kernarg_preload_length 0
		.amdhsa_user_sgpr_kernarg_preload_offset 0
		.amdhsa_user_sgpr_private_segment_size 0
		.amdhsa_uses_dynamic_stack 0
		.amdhsa_system_sgpr_private_segment_wavefront_offset 0
		.amdhsa_system_sgpr_workgroup_id_x 1
		.amdhsa_system_sgpr_workgroup_id_y 0
		.amdhsa_system_sgpr_workgroup_id_z 0
		.amdhsa_system_sgpr_workgroup_info 0
		.amdhsa_system_vgpr_workitem_id 0
		.amdhsa_next_free_vgpr 1
		.amdhsa_next_free_sgpr 0
		.amdhsa_accum_offset 4
		.amdhsa_reserve_vcc 0
		.amdhsa_reserve_flat_scratch 0
		.amdhsa_float_round_mode_32 0
		.amdhsa_float_round_mode_16_64 0
		.amdhsa_float_denorm_mode_32 3
		.amdhsa_float_denorm_mode_16_64 3
		.amdhsa_dx10_clamp 1
		.amdhsa_ieee_mode 1
		.amdhsa_fp16_overflow 0
		.amdhsa_tg_split 0
		.amdhsa_exception_fp_ieee_invalid_op 0
		.amdhsa_exception_fp_denorm_src 0
		.amdhsa_exception_fp_ieee_div_zero 0
		.amdhsa_exception_fp_ieee_overflow 0
		.amdhsa_exception_fp_ieee_underflow 0
		.amdhsa_exception_fp_ieee_inexact 0
		.amdhsa_exception_int_div_zero 0
	.end_amdhsa_kernel
	.section	.text._ZN7rocprim17ROCPRIM_400000_NS6detail17trampoline_kernelINS0_14default_configENS1_38merge_sort_block_merge_config_selectorIjN6thrust23THRUST_200600_302600_NS5tupleIffNS6_9null_typeES8_S8_S8_S8_S8_S8_S8_EEEEZZNS1_27merge_sort_block_merge_implIS3_NS6_6detail15normal_iteratorINS6_10device_ptrIjEEEENSD_INSE_IS9_EEEEjNS1_19radix_merge_compareILb0ELb1EjNS0_19identity_decomposerEEEEE10hipError_tT0_T1_T2_jT3_P12ihipStream_tbPNSt15iterator_traitsISN_E10value_typeEPNST_ISO_E10value_typeEPSP_NS1_7vsmem_tEENKUlT_SN_SO_SP_E_clIPjSG_PS9_SI_EESM_S12_SN_SO_SP_EUlS12_E_NS1_11comp_targetILNS1_3genE5ELNS1_11target_archE942ELNS1_3gpuE9ELNS1_3repE0EEENS1_48merge_mergepath_partition_config_static_selectorELNS0_4arch9wavefront6targetE1EEEvSO_,"axG",@progbits,_ZN7rocprim17ROCPRIM_400000_NS6detail17trampoline_kernelINS0_14default_configENS1_38merge_sort_block_merge_config_selectorIjN6thrust23THRUST_200600_302600_NS5tupleIffNS6_9null_typeES8_S8_S8_S8_S8_S8_S8_EEEEZZNS1_27merge_sort_block_merge_implIS3_NS6_6detail15normal_iteratorINS6_10device_ptrIjEEEENSD_INSE_IS9_EEEEjNS1_19radix_merge_compareILb0ELb1EjNS0_19identity_decomposerEEEEE10hipError_tT0_T1_T2_jT3_P12ihipStream_tbPNSt15iterator_traitsISN_E10value_typeEPNST_ISO_E10value_typeEPSP_NS1_7vsmem_tEENKUlT_SN_SO_SP_E_clIPjSG_PS9_SI_EESM_S12_SN_SO_SP_EUlS12_E_NS1_11comp_targetILNS1_3genE5ELNS1_11target_archE942ELNS1_3gpuE9ELNS1_3repE0EEENS1_48merge_mergepath_partition_config_static_selectorELNS0_4arch9wavefront6targetE1EEEvSO_,comdat
.Lfunc_end93:
	.size	_ZN7rocprim17ROCPRIM_400000_NS6detail17trampoline_kernelINS0_14default_configENS1_38merge_sort_block_merge_config_selectorIjN6thrust23THRUST_200600_302600_NS5tupleIffNS6_9null_typeES8_S8_S8_S8_S8_S8_S8_EEEEZZNS1_27merge_sort_block_merge_implIS3_NS6_6detail15normal_iteratorINS6_10device_ptrIjEEEENSD_INSE_IS9_EEEEjNS1_19radix_merge_compareILb0ELb1EjNS0_19identity_decomposerEEEEE10hipError_tT0_T1_T2_jT3_P12ihipStream_tbPNSt15iterator_traitsISN_E10value_typeEPNST_ISO_E10value_typeEPSP_NS1_7vsmem_tEENKUlT_SN_SO_SP_E_clIPjSG_PS9_SI_EESM_S12_SN_SO_SP_EUlS12_E_NS1_11comp_targetILNS1_3genE5ELNS1_11target_archE942ELNS1_3gpuE9ELNS1_3repE0EEENS1_48merge_mergepath_partition_config_static_selectorELNS0_4arch9wavefront6targetE1EEEvSO_, .Lfunc_end93-_ZN7rocprim17ROCPRIM_400000_NS6detail17trampoline_kernelINS0_14default_configENS1_38merge_sort_block_merge_config_selectorIjN6thrust23THRUST_200600_302600_NS5tupleIffNS6_9null_typeES8_S8_S8_S8_S8_S8_S8_EEEEZZNS1_27merge_sort_block_merge_implIS3_NS6_6detail15normal_iteratorINS6_10device_ptrIjEEEENSD_INSE_IS9_EEEEjNS1_19radix_merge_compareILb0ELb1EjNS0_19identity_decomposerEEEEE10hipError_tT0_T1_T2_jT3_P12ihipStream_tbPNSt15iterator_traitsISN_E10value_typeEPNST_ISO_E10value_typeEPSP_NS1_7vsmem_tEENKUlT_SN_SO_SP_E_clIPjSG_PS9_SI_EESM_S12_SN_SO_SP_EUlS12_E_NS1_11comp_targetILNS1_3genE5ELNS1_11target_archE942ELNS1_3gpuE9ELNS1_3repE0EEENS1_48merge_mergepath_partition_config_static_selectorELNS0_4arch9wavefront6targetE1EEEvSO_
                                        ; -- End function
	.section	.AMDGPU.csdata,"",@progbits
; Kernel info:
; codeLenInByte = 0
; NumSgprs: 4
; NumVgprs: 0
; NumAgprs: 0
; TotalNumVgprs: 0
; ScratchSize: 0
; MemoryBound: 0
; FloatMode: 240
; IeeeMode: 1
; LDSByteSize: 0 bytes/workgroup (compile time only)
; SGPRBlocks: 0
; VGPRBlocks: 0
; NumSGPRsForWavesPerEU: 4
; NumVGPRsForWavesPerEU: 1
; AccumOffset: 4
; Occupancy: 8
; WaveLimiterHint : 0
; COMPUTE_PGM_RSRC2:SCRATCH_EN: 0
; COMPUTE_PGM_RSRC2:USER_SGPR: 6
; COMPUTE_PGM_RSRC2:TRAP_HANDLER: 0
; COMPUTE_PGM_RSRC2:TGID_X_EN: 1
; COMPUTE_PGM_RSRC2:TGID_Y_EN: 0
; COMPUTE_PGM_RSRC2:TGID_Z_EN: 0
; COMPUTE_PGM_RSRC2:TIDIG_COMP_CNT: 0
; COMPUTE_PGM_RSRC3_GFX90A:ACCUM_OFFSET: 0
; COMPUTE_PGM_RSRC3_GFX90A:TG_SPLIT: 0
	.section	.text._ZN7rocprim17ROCPRIM_400000_NS6detail17trampoline_kernelINS0_14default_configENS1_38merge_sort_block_merge_config_selectorIjN6thrust23THRUST_200600_302600_NS5tupleIffNS6_9null_typeES8_S8_S8_S8_S8_S8_S8_EEEEZZNS1_27merge_sort_block_merge_implIS3_NS6_6detail15normal_iteratorINS6_10device_ptrIjEEEENSD_INSE_IS9_EEEEjNS1_19radix_merge_compareILb0ELb1EjNS0_19identity_decomposerEEEEE10hipError_tT0_T1_T2_jT3_P12ihipStream_tbPNSt15iterator_traitsISN_E10value_typeEPNST_ISO_E10value_typeEPSP_NS1_7vsmem_tEENKUlT_SN_SO_SP_E_clIPjSG_PS9_SI_EESM_S12_SN_SO_SP_EUlS12_E_NS1_11comp_targetILNS1_3genE4ELNS1_11target_archE910ELNS1_3gpuE8ELNS1_3repE0EEENS1_48merge_mergepath_partition_config_static_selectorELNS0_4arch9wavefront6targetE1EEEvSO_,"axG",@progbits,_ZN7rocprim17ROCPRIM_400000_NS6detail17trampoline_kernelINS0_14default_configENS1_38merge_sort_block_merge_config_selectorIjN6thrust23THRUST_200600_302600_NS5tupleIffNS6_9null_typeES8_S8_S8_S8_S8_S8_S8_EEEEZZNS1_27merge_sort_block_merge_implIS3_NS6_6detail15normal_iteratorINS6_10device_ptrIjEEEENSD_INSE_IS9_EEEEjNS1_19radix_merge_compareILb0ELb1EjNS0_19identity_decomposerEEEEE10hipError_tT0_T1_T2_jT3_P12ihipStream_tbPNSt15iterator_traitsISN_E10value_typeEPNST_ISO_E10value_typeEPSP_NS1_7vsmem_tEENKUlT_SN_SO_SP_E_clIPjSG_PS9_SI_EESM_S12_SN_SO_SP_EUlS12_E_NS1_11comp_targetILNS1_3genE4ELNS1_11target_archE910ELNS1_3gpuE8ELNS1_3repE0EEENS1_48merge_mergepath_partition_config_static_selectorELNS0_4arch9wavefront6targetE1EEEvSO_,comdat
	.protected	_ZN7rocprim17ROCPRIM_400000_NS6detail17trampoline_kernelINS0_14default_configENS1_38merge_sort_block_merge_config_selectorIjN6thrust23THRUST_200600_302600_NS5tupleIffNS6_9null_typeES8_S8_S8_S8_S8_S8_S8_EEEEZZNS1_27merge_sort_block_merge_implIS3_NS6_6detail15normal_iteratorINS6_10device_ptrIjEEEENSD_INSE_IS9_EEEEjNS1_19radix_merge_compareILb0ELb1EjNS0_19identity_decomposerEEEEE10hipError_tT0_T1_T2_jT3_P12ihipStream_tbPNSt15iterator_traitsISN_E10value_typeEPNST_ISO_E10value_typeEPSP_NS1_7vsmem_tEENKUlT_SN_SO_SP_E_clIPjSG_PS9_SI_EESM_S12_SN_SO_SP_EUlS12_E_NS1_11comp_targetILNS1_3genE4ELNS1_11target_archE910ELNS1_3gpuE8ELNS1_3repE0EEENS1_48merge_mergepath_partition_config_static_selectorELNS0_4arch9wavefront6targetE1EEEvSO_ ; -- Begin function _ZN7rocprim17ROCPRIM_400000_NS6detail17trampoline_kernelINS0_14default_configENS1_38merge_sort_block_merge_config_selectorIjN6thrust23THRUST_200600_302600_NS5tupleIffNS6_9null_typeES8_S8_S8_S8_S8_S8_S8_EEEEZZNS1_27merge_sort_block_merge_implIS3_NS6_6detail15normal_iteratorINS6_10device_ptrIjEEEENSD_INSE_IS9_EEEEjNS1_19radix_merge_compareILb0ELb1EjNS0_19identity_decomposerEEEEE10hipError_tT0_T1_T2_jT3_P12ihipStream_tbPNSt15iterator_traitsISN_E10value_typeEPNST_ISO_E10value_typeEPSP_NS1_7vsmem_tEENKUlT_SN_SO_SP_E_clIPjSG_PS9_SI_EESM_S12_SN_SO_SP_EUlS12_E_NS1_11comp_targetILNS1_3genE4ELNS1_11target_archE910ELNS1_3gpuE8ELNS1_3repE0EEENS1_48merge_mergepath_partition_config_static_selectorELNS0_4arch9wavefront6targetE1EEEvSO_
	.globl	_ZN7rocprim17ROCPRIM_400000_NS6detail17trampoline_kernelINS0_14default_configENS1_38merge_sort_block_merge_config_selectorIjN6thrust23THRUST_200600_302600_NS5tupleIffNS6_9null_typeES8_S8_S8_S8_S8_S8_S8_EEEEZZNS1_27merge_sort_block_merge_implIS3_NS6_6detail15normal_iteratorINS6_10device_ptrIjEEEENSD_INSE_IS9_EEEEjNS1_19radix_merge_compareILb0ELb1EjNS0_19identity_decomposerEEEEE10hipError_tT0_T1_T2_jT3_P12ihipStream_tbPNSt15iterator_traitsISN_E10value_typeEPNST_ISO_E10value_typeEPSP_NS1_7vsmem_tEENKUlT_SN_SO_SP_E_clIPjSG_PS9_SI_EESM_S12_SN_SO_SP_EUlS12_E_NS1_11comp_targetILNS1_3genE4ELNS1_11target_archE910ELNS1_3gpuE8ELNS1_3repE0EEENS1_48merge_mergepath_partition_config_static_selectorELNS0_4arch9wavefront6targetE1EEEvSO_
	.p2align	8
	.type	_ZN7rocprim17ROCPRIM_400000_NS6detail17trampoline_kernelINS0_14default_configENS1_38merge_sort_block_merge_config_selectorIjN6thrust23THRUST_200600_302600_NS5tupleIffNS6_9null_typeES8_S8_S8_S8_S8_S8_S8_EEEEZZNS1_27merge_sort_block_merge_implIS3_NS6_6detail15normal_iteratorINS6_10device_ptrIjEEEENSD_INSE_IS9_EEEEjNS1_19radix_merge_compareILb0ELb1EjNS0_19identity_decomposerEEEEE10hipError_tT0_T1_T2_jT3_P12ihipStream_tbPNSt15iterator_traitsISN_E10value_typeEPNST_ISO_E10value_typeEPSP_NS1_7vsmem_tEENKUlT_SN_SO_SP_E_clIPjSG_PS9_SI_EESM_S12_SN_SO_SP_EUlS12_E_NS1_11comp_targetILNS1_3genE4ELNS1_11target_archE910ELNS1_3gpuE8ELNS1_3repE0EEENS1_48merge_mergepath_partition_config_static_selectorELNS0_4arch9wavefront6targetE1EEEvSO_,@function
_ZN7rocprim17ROCPRIM_400000_NS6detail17trampoline_kernelINS0_14default_configENS1_38merge_sort_block_merge_config_selectorIjN6thrust23THRUST_200600_302600_NS5tupleIffNS6_9null_typeES8_S8_S8_S8_S8_S8_S8_EEEEZZNS1_27merge_sort_block_merge_implIS3_NS6_6detail15normal_iteratorINS6_10device_ptrIjEEEENSD_INSE_IS9_EEEEjNS1_19radix_merge_compareILb0ELb1EjNS0_19identity_decomposerEEEEE10hipError_tT0_T1_T2_jT3_P12ihipStream_tbPNSt15iterator_traitsISN_E10value_typeEPNST_ISO_E10value_typeEPSP_NS1_7vsmem_tEENKUlT_SN_SO_SP_E_clIPjSG_PS9_SI_EESM_S12_SN_SO_SP_EUlS12_E_NS1_11comp_targetILNS1_3genE4ELNS1_11target_archE910ELNS1_3gpuE8ELNS1_3repE0EEENS1_48merge_mergepath_partition_config_static_selectorELNS0_4arch9wavefront6targetE1EEEvSO_: ; @_ZN7rocprim17ROCPRIM_400000_NS6detail17trampoline_kernelINS0_14default_configENS1_38merge_sort_block_merge_config_selectorIjN6thrust23THRUST_200600_302600_NS5tupleIffNS6_9null_typeES8_S8_S8_S8_S8_S8_S8_EEEEZZNS1_27merge_sort_block_merge_implIS3_NS6_6detail15normal_iteratorINS6_10device_ptrIjEEEENSD_INSE_IS9_EEEEjNS1_19radix_merge_compareILb0ELb1EjNS0_19identity_decomposerEEEEE10hipError_tT0_T1_T2_jT3_P12ihipStream_tbPNSt15iterator_traitsISN_E10value_typeEPNST_ISO_E10value_typeEPSP_NS1_7vsmem_tEENKUlT_SN_SO_SP_E_clIPjSG_PS9_SI_EESM_S12_SN_SO_SP_EUlS12_E_NS1_11comp_targetILNS1_3genE4ELNS1_11target_archE910ELNS1_3gpuE8ELNS1_3repE0EEENS1_48merge_mergepath_partition_config_static_selectorELNS0_4arch9wavefront6targetE1EEEvSO_
; %bb.0:
	s_load_dword s0, s[4:5], 0x0
	v_lshl_or_b32 v0, s6, 7, v0
	s_waitcnt lgkmcnt(0)
	v_cmp_gt_u32_e32 vcc, s0, v0
	s_and_saveexec_b64 s[0:1], vcc
	s_cbranch_execz .LBB94_6
; %bb.1:
	s_load_dwordx2 s[2:3], s[4:5], 0x4
	s_load_dwordx2 s[0:1], s[4:5], 0x20
	s_waitcnt lgkmcnt(0)
	s_lshr_b32 s6, s2, 9
	s_and_b32 s6, s6, 0x7ffffe
	s_add_i32 s7, s6, -1
	s_sub_i32 s6, 0, s6
	v_and_b32_e32 v1, s6, v0
	v_lshlrev_b32_e32 v1, 10, v1
	v_min_u32_e32 v2, s3, v1
	v_add_u32_e32 v1, s2, v1
	v_min_u32_e32 v4, s3, v1
	v_add_u32_e32 v1, s2, v4
	v_and_b32_e32 v3, s7, v0
	v_min_u32_e32 v1, s3, v1
	v_sub_u32_e32 v5, v1, v2
	v_lshlrev_b32_e32 v3, 10, v3
	v_min_u32_e32 v6, v5, v3
	v_sub_u32_e32 v3, v4, v2
	v_sub_u32_e32 v1, v1, v4
	v_sub_u32_e64 v1, v6, v1 clamp
	v_min_u32_e32 v7, v6, v3
	v_cmp_lt_u32_e32 vcc, v1, v7
	s_and_saveexec_b64 s[2:3], vcc
	s_cbranch_execz .LBB94_5
; %bb.2:
	s_load_dwordx2 s[8:9], s[4:5], 0x10
	s_load_dword s6, s[4:5], 0x18
	v_mov_b32_e32 v5, 0
	v_mov_b32_e32 v3, v5
	v_lshlrev_b64 v[8:9], 2, v[2:3]
	s_waitcnt lgkmcnt(0)
	v_mov_b32_e32 v12, s9
	v_add_co_u32_e32 v3, vcc, s8, v8
	v_addc_co_u32_e32 v8, vcc, v12, v9, vcc
	v_lshlrev_b64 v[10:11], 2, v[4:5]
	v_add_co_u32_e32 v9, vcc, s8, v10
	v_addc_co_u32_e32 v10, vcc, v12, v11, vcc
	s_mov_b64 s[4:5], 0
.LBB94_3:                               ; =>This Inner Loop Header: Depth=1
	v_add_u32_e32 v4, v7, v1
	v_lshrrev_b32_e32 v4, 1, v4
	v_lshlrev_b64 v[14:15], 2, v[4:5]
	v_mov_b32_e32 v13, v5
	v_xad_u32 v12, v4, -1, v6
	v_add_co_u32_e32 v14, vcc, v3, v14
	v_addc_co_u32_e32 v15, vcc, v8, v15, vcc
	v_lshlrev_b64 v[12:13], 2, v[12:13]
	v_add_co_u32_e32 v12, vcc, v9, v12
	v_addc_co_u32_e32 v13, vcc, v10, v13, vcc
	global_load_dword v11, v[14:15], off
	global_load_dword v16, v[12:13], off
	v_add_u32_e32 v12, 1, v4
	s_waitcnt vmcnt(1)
	v_and_b32_e32 v11, s6, v11
	s_waitcnt vmcnt(0)
	v_and_b32_e32 v13, s6, v16
	v_cmp_gt_u32_e32 vcc, v11, v13
	v_cndmask_b32_e32 v7, v7, v4, vcc
	v_cndmask_b32_e32 v1, v12, v1, vcc
	v_cmp_ge_u32_e32 vcc, v1, v7
	s_or_b64 s[4:5], vcc, s[4:5]
	s_andn2_b64 exec, exec, s[4:5]
	s_cbranch_execnz .LBB94_3
; %bb.4:
	s_or_b64 exec, exec, s[4:5]
.LBB94_5:
	s_or_b64 exec, exec, s[2:3]
	v_add_u32_e32 v2, v1, v2
	v_mov_b32_e32 v1, 0
	v_lshlrev_b64 v[0:1], 2, v[0:1]
	v_mov_b32_e32 v3, s1
	v_add_co_u32_e32 v0, vcc, s0, v0
	v_addc_co_u32_e32 v1, vcc, v3, v1, vcc
	global_store_dword v[0:1], v2, off
.LBB94_6:
	s_endpgm
	.section	.rodata,"a",@progbits
	.p2align	6, 0x0
	.amdhsa_kernel _ZN7rocprim17ROCPRIM_400000_NS6detail17trampoline_kernelINS0_14default_configENS1_38merge_sort_block_merge_config_selectorIjN6thrust23THRUST_200600_302600_NS5tupleIffNS6_9null_typeES8_S8_S8_S8_S8_S8_S8_EEEEZZNS1_27merge_sort_block_merge_implIS3_NS6_6detail15normal_iteratorINS6_10device_ptrIjEEEENSD_INSE_IS9_EEEEjNS1_19radix_merge_compareILb0ELb1EjNS0_19identity_decomposerEEEEE10hipError_tT0_T1_T2_jT3_P12ihipStream_tbPNSt15iterator_traitsISN_E10value_typeEPNST_ISO_E10value_typeEPSP_NS1_7vsmem_tEENKUlT_SN_SO_SP_E_clIPjSG_PS9_SI_EESM_S12_SN_SO_SP_EUlS12_E_NS1_11comp_targetILNS1_3genE4ELNS1_11target_archE910ELNS1_3gpuE8ELNS1_3repE0EEENS1_48merge_mergepath_partition_config_static_selectorELNS0_4arch9wavefront6targetE1EEEvSO_
		.amdhsa_group_segment_fixed_size 0
		.amdhsa_private_segment_fixed_size 0
		.amdhsa_kernarg_size 40
		.amdhsa_user_sgpr_count 6
		.amdhsa_user_sgpr_private_segment_buffer 1
		.amdhsa_user_sgpr_dispatch_ptr 0
		.amdhsa_user_sgpr_queue_ptr 0
		.amdhsa_user_sgpr_kernarg_segment_ptr 1
		.amdhsa_user_sgpr_dispatch_id 0
		.amdhsa_user_sgpr_flat_scratch_init 0
		.amdhsa_user_sgpr_kernarg_preload_length 0
		.amdhsa_user_sgpr_kernarg_preload_offset 0
		.amdhsa_user_sgpr_private_segment_size 0
		.amdhsa_uses_dynamic_stack 0
		.amdhsa_system_sgpr_private_segment_wavefront_offset 0
		.amdhsa_system_sgpr_workgroup_id_x 1
		.amdhsa_system_sgpr_workgroup_id_y 0
		.amdhsa_system_sgpr_workgroup_id_z 0
		.amdhsa_system_sgpr_workgroup_info 0
		.amdhsa_system_vgpr_workitem_id 0
		.amdhsa_next_free_vgpr 17
		.amdhsa_next_free_sgpr 10
		.amdhsa_accum_offset 20
		.amdhsa_reserve_vcc 1
		.amdhsa_reserve_flat_scratch 0
		.amdhsa_float_round_mode_32 0
		.amdhsa_float_round_mode_16_64 0
		.amdhsa_float_denorm_mode_32 3
		.amdhsa_float_denorm_mode_16_64 3
		.amdhsa_dx10_clamp 1
		.amdhsa_ieee_mode 1
		.amdhsa_fp16_overflow 0
		.amdhsa_tg_split 0
		.amdhsa_exception_fp_ieee_invalid_op 0
		.amdhsa_exception_fp_denorm_src 0
		.amdhsa_exception_fp_ieee_div_zero 0
		.amdhsa_exception_fp_ieee_overflow 0
		.amdhsa_exception_fp_ieee_underflow 0
		.amdhsa_exception_fp_ieee_inexact 0
		.amdhsa_exception_int_div_zero 0
	.end_amdhsa_kernel
	.section	.text._ZN7rocprim17ROCPRIM_400000_NS6detail17trampoline_kernelINS0_14default_configENS1_38merge_sort_block_merge_config_selectorIjN6thrust23THRUST_200600_302600_NS5tupleIffNS6_9null_typeES8_S8_S8_S8_S8_S8_S8_EEEEZZNS1_27merge_sort_block_merge_implIS3_NS6_6detail15normal_iteratorINS6_10device_ptrIjEEEENSD_INSE_IS9_EEEEjNS1_19radix_merge_compareILb0ELb1EjNS0_19identity_decomposerEEEEE10hipError_tT0_T1_T2_jT3_P12ihipStream_tbPNSt15iterator_traitsISN_E10value_typeEPNST_ISO_E10value_typeEPSP_NS1_7vsmem_tEENKUlT_SN_SO_SP_E_clIPjSG_PS9_SI_EESM_S12_SN_SO_SP_EUlS12_E_NS1_11comp_targetILNS1_3genE4ELNS1_11target_archE910ELNS1_3gpuE8ELNS1_3repE0EEENS1_48merge_mergepath_partition_config_static_selectorELNS0_4arch9wavefront6targetE1EEEvSO_,"axG",@progbits,_ZN7rocprim17ROCPRIM_400000_NS6detail17trampoline_kernelINS0_14default_configENS1_38merge_sort_block_merge_config_selectorIjN6thrust23THRUST_200600_302600_NS5tupleIffNS6_9null_typeES8_S8_S8_S8_S8_S8_S8_EEEEZZNS1_27merge_sort_block_merge_implIS3_NS6_6detail15normal_iteratorINS6_10device_ptrIjEEEENSD_INSE_IS9_EEEEjNS1_19radix_merge_compareILb0ELb1EjNS0_19identity_decomposerEEEEE10hipError_tT0_T1_T2_jT3_P12ihipStream_tbPNSt15iterator_traitsISN_E10value_typeEPNST_ISO_E10value_typeEPSP_NS1_7vsmem_tEENKUlT_SN_SO_SP_E_clIPjSG_PS9_SI_EESM_S12_SN_SO_SP_EUlS12_E_NS1_11comp_targetILNS1_3genE4ELNS1_11target_archE910ELNS1_3gpuE8ELNS1_3repE0EEENS1_48merge_mergepath_partition_config_static_selectorELNS0_4arch9wavefront6targetE1EEEvSO_,comdat
.Lfunc_end94:
	.size	_ZN7rocprim17ROCPRIM_400000_NS6detail17trampoline_kernelINS0_14default_configENS1_38merge_sort_block_merge_config_selectorIjN6thrust23THRUST_200600_302600_NS5tupleIffNS6_9null_typeES8_S8_S8_S8_S8_S8_S8_EEEEZZNS1_27merge_sort_block_merge_implIS3_NS6_6detail15normal_iteratorINS6_10device_ptrIjEEEENSD_INSE_IS9_EEEEjNS1_19radix_merge_compareILb0ELb1EjNS0_19identity_decomposerEEEEE10hipError_tT0_T1_T2_jT3_P12ihipStream_tbPNSt15iterator_traitsISN_E10value_typeEPNST_ISO_E10value_typeEPSP_NS1_7vsmem_tEENKUlT_SN_SO_SP_E_clIPjSG_PS9_SI_EESM_S12_SN_SO_SP_EUlS12_E_NS1_11comp_targetILNS1_3genE4ELNS1_11target_archE910ELNS1_3gpuE8ELNS1_3repE0EEENS1_48merge_mergepath_partition_config_static_selectorELNS0_4arch9wavefront6targetE1EEEvSO_, .Lfunc_end94-_ZN7rocprim17ROCPRIM_400000_NS6detail17trampoline_kernelINS0_14default_configENS1_38merge_sort_block_merge_config_selectorIjN6thrust23THRUST_200600_302600_NS5tupleIffNS6_9null_typeES8_S8_S8_S8_S8_S8_S8_EEEEZZNS1_27merge_sort_block_merge_implIS3_NS6_6detail15normal_iteratorINS6_10device_ptrIjEEEENSD_INSE_IS9_EEEEjNS1_19radix_merge_compareILb0ELb1EjNS0_19identity_decomposerEEEEE10hipError_tT0_T1_T2_jT3_P12ihipStream_tbPNSt15iterator_traitsISN_E10value_typeEPNST_ISO_E10value_typeEPSP_NS1_7vsmem_tEENKUlT_SN_SO_SP_E_clIPjSG_PS9_SI_EESM_S12_SN_SO_SP_EUlS12_E_NS1_11comp_targetILNS1_3genE4ELNS1_11target_archE910ELNS1_3gpuE8ELNS1_3repE0EEENS1_48merge_mergepath_partition_config_static_selectorELNS0_4arch9wavefront6targetE1EEEvSO_
                                        ; -- End function
	.section	.AMDGPU.csdata,"",@progbits
; Kernel info:
; codeLenInByte = 380
; NumSgprs: 14
; NumVgprs: 17
; NumAgprs: 0
; TotalNumVgprs: 17
; ScratchSize: 0
; MemoryBound: 0
; FloatMode: 240
; IeeeMode: 1
; LDSByteSize: 0 bytes/workgroup (compile time only)
; SGPRBlocks: 1
; VGPRBlocks: 2
; NumSGPRsForWavesPerEU: 14
; NumVGPRsForWavesPerEU: 17
; AccumOffset: 20
; Occupancy: 8
; WaveLimiterHint : 0
; COMPUTE_PGM_RSRC2:SCRATCH_EN: 0
; COMPUTE_PGM_RSRC2:USER_SGPR: 6
; COMPUTE_PGM_RSRC2:TRAP_HANDLER: 0
; COMPUTE_PGM_RSRC2:TGID_X_EN: 1
; COMPUTE_PGM_RSRC2:TGID_Y_EN: 0
; COMPUTE_PGM_RSRC2:TGID_Z_EN: 0
; COMPUTE_PGM_RSRC2:TIDIG_COMP_CNT: 0
; COMPUTE_PGM_RSRC3_GFX90A:ACCUM_OFFSET: 4
; COMPUTE_PGM_RSRC3_GFX90A:TG_SPLIT: 0
	.section	.text._ZN7rocprim17ROCPRIM_400000_NS6detail17trampoline_kernelINS0_14default_configENS1_38merge_sort_block_merge_config_selectorIjN6thrust23THRUST_200600_302600_NS5tupleIffNS6_9null_typeES8_S8_S8_S8_S8_S8_S8_EEEEZZNS1_27merge_sort_block_merge_implIS3_NS6_6detail15normal_iteratorINS6_10device_ptrIjEEEENSD_INSE_IS9_EEEEjNS1_19radix_merge_compareILb0ELb1EjNS0_19identity_decomposerEEEEE10hipError_tT0_T1_T2_jT3_P12ihipStream_tbPNSt15iterator_traitsISN_E10value_typeEPNST_ISO_E10value_typeEPSP_NS1_7vsmem_tEENKUlT_SN_SO_SP_E_clIPjSG_PS9_SI_EESM_S12_SN_SO_SP_EUlS12_E_NS1_11comp_targetILNS1_3genE3ELNS1_11target_archE908ELNS1_3gpuE7ELNS1_3repE0EEENS1_48merge_mergepath_partition_config_static_selectorELNS0_4arch9wavefront6targetE1EEEvSO_,"axG",@progbits,_ZN7rocprim17ROCPRIM_400000_NS6detail17trampoline_kernelINS0_14default_configENS1_38merge_sort_block_merge_config_selectorIjN6thrust23THRUST_200600_302600_NS5tupleIffNS6_9null_typeES8_S8_S8_S8_S8_S8_S8_EEEEZZNS1_27merge_sort_block_merge_implIS3_NS6_6detail15normal_iteratorINS6_10device_ptrIjEEEENSD_INSE_IS9_EEEEjNS1_19radix_merge_compareILb0ELb1EjNS0_19identity_decomposerEEEEE10hipError_tT0_T1_T2_jT3_P12ihipStream_tbPNSt15iterator_traitsISN_E10value_typeEPNST_ISO_E10value_typeEPSP_NS1_7vsmem_tEENKUlT_SN_SO_SP_E_clIPjSG_PS9_SI_EESM_S12_SN_SO_SP_EUlS12_E_NS1_11comp_targetILNS1_3genE3ELNS1_11target_archE908ELNS1_3gpuE7ELNS1_3repE0EEENS1_48merge_mergepath_partition_config_static_selectorELNS0_4arch9wavefront6targetE1EEEvSO_,comdat
	.protected	_ZN7rocprim17ROCPRIM_400000_NS6detail17trampoline_kernelINS0_14default_configENS1_38merge_sort_block_merge_config_selectorIjN6thrust23THRUST_200600_302600_NS5tupleIffNS6_9null_typeES8_S8_S8_S8_S8_S8_S8_EEEEZZNS1_27merge_sort_block_merge_implIS3_NS6_6detail15normal_iteratorINS6_10device_ptrIjEEEENSD_INSE_IS9_EEEEjNS1_19radix_merge_compareILb0ELb1EjNS0_19identity_decomposerEEEEE10hipError_tT0_T1_T2_jT3_P12ihipStream_tbPNSt15iterator_traitsISN_E10value_typeEPNST_ISO_E10value_typeEPSP_NS1_7vsmem_tEENKUlT_SN_SO_SP_E_clIPjSG_PS9_SI_EESM_S12_SN_SO_SP_EUlS12_E_NS1_11comp_targetILNS1_3genE3ELNS1_11target_archE908ELNS1_3gpuE7ELNS1_3repE0EEENS1_48merge_mergepath_partition_config_static_selectorELNS0_4arch9wavefront6targetE1EEEvSO_ ; -- Begin function _ZN7rocprim17ROCPRIM_400000_NS6detail17trampoline_kernelINS0_14default_configENS1_38merge_sort_block_merge_config_selectorIjN6thrust23THRUST_200600_302600_NS5tupleIffNS6_9null_typeES8_S8_S8_S8_S8_S8_S8_EEEEZZNS1_27merge_sort_block_merge_implIS3_NS6_6detail15normal_iteratorINS6_10device_ptrIjEEEENSD_INSE_IS9_EEEEjNS1_19radix_merge_compareILb0ELb1EjNS0_19identity_decomposerEEEEE10hipError_tT0_T1_T2_jT3_P12ihipStream_tbPNSt15iterator_traitsISN_E10value_typeEPNST_ISO_E10value_typeEPSP_NS1_7vsmem_tEENKUlT_SN_SO_SP_E_clIPjSG_PS9_SI_EESM_S12_SN_SO_SP_EUlS12_E_NS1_11comp_targetILNS1_3genE3ELNS1_11target_archE908ELNS1_3gpuE7ELNS1_3repE0EEENS1_48merge_mergepath_partition_config_static_selectorELNS0_4arch9wavefront6targetE1EEEvSO_
	.globl	_ZN7rocprim17ROCPRIM_400000_NS6detail17trampoline_kernelINS0_14default_configENS1_38merge_sort_block_merge_config_selectorIjN6thrust23THRUST_200600_302600_NS5tupleIffNS6_9null_typeES8_S8_S8_S8_S8_S8_S8_EEEEZZNS1_27merge_sort_block_merge_implIS3_NS6_6detail15normal_iteratorINS6_10device_ptrIjEEEENSD_INSE_IS9_EEEEjNS1_19radix_merge_compareILb0ELb1EjNS0_19identity_decomposerEEEEE10hipError_tT0_T1_T2_jT3_P12ihipStream_tbPNSt15iterator_traitsISN_E10value_typeEPNST_ISO_E10value_typeEPSP_NS1_7vsmem_tEENKUlT_SN_SO_SP_E_clIPjSG_PS9_SI_EESM_S12_SN_SO_SP_EUlS12_E_NS1_11comp_targetILNS1_3genE3ELNS1_11target_archE908ELNS1_3gpuE7ELNS1_3repE0EEENS1_48merge_mergepath_partition_config_static_selectorELNS0_4arch9wavefront6targetE1EEEvSO_
	.p2align	8
	.type	_ZN7rocprim17ROCPRIM_400000_NS6detail17trampoline_kernelINS0_14default_configENS1_38merge_sort_block_merge_config_selectorIjN6thrust23THRUST_200600_302600_NS5tupleIffNS6_9null_typeES8_S8_S8_S8_S8_S8_S8_EEEEZZNS1_27merge_sort_block_merge_implIS3_NS6_6detail15normal_iteratorINS6_10device_ptrIjEEEENSD_INSE_IS9_EEEEjNS1_19radix_merge_compareILb0ELb1EjNS0_19identity_decomposerEEEEE10hipError_tT0_T1_T2_jT3_P12ihipStream_tbPNSt15iterator_traitsISN_E10value_typeEPNST_ISO_E10value_typeEPSP_NS1_7vsmem_tEENKUlT_SN_SO_SP_E_clIPjSG_PS9_SI_EESM_S12_SN_SO_SP_EUlS12_E_NS1_11comp_targetILNS1_3genE3ELNS1_11target_archE908ELNS1_3gpuE7ELNS1_3repE0EEENS1_48merge_mergepath_partition_config_static_selectorELNS0_4arch9wavefront6targetE1EEEvSO_,@function
_ZN7rocprim17ROCPRIM_400000_NS6detail17trampoline_kernelINS0_14default_configENS1_38merge_sort_block_merge_config_selectorIjN6thrust23THRUST_200600_302600_NS5tupleIffNS6_9null_typeES8_S8_S8_S8_S8_S8_S8_EEEEZZNS1_27merge_sort_block_merge_implIS3_NS6_6detail15normal_iteratorINS6_10device_ptrIjEEEENSD_INSE_IS9_EEEEjNS1_19radix_merge_compareILb0ELb1EjNS0_19identity_decomposerEEEEE10hipError_tT0_T1_T2_jT3_P12ihipStream_tbPNSt15iterator_traitsISN_E10value_typeEPNST_ISO_E10value_typeEPSP_NS1_7vsmem_tEENKUlT_SN_SO_SP_E_clIPjSG_PS9_SI_EESM_S12_SN_SO_SP_EUlS12_E_NS1_11comp_targetILNS1_3genE3ELNS1_11target_archE908ELNS1_3gpuE7ELNS1_3repE0EEENS1_48merge_mergepath_partition_config_static_selectorELNS0_4arch9wavefront6targetE1EEEvSO_: ; @_ZN7rocprim17ROCPRIM_400000_NS6detail17trampoline_kernelINS0_14default_configENS1_38merge_sort_block_merge_config_selectorIjN6thrust23THRUST_200600_302600_NS5tupleIffNS6_9null_typeES8_S8_S8_S8_S8_S8_S8_EEEEZZNS1_27merge_sort_block_merge_implIS3_NS6_6detail15normal_iteratorINS6_10device_ptrIjEEEENSD_INSE_IS9_EEEEjNS1_19radix_merge_compareILb0ELb1EjNS0_19identity_decomposerEEEEE10hipError_tT0_T1_T2_jT3_P12ihipStream_tbPNSt15iterator_traitsISN_E10value_typeEPNST_ISO_E10value_typeEPSP_NS1_7vsmem_tEENKUlT_SN_SO_SP_E_clIPjSG_PS9_SI_EESM_S12_SN_SO_SP_EUlS12_E_NS1_11comp_targetILNS1_3genE3ELNS1_11target_archE908ELNS1_3gpuE7ELNS1_3repE0EEENS1_48merge_mergepath_partition_config_static_selectorELNS0_4arch9wavefront6targetE1EEEvSO_
; %bb.0:
	.section	.rodata,"a",@progbits
	.p2align	6, 0x0
	.amdhsa_kernel _ZN7rocprim17ROCPRIM_400000_NS6detail17trampoline_kernelINS0_14default_configENS1_38merge_sort_block_merge_config_selectorIjN6thrust23THRUST_200600_302600_NS5tupleIffNS6_9null_typeES8_S8_S8_S8_S8_S8_S8_EEEEZZNS1_27merge_sort_block_merge_implIS3_NS6_6detail15normal_iteratorINS6_10device_ptrIjEEEENSD_INSE_IS9_EEEEjNS1_19radix_merge_compareILb0ELb1EjNS0_19identity_decomposerEEEEE10hipError_tT0_T1_T2_jT3_P12ihipStream_tbPNSt15iterator_traitsISN_E10value_typeEPNST_ISO_E10value_typeEPSP_NS1_7vsmem_tEENKUlT_SN_SO_SP_E_clIPjSG_PS9_SI_EESM_S12_SN_SO_SP_EUlS12_E_NS1_11comp_targetILNS1_3genE3ELNS1_11target_archE908ELNS1_3gpuE7ELNS1_3repE0EEENS1_48merge_mergepath_partition_config_static_selectorELNS0_4arch9wavefront6targetE1EEEvSO_
		.amdhsa_group_segment_fixed_size 0
		.amdhsa_private_segment_fixed_size 0
		.amdhsa_kernarg_size 40
		.amdhsa_user_sgpr_count 6
		.amdhsa_user_sgpr_private_segment_buffer 1
		.amdhsa_user_sgpr_dispatch_ptr 0
		.amdhsa_user_sgpr_queue_ptr 0
		.amdhsa_user_sgpr_kernarg_segment_ptr 1
		.amdhsa_user_sgpr_dispatch_id 0
		.amdhsa_user_sgpr_flat_scratch_init 0
		.amdhsa_user_sgpr_kernarg_preload_length 0
		.amdhsa_user_sgpr_kernarg_preload_offset 0
		.amdhsa_user_sgpr_private_segment_size 0
		.amdhsa_uses_dynamic_stack 0
		.amdhsa_system_sgpr_private_segment_wavefront_offset 0
		.amdhsa_system_sgpr_workgroup_id_x 1
		.amdhsa_system_sgpr_workgroup_id_y 0
		.amdhsa_system_sgpr_workgroup_id_z 0
		.amdhsa_system_sgpr_workgroup_info 0
		.amdhsa_system_vgpr_workitem_id 0
		.amdhsa_next_free_vgpr 1
		.amdhsa_next_free_sgpr 0
		.amdhsa_accum_offset 4
		.amdhsa_reserve_vcc 0
		.amdhsa_reserve_flat_scratch 0
		.amdhsa_float_round_mode_32 0
		.amdhsa_float_round_mode_16_64 0
		.amdhsa_float_denorm_mode_32 3
		.amdhsa_float_denorm_mode_16_64 3
		.amdhsa_dx10_clamp 1
		.amdhsa_ieee_mode 1
		.amdhsa_fp16_overflow 0
		.amdhsa_tg_split 0
		.amdhsa_exception_fp_ieee_invalid_op 0
		.amdhsa_exception_fp_denorm_src 0
		.amdhsa_exception_fp_ieee_div_zero 0
		.amdhsa_exception_fp_ieee_overflow 0
		.amdhsa_exception_fp_ieee_underflow 0
		.amdhsa_exception_fp_ieee_inexact 0
		.amdhsa_exception_int_div_zero 0
	.end_amdhsa_kernel
	.section	.text._ZN7rocprim17ROCPRIM_400000_NS6detail17trampoline_kernelINS0_14default_configENS1_38merge_sort_block_merge_config_selectorIjN6thrust23THRUST_200600_302600_NS5tupleIffNS6_9null_typeES8_S8_S8_S8_S8_S8_S8_EEEEZZNS1_27merge_sort_block_merge_implIS3_NS6_6detail15normal_iteratorINS6_10device_ptrIjEEEENSD_INSE_IS9_EEEEjNS1_19radix_merge_compareILb0ELb1EjNS0_19identity_decomposerEEEEE10hipError_tT0_T1_T2_jT3_P12ihipStream_tbPNSt15iterator_traitsISN_E10value_typeEPNST_ISO_E10value_typeEPSP_NS1_7vsmem_tEENKUlT_SN_SO_SP_E_clIPjSG_PS9_SI_EESM_S12_SN_SO_SP_EUlS12_E_NS1_11comp_targetILNS1_3genE3ELNS1_11target_archE908ELNS1_3gpuE7ELNS1_3repE0EEENS1_48merge_mergepath_partition_config_static_selectorELNS0_4arch9wavefront6targetE1EEEvSO_,"axG",@progbits,_ZN7rocprim17ROCPRIM_400000_NS6detail17trampoline_kernelINS0_14default_configENS1_38merge_sort_block_merge_config_selectorIjN6thrust23THRUST_200600_302600_NS5tupleIffNS6_9null_typeES8_S8_S8_S8_S8_S8_S8_EEEEZZNS1_27merge_sort_block_merge_implIS3_NS6_6detail15normal_iteratorINS6_10device_ptrIjEEEENSD_INSE_IS9_EEEEjNS1_19radix_merge_compareILb0ELb1EjNS0_19identity_decomposerEEEEE10hipError_tT0_T1_T2_jT3_P12ihipStream_tbPNSt15iterator_traitsISN_E10value_typeEPNST_ISO_E10value_typeEPSP_NS1_7vsmem_tEENKUlT_SN_SO_SP_E_clIPjSG_PS9_SI_EESM_S12_SN_SO_SP_EUlS12_E_NS1_11comp_targetILNS1_3genE3ELNS1_11target_archE908ELNS1_3gpuE7ELNS1_3repE0EEENS1_48merge_mergepath_partition_config_static_selectorELNS0_4arch9wavefront6targetE1EEEvSO_,comdat
.Lfunc_end95:
	.size	_ZN7rocprim17ROCPRIM_400000_NS6detail17trampoline_kernelINS0_14default_configENS1_38merge_sort_block_merge_config_selectorIjN6thrust23THRUST_200600_302600_NS5tupleIffNS6_9null_typeES8_S8_S8_S8_S8_S8_S8_EEEEZZNS1_27merge_sort_block_merge_implIS3_NS6_6detail15normal_iteratorINS6_10device_ptrIjEEEENSD_INSE_IS9_EEEEjNS1_19radix_merge_compareILb0ELb1EjNS0_19identity_decomposerEEEEE10hipError_tT0_T1_T2_jT3_P12ihipStream_tbPNSt15iterator_traitsISN_E10value_typeEPNST_ISO_E10value_typeEPSP_NS1_7vsmem_tEENKUlT_SN_SO_SP_E_clIPjSG_PS9_SI_EESM_S12_SN_SO_SP_EUlS12_E_NS1_11comp_targetILNS1_3genE3ELNS1_11target_archE908ELNS1_3gpuE7ELNS1_3repE0EEENS1_48merge_mergepath_partition_config_static_selectorELNS0_4arch9wavefront6targetE1EEEvSO_, .Lfunc_end95-_ZN7rocprim17ROCPRIM_400000_NS6detail17trampoline_kernelINS0_14default_configENS1_38merge_sort_block_merge_config_selectorIjN6thrust23THRUST_200600_302600_NS5tupleIffNS6_9null_typeES8_S8_S8_S8_S8_S8_S8_EEEEZZNS1_27merge_sort_block_merge_implIS3_NS6_6detail15normal_iteratorINS6_10device_ptrIjEEEENSD_INSE_IS9_EEEEjNS1_19radix_merge_compareILb0ELb1EjNS0_19identity_decomposerEEEEE10hipError_tT0_T1_T2_jT3_P12ihipStream_tbPNSt15iterator_traitsISN_E10value_typeEPNST_ISO_E10value_typeEPSP_NS1_7vsmem_tEENKUlT_SN_SO_SP_E_clIPjSG_PS9_SI_EESM_S12_SN_SO_SP_EUlS12_E_NS1_11comp_targetILNS1_3genE3ELNS1_11target_archE908ELNS1_3gpuE7ELNS1_3repE0EEENS1_48merge_mergepath_partition_config_static_selectorELNS0_4arch9wavefront6targetE1EEEvSO_
                                        ; -- End function
	.section	.AMDGPU.csdata,"",@progbits
; Kernel info:
; codeLenInByte = 0
; NumSgprs: 4
; NumVgprs: 0
; NumAgprs: 0
; TotalNumVgprs: 0
; ScratchSize: 0
; MemoryBound: 0
; FloatMode: 240
; IeeeMode: 1
; LDSByteSize: 0 bytes/workgroup (compile time only)
; SGPRBlocks: 0
; VGPRBlocks: 0
; NumSGPRsForWavesPerEU: 4
; NumVGPRsForWavesPerEU: 1
; AccumOffset: 4
; Occupancy: 8
; WaveLimiterHint : 0
; COMPUTE_PGM_RSRC2:SCRATCH_EN: 0
; COMPUTE_PGM_RSRC2:USER_SGPR: 6
; COMPUTE_PGM_RSRC2:TRAP_HANDLER: 0
; COMPUTE_PGM_RSRC2:TGID_X_EN: 1
; COMPUTE_PGM_RSRC2:TGID_Y_EN: 0
; COMPUTE_PGM_RSRC2:TGID_Z_EN: 0
; COMPUTE_PGM_RSRC2:TIDIG_COMP_CNT: 0
; COMPUTE_PGM_RSRC3_GFX90A:ACCUM_OFFSET: 0
; COMPUTE_PGM_RSRC3_GFX90A:TG_SPLIT: 0
	.section	.text._ZN7rocprim17ROCPRIM_400000_NS6detail17trampoline_kernelINS0_14default_configENS1_38merge_sort_block_merge_config_selectorIjN6thrust23THRUST_200600_302600_NS5tupleIffNS6_9null_typeES8_S8_S8_S8_S8_S8_S8_EEEEZZNS1_27merge_sort_block_merge_implIS3_NS6_6detail15normal_iteratorINS6_10device_ptrIjEEEENSD_INSE_IS9_EEEEjNS1_19radix_merge_compareILb0ELb1EjNS0_19identity_decomposerEEEEE10hipError_tT0_T1_T2_jT3_P12ihipStream_tbPNSt15iterator_traitsISN_E10value_typeEPNST_ISO_E10value_typeEPSP_NS1_7vsmem_tEENKUlT_SN_SO_SP_E_clIPjSG_PS9_SI_EESM_S12_SN_SO_SP_EUlS12_E_NS1_11comp_targetILNS1_3genE2ELNS1_11target_archE906ELNS1_3gpuE6ELNS1_3repE0EEENS1_48merge_mergepath_partition_config_static_selectorELNS0_4arch9wavefront6targetE1EEEvSO_,"axG",@progbits,_ZN7rocprim17ROCPRIM_400000_NS6detail17trampoline_kernelINS0_14default_configENS1_38merge_sort_block_merge_config_selectorIjN6thrust23THRUST_200600_302600_NS5tupleIffNS6_9null_typeES8_S8_S8_S8_S8_S8_S8_EEEEZZNS1_27merge_sort_block_merge_implIS3_NS6_6detail15normal_iteratorINS6_10device_ptrIjEEEENSD_INSE_IS9_EEEEjNS1_19radix_merge_compareILb0ELb1EjNS0_19identity_decomposerEEEEE10hipError_tT0_T1_T2_jT3_P12ihipStream_tbPNSt15iterator_traitsISN_E10value_typeEPNST_ISO_E10value_typeEPSP_NS1_7vsmem_tEENKUlT_SN_SO_SP_E_clIPjSG_PS9_SI_EESM_S12_SN_SO_SP_EUlS12_E_NS1_11comp_targetILNS1_3genE2ELNS1_11target_archE906ELNS1_3gpuE6ELNS1_3repE0EEENS1_48merge_mergepath_partition_config_static_selectorELNS0_4arch9wavefront6targetE1EEEvSO_,comdat
	.protected	_ZN7rocprim17ROCPRIM_400000_NS6detail17trampoline_kernelINS0_14default_configENS1_38merge_sort_block_merge_config_selectorIjN6thrust23THRUST_200600_302600_NS5tupleIffNS6_9null_typeES8_S8_S8_S8_S8_S8_S8_EEEEZZNS1_27merge_sort_block_merge_implIS3_NS6_6detail15normal_iteratorINS6_10device_ptrIjEEEENSD_INSE_IS9_EEEEjNS1_19radix_merge_compareILb0ELb1EjNS0_19identity_decomposerEEEEE10hipError_tT0_T1_T2_jT3_P12ihipStream_tbPNSt15iterator_traitsISN_E10value_typeEPNST_ISO_E10value_typeEPSP_NS1_7vsmem_tEENKUlT_SN_SO_SP_E_clIPjSG_PS9_SI_EESM_S12_SN_SO_SP_EUlS12_E_NS1_11comp_targetILNS1_3genE2ELNS1_11target_archE906ELNS1_3gpuE6ELNS1_3repE0EEENS1_48merge_mergepath_partition_config_static_selectorELNS0_4arch9wavefront6targetE1EEEvSO_ ; -- Begin function _ZN7rocprim17ROCPRIM_400000_NS6detail17trampoline_kernelINS0_14default_configENS1_38merge_sort_block_merge_config_selectorIjN6thrust23THRUST_200600_302600_NS5tupleIffNS6_9null_typeES8_S8_S8_S8_S8_S8_S8_EEEEZZNS1_27merge_sort_block_merge_implIS3_NS6_6detail15normal_iteratorINS6_10device_ptrIjEEEENSD_INSE_IS9_EEEEjNS1_19radix_merge_compareILb0ELb1EjNS0_19identity_decomposerEEEEE10hipError_tT0_T1_T2_jT3_P12ihipStream_tbPNSt15iterator_traitsISN_E10value_typeEPNST_ISO_E10value_typeEPSP_NS1_7vsmem_tEENKUlT_SN_SO_SP_E_clIPjSG_PS9_SI_EESM_S12_SN_SO_SP_EUlS12_E_NS1_11comp_targetILNS1_3genE2ELNS1_11target_archE906ELNS1_3gpuE6ELNS1_3repE0EEENS1_48merge_mergepath_partition_config_static_selectorELNS0_4arch9wavefront6targetE1EEEvSO_
	.globl	_ZN7rocprim17ROCPRIM_400000_NS6detail17trampoline_kernelINS0_14default_configENS1_38merge_sort_block_merge_config_selectorIjN6thrust23THRUST_200600_302600_NS5tupleIffNS6_9null_typeES8_S8_S8_S8_S8_S8_S8_EEEEZZNS1_27merge_sort_block_merge_implIS3_NS6_6detail15normal_iteratorINS6_10device_ptrIjEEEENSD_INSE_IS9_EEEEjNS1_19radix_merge_compareILb0ELb1EjNS0_19identity_decomposerEEEEE10hipError_tT0_T1_T2_jT3_P12ihipStream_tbPNSt15iterator_traitsISN_E10value_typeEPNST_ISO_E10value_typeEPSP_NS1_7vsmem_tEENKUlT_SN_SO_SP_E_clIPjSG_PS9_SI_EESM_S12_SN_SO_SP_EUlS12_E_NS1_11comp_targetILNS1_3genE2ELNS1_11target_archE906ELNS1_3gpuE6ELNS1_3repE0EEENS1_48merge_mergepath_partition_config_static_selectorELNS0_4arch9wavefront6targetE1EEEvSO_
	.p2align	8
	.type	_ZN7rocprim17ROCPRIM_400000_NS6detail17trampoline_kernelINS0_14default_configENS1_38merge_sort_block_merge_config_selectorIjN6thrust23THRUST_200600_302600_NS5tupleIffNS6_9null_typeES8_S8_S8_S8_S8_S8_S8_EEEEZZNS1_27merge_sort_block_merge_implIS3_NS6_6detail15normal_iteratorINS6_10device_ptrIjEEEENSD_INSE_IS9_EEEEjNS1_19radix_merge_compareILb0ELb1EjNS0_19identity_decomposerEEEEE10hipError_tT0_T1_T2_jT3_P12ihipStream_tbPNSt15iterator_traitsISN_E10value_typeEPNST_ISO_E10value_typeEPSP_NS1_7vsmem_tEENKUlT_SN_SO_SP_E_clIPjSG_PS9_SI_EESM_S12_SN_SO_SP_EUlS12_E_NS1_11comp_targetILNS1_3genE2ELNS1_11target_archE906ELNS1_3gpuE6ELNS1_3repE0EEENS1_48merge_mergepath_partition_config_static_selectorELNS0_4arch9wavefront6targetE1EEEvSO_,@function
_ZN7rocprim17ROCPRIM_400000_NS6detail17trampoline_kernelINS0_14default_configENS1_38merge_sort_block_merge_config_selectorIjN6thrust23THRUST_200600_302600_NS5tupleIffNS6_9null_typeES8_S8_S8_S8_S8_S8_S8_EEEEZZNS1_27merge_sort_block_merge_implIS3_NS6_6detail15normal_iteratorINS6_10device_ptrIjEEEENSD_INSE_IS9_EEEEjNS1_19radix_merge_compareILb0ELb1EjNS0_19identity_decomposerEEEEE10hipError_tT0_T1_T2_jT3_P12ihipStream_tbPNSt15iterator_traitsISN_E10value_typeEPNST_ISO_E10value_typeEPSP_NS1_7vsmem_tEENKUlT_SN_SO_SP_E_clIPjSG_PS9_SI_EESM_S12_SN_SO_SP_EUlS12_E_NS1_11comp_targetILNS1_3genE2ELNS1_11target_archE906ELNS1_3gpuE6ELNS1_3repE0EEENS1_48merge_mergepath_partition_config_static_selectorELNS0_4arch9wavefront6targetE1EEEvSO_: ; @_ZN7rocprim17ROCPRIM_400000_NS6detail17trampoline_kernelINS0_14default_configENS1_38merge_sort_block_merge_config_selectorIjN6thrust23THRUST_200600_302600_NS5tupleIffNS6_9null_typeES8_S8_S8_S8_S8_S8_S8_EEEEZZNS1_27merge_sort_block_merge_implIS3_NS6_6detail15normal_iteratorINS6_10device_ptrIjEEEENSD_INSE_IS9_EEEEjNS1_19radix_merge_compareILb0ELb1EjNS0_19identity_decomposerEEEEE10hipError_tT0_T1_T2_jT3_P12ihipStream_tbPNSt15iterator_traitsISN_E10value_typeEPNST_ISO_E10value_typeEPSP_NS1_7vsmem_tEENKUlT_SN_SO_SP_E_clIPjSG_PS9_SI_EESM_S12_SN_SO_SP_EUlS12_E_NS1_11comp_targetILNS1_3genE2ELNS1_11target_archE906ELNS1_3gpuE6ELNS1_3repE0EEENS1_48merge_mergepath_partition_config_static_selectorELNS0_4arch9wavefront6targetE1EEEvSO_
; %bb.0:
	.section	.rodata,"a",@progbits
	.p2align	6, 0x0
	.amdhsa_kernel _ZN7rocprim17ROCPRIM_400000_NS6detail17trampoline_kernelINS0_14default_configENS1_38merge_sort_block_merge_config_selectorIjN6thrust23THRUST_200600_302600_NS5tupleIffNS6_9null_typeES8_S8_S8_S8_S8_S8_S8_EEEEZZNS1_27merge_sort_block_merge_implIS3_NS6_6detail15normal_iteratorINS6_10device_ptrIjEEEENSD_INSE_IS9_EEEEjNS1_19radix_merge_compareILb0ELb1EjNS0_19identity_decomposerEEEEE10hipError_tT0_T1_T2_jT3_P12ihipStream_tbPNSt15iterator_traitsISN_E10value_typeEPNST_ISO_E10value_typeEPSP_NS1_7vsmem_tEENKUlT_SN_SO_SP_E_clIPjSG_PS9_SI_EESM_S12_SN_SO_SP_EUlS12_E_NS1_11comp_targetILNS1_3genE2ELNS1_11target_archE906ELNS1_3gpuE6ELNS1_3repE0EEENS1_48merge_mergepath_partition_config_static_selectorELNS0_4arch9wavefront6targetE1EEEvSO_
		.amdhsa_group_segment_fixed_size 0
		.amdhsa_private_segment_fixed_size 0
		.amdhsa_kernarg_size 40
		.amdhsa_user_sgpr_count 6
		.amdhsa_user_sgpr_private_segment_buffer 1
		.amdhsa_user_sgpr_dispatch_ptr 0
		.amdhsa_user_sgpr_queue_ptr 0
		.amdhsa_user_sgpr_kernarg_segment_ptr 1
		.amdhsa_user_sgpr_dispatch_id 0
		.amdhsa_user_sgpr_flat_scratch_init 0
		.amdhsa_user_sgpr_kernarg_preload_length 0
		.amdhsa_user_sgpr_kernarg_preload_offset 0
		.amdhsa_user_sgpr_private_segment_size 0
		.amdhsa_uses_dynamic_stack 0
		.amdhsa_system_sgpr_private_segment_wavefront_offset 0
		.amdhsa_system_sgpr_workgroup_id_x 1
		.amdhsa_system_sgpr_workgroup_id_y 0
		.amdhsa_system_sgpr_workgroup_id_z 0
		.amdhsa_system_sgpr_workgroup_info 0
		.amdhsa_system_vgpr_workitem_id 0
		.amdhsa_next_free_vgpr 1
		.amdhsa_next_free_sgpr 0
		.amdhsa_accum_offset 4
		.amdhsa_reserve_vcc 0
		.amdhsa_reserve_flat_scratch 0
		.amdhsa_float_round_mode_32 0
		.amdhsa_float_round_mode_16_64 0
		.amdhsa_float_denorm_mode_32 3
		.amdhsa_float_denorm_mode_16_64 3
		.amdhsa_dx10_clamp 1
		.amdhsa_ieee_mode 1
		.amdhsa_fp16_overflow 0
		.amdhsa_tg_split 0
		.amdhsa_exception_fp_ieee_invalid_op 0
		.amdhsa_exception_fp_denorm_src 0
		.amdhsa_exception_fp_ieee_div_zero 0
		.amdhsa_exception_fp_ieee_overflow 0
		.amdhsa_exception_fp_ieee_underflow 0
		.amdhsa_exception_fp_ieee_inexact 0
		.amdhsa_exception_int_div_zero 0
	.end_amdhsa_kernel
	.section	.text._ZN7rocprim17ROCPRIM_400000_NS6detail17trampoline_kernelINS0_14default_configENS1_38merge_sort_block_merge_config_selectorIjN6thrust23THRUST_200600_302600_NS5tupleIffNS6_9null_typeES8_S8_S8_S8_S8_S8_S8_EEEEZZNS1_27merge_sort_block_merge_implIS3_NS6_6detail15normal_iteratorINS6_10device_ptrIjEEEENSD_INSE_IS9_EEEEjNS1_19radix_merge_compareILb0ELb1EjNS0_19identity_decomposerEEEEE10hipError_tT0_T1_T2_jT3_P12ihipStream_tbPNSt15iterator_traitsISN_E10value_typeEPNST_ISO_E10value_typeEPSP_NS1_7vsmem_tEENKUlT_SN_SO_SP_E_clIPjSG_PS9_SI_EESM_S12_SN_SO_SP_EUlS12_E_NS1_11comp_targetILNS1_3genE2ELNS1_11target_archE906ELNS1_3gpuE6ELNS1_3repE0EEENS1_48merge_mergepath_partition_config_static_selectorELNS0_4arch9wavefront6targetE1EEEvSO_,"axG",@progbits,_ZN7rocprim17ROCPRIM_400000_NS6detail17trampoline_kernelINS0_14default_configENS1_38merge_sort_block_merge_config_selectorIjN6thrust23THRUST_200600_302600_NS5tupleIffNS6_9null_typeES8_S8_S8_S8_S8_S8_S8_EEEEZZNS1_27merge_sort_block_merge_implIS3_NS6_6detail15normal_iteratorINS6_10device_ptrIjEEEENSD_INSE_IS9_EEEEjNS1_19radix_merge_compareILb0ELb1EjNS0_19identity_decomposerEEEEE10hipError_tT0_T1_T2_jT3_P12ihipStream_tbPNSt15iterator_traitsISN_E10value_typeEPNST_ISO_E10value_typeEPSP_NS1_7vsmem_tEENKUlT_SN_SO_SP_E_clIPjSG_PS9_SI_EESM_S12_SN_SO_SP_EUlS12_E_NS1_11comp_targetILNS1_3genE2ELNS1_11target_archE906ELNS1_3gpuE6ELNS1_3repE0EEENS1_48merge_mergepath_partition_config_static_selectorELNS0_4arch9wavefront6targetE1EEEvSO_,comdat
.Lfunc_end96:
	.size	_ZN7rocprim17ROCPRIM_400000_NS6detail17trampoline_kernelINS0_14default_configENS1_38merge_sort_block_merge_config_selectorIjN6thrust23THRUST_200600_302600_NS5tupleIffNS6_9null_typeES8_S8_S8_S8_S8_S8_S8_EEEEZZNS1_27merge_sort_block_merge_implIS3_NS6_6detail15normal_iteratorINS6_10device_ptrIjEEEENSD_INSE_IS9_EEEEjNS1_19radix_merge_compareILb0ELb1EjNS0_19identity_decomposerEEEEE10hipError_tT0_T1_T2_jT3_P12ihipStream_tbPNSt15iterator_traitsISN_E10value_typeEPNST_ISO_E10value_typeEPSP_NS1_7vsmem_tEENKUlT_SN_SO_SP_E_clIPjSG_PS9_SI_EESM_S12_SN_SO_SP_EUlS12_E_NS1_11comp_targetILNS1_3genE2ELNS1_11target_archE906ELNS1_3gpuE6ELNS1_3repE0EEENS1_48merge_mergepath_partition_config_static_selectorELNS0_4arch9wavefront6targetE1EEEvSO_, .Lfunc_end96-_ZN7rocprim17ROCPRIM_400000_NS6detail17trampoline_kernelINS0_14default_configENS1_38merge_sort_block_merge_config_selectorIjN6thrust23THRUST_200600_302600_NS5tupleIffNS6_9null_typeES8_S8_S8_S8_S8_S8_S8_EEEEZZNS1_27merge_sort_block_merge_implIS3_NS6_6detail15normal_iteratorINS6_10device_ptrIjEEEENSD_INSE_IS9_EEEEjNS1_19radix_merge_compareILb0ELb1EjNS0_19identity_decomposerEEEEE10hipError_tT0_T1_T2_jT3_P12ihipStream_tbPNSt15iterator_traitsISN_E10value_typeEPNST_ISO_E10value_typeEPSP_NS1_7vsmem_tEENKUlT_SN_SO_SP_E_clIPjSG_PS9_SI_EESM_S12_SN_SO_SP_EUlS12_E_NS1_11comp_targetILNS1_3genE2ELNS1_11target_archE906ELNS1_3gpuE6ELNS1_3repE0EEENS1_48merge_mergepath_partition_config_static_selectorELNS0_4arch9wavefront6targetE1EEEvSO_
                                        ; -- End function
	.section	.AMDGPU.csdata,"",@progbits
; Kernel info:
; codeLenInByte = 0
; NumSgprs: 4
; NumVgprs: 0
; NumAgprs: 0
; TotalNumVgprs: 0
; ScratchSize: 0
; MemoryBound: 0
; FloatMode: 240
; IeeeMode: 1
; LDSByteSize: 0 bytes/workgroup (compile time only)
; SGPRBlocks: 0
; VGPRBlocks: 0
; NumSGPRsForWavesPerEU: 4
; NumVGPRsForWavesPerEU: 1
; AccumOffset: 4
; Occupancy: 8
; WaveLimiterHint : 0
; COMPUTE_PGM_RSRC2:SCRATCH_EN: 0
; COMPUTE_PGM_RSRC2:USER_SGPR: 6
; COMPUTE_PGM_RSRC2:TRAP_HANDLER: 0
; COMPUTE_PGM_RSRC2:TGID_X_EN: 1
; COMPUTE_PGM_RSRC2:TGID_Y_EN: 0
; COMPUTE_PGM_RSRC2:TGID_Z_EN: 0
; COMPUTE_PGM_RSRC2:TIDIG_COMP_CNT: 0
; COMPUTE_PGM_RSRC3_GFX90A:ACCUM_OFFSET: 0
; COMPUTE_PGM_RSRC3_GFX90A:TG_SPLIT: 0
	.section	.text._ZN7rocprim17ROCPRIM_400000_NS6detail17trampoline_kernelINS0_14default_configENS1_38merge_sort_block_merge_config_selectorIjN6thrust23THRUST_200600_302600_NS5tupleIffNS6_9null_typeES8_S8_S8_S8_S8_S8_S8_EEEEZZNS1_27merge_sort_block_merge_implIS3_NS6_6detail15normal_iteratorINS6_10device_ptrIjEEEENSD_INSE_IS9_EEEEjNS1_19radix_merge_compareILb0ELb1EjNS0_19identity_decomposerEEEEE10hipError_tT0_T1_T2_jT3_P12ihipStream_tbPNSt15iterator_traitsISN_E10value_typeEPNST_ISO_E10value_typeEPSP_NS1_7vsmem_tEENKUlT_SN_SO_SP_E_clIPjSG_PS9_SI_EESM_S12_SN_SO_SP_EUlS12_E_NS1_11comp_targetILNS1_3genE9ELNS1_11target_archE1100ELNS1_3gpuE3ELNS1_3repE0EEENS1_48merge_mergepath_partition_config_static_selectorELNS0_4arch9wavefront6targetE1EEEvSO_,"axG",@progbits,_ZN7rocprim17ROCPRIM_400000_NS6detail17trampoline_kernelINS0_14default_configENS1_38merge_sort_block_merge_config_selectorIjN6thrust23THRUST_200600_302600_NS5tupleIffNS6_9null_typeES8_S8_S8_S8_S8_S8_S8_EEEEZZNS1_27merge_sort_block_merge_implIS3_NS6_6detail15normal_iteratorINS6_10device_ptrIjEEEENSD_INSE_IS9_EEEEjNS1_19radix_merge_compareILb0ELb1EjNS0_19identity_decomposerEEEEE10hipError_tT0_T1_T2_jT3_P12ihipStream_tbPNSt15iterator_traitsISN_E10value_typeEPNST_ISO_E10value_typeEPSP_NS1_7vsmem_tEENKUlT_SN_SO_SP_E_clIPjSG_PS9_SI_EESM_S12_SN_SO_SP_EUlS12_E_NS1_11comp_targetILNS1_3genE9ELNS1_11target_archE1100ELNS1_3gpuE3ELNS1_3repE0EEENS1_48merge_mergepath_partition_config_static_selectorELNS0_4arch9wavefront6targetE1EEEvSO_,comdat
	.protected	_ZN7rocprim17ROCPRIM_400000_NS6detail17trampoline_kernelINS0_14default_configENS1_38merge_sort_block_merge_config_selectorIjN6thrust23THRUST_200600_302600_NS5tupleIffNS6_9null_typeES8_S8_S8_S8_S8_S8_S8_EEEEZZNS1_27merge_sort_block_merge_implIS3_NS6_6detail15normal_iteratorINS6_10device_ptrIjEEEENSD_INSE_IS9_EEEEjNS1_19radix_merge_compareILb0ELb1EjNS0_19identity_decomposerEEEEE10hipError_tT0_T1_T2_jT3_P12ihipStream_tbPNSt15iterator_traitsISN_E10value_typeEPNST_ISO_E10value_typeEPSP_NS1_7vsmem_tEENKUlT_SN_SO_SP_E_clIPjSG_PS9_SI_EESM_S12_SN_SO_SP_EUlS12_E_NS1_11comp_targetILNS1_3genE9ELNS1_11target_archE1100ELNS1_3gpuE3ELNS1_3repE0EEENS1_48merge_mergepath_partition_config_static_selectorELNS0_4arch9wavefront6targetE1EEEvSO_ ; -- Begin function _ZN7rocprim17ROCPRIM_400000_NS6detail17trampoline_kernelINS0_14default_configENS1_38merge_sort_block_merge_config_selectorIjN6thrust23THRUST_200600_302600_NS5tupleIffNS6_9null_typeES8_S8_S8_S8_S8_S8_S8_EEEEZZNS1_27merge_sort_block_merge_implIS3_NS6_6detail15normal_iteratorINS6_10device_ptrIjEEEENSD_INSE_IS9_EEEEjNS1_19radix_merge_compareILb0ELb1EjNS0_19identity_decomposerEEEEE10hipError_tT0_T1_T2_jT3_P12ihipStream_tbPNSt15iterator_traitsISN_E10value_typeEPNST_ISO_E10value_typeEPSP_NS1_7vsmem_tEENKUlT_SN_SO_SP_E_clIPjSG_PS9_SI_EESM_S12_SN_SO_SP_EUlS12_E_NS1_11comp_targetILNS1_3genE9ELNS1_11target_archE1100ELNS1_3gpuE3ELNS1_3repE0EEENS1_48merge_mergepath_partition_config_static_selectorELNS0_4arch9wavefront6targetE1EEEvSO_
	.globl	_ZN7rocprim17ROCPRIM_400000_NS6detail17trampoline_kernelINS0_14default_configENS1_38merge_sort_block_merge_config_selectorIjN6thrust23THRUST_200600_302600_NS5tupleIffNS6_9null_typeES8_S8_S8_S8_S8_S8_S8_EEEEZZNS1_27merge_sort_block_merge_implIS3_NS6_6detail15normal_iteratorINS6_10device_ptrIjEEEENSD_INSE_IS9_EEEEjNS1_19radix_merge_compareILb0ELb1EjNS0_19identity_decomposerEEEEE10hipError_tT0_T1_T2_jT3_P12ihipStream_tbPNSt15iterator_traitsISN_E10value_typeEPNST_ISO_E10value_typeEPSP_NS1_7vsmem_tEENKUlT_SN_SO_SP_E_clIPjSG_PS9_SI_EESM_S12_SN_SO_SP_EUlS12_E_NS1_11comp_targetILNS1_3genE9ELNS1_11target_archE1100ELNS1_3gpuE3ELNS1_3repE0EEENS1_48merge_mergepath_partition_config_static_selectorELNS0_4arch9wavefront6targetE1EEEvSO_
	.p2align	8
	.type	_ZN7rocprim17ROCPRIM_400000_NS6detail17trampoline_kernelINS0_14default_configENS1_38merge_sort_block_merge_config_selectorIjN6thrust23THRUST_200600_302600_NS5tupleIffNS6_9null_typeES8_S8_S8_S8_S8_S8_S8_EEEEZZNS1_27merge_sort_block_merge_implIS3_NS6_6detail15normal_iteratorINS6_10device_ptrIjEEEENSD_INSE_IS9_EEEEjNS1_19radix_merge_compareILb0ELb1EjNS0_19identity_decomposerEEEEE10hipError_tT0_T1_T2_jT3_P12ihipStream_tbPNSt15iterator_traitsISN_E10value_typeEPNST_ISO_E10value_typeEPSP_NS1_7vsmem_tEENKUlT_SN_SO_SP_E_clIPjSG_PS9_SI_EESM_S12_SN_SO_SP_EUlS12_E_NS1_11comp_targetILNS1_3genE9ELNS1_11target_archE1100ELNS1_3gpuE3ELNS1_3repE0EEENS1_48merge_mergepath_partition_config_static_selectorELNS0_4arch9wavefront6targetE1EEEvSO_,@function
_ZN7rocprim17ROCPRIM_400000_NS6detail17trampoline_kernelINS0_14default_configENS1_38merge_sort_block_merge_config_selectorIjN6thrust23THRUST_200600_302600_NS5tupleIffNS6_9null_typeES8_S8_S8_S8_S8_S8_S8_EEEEZZNS1_27merge_sort_block_merge_implIS3_NS6_6detail15normal_iteratorINS6_10device_ptrIjEEEENSD_INSE_IS9_EEEEjNS1_19radix_merge_compareILb0ELb1EjNS0_19identity_decomposerEEEEE10hipError_tT0_T1_T2_jT3_P12ihipStream_tbPNSt15iterator_traitsISN_E10value_typeEPNST_ISO_E10value_typeEPSP_NS1_7vsmem_tEENKUlT_SN_SO_SP_E_clIPjSG_PS9_SI_EESM_S12_SN_SO_SP_EUlS12_E_NS1_11comp_targetILNS1_3genE9ELNS1_11target_archE1100ELNS1_3gpuE3ELNS1_3repE0EEENS1_48merge_mergepath_partition_config_static_selectorELNS0_4arch9wavefront6targetE1EEEvSO_: ; @_ZN7rocprim17ROCPRIM_400000_NS6detail17trampoline_kernelINS0_14default_configENS1_38merge_sort_block_merge_config_selectorIjN6thrust23THRUST_200600_302600_NS5tupleIffNS6_9null_typeES8_S8_S8_S8_S8_S8_S8_EEEEZZNS1_27merge_sort_block_merge_implIS3_NS6_6detail15normal_iteratorINS6_10device_ptrIjEEEENSD_INSE_IS9_EEEEjNS1_19radix_merge_compareILb0ELb1EjNS0_19identity_decomposerEEEEE10hipError_tT0_T1_T2_jT3_P12ihipStream_tbPNSt15iterator_traitsISN_E10value_typeEPNST_ISO_E10value_typeEPSP_NS1_7vsmem_tEENKUlT_SN_SO_SP_E_clIPjSG_PS9_SI_EESM_S12_SN_SO_SP_EUlS12_E_NS1_11comp_targetILNS1_3genE9ELNS1_11target_archE1100ELNS1_3gpuE3ELNS1_3repE0EEENS1_48merge_mergepath_partition_config_static_selectorELNS0_4arch9wavefront6targetE1EEEvSO_
; %bb.0:
	.section	.rodata,"a",@progbits
	.p2align	6, 0x0
	.amdhsa_kernel _ZN7rocprim17ROCPRIM_400000_NS6detail17trampoline_kernelINS0_14default_configENS1_38merge_sort_block_merge_config_selectorIjN6thrust23THRUST_200600_302600_NS5tupleIffNS6_9null_typeES8_S8_S8_S8_S8_S8_S8_EEEEZZNS1_27merge_sort_block_merge_implIS3_NS6_6detail15normal_iteratorINS6_10device_ptrIjEEEENSD_INSE_IS9_EEEEjNS1_19radix_merge_compareILb0ELb1EjNS0_19identity_decomposerEEEEE10hipError_tT0_T1_T2_jT3_P12ihipStream_tbPNSt15iterator_traitsISN_E10value_typeEPNST_ISO_E10value_typeEPSP_NS1_7vsmem_tEENKUlT_SN_SO_SP_E_clIPjSG_PS9_SI_EESM_S12_SN_SO_SP_EUlS12_E_NS1_11comp_targetILNS1_3genE9ELNS1_11target_archE1100ELNS1_3gpuE3ELNS1_3repE0EEENS1_48merge_mergepath_partition_config_static_selectorELNS0_4arch9wavefront6targetE1EEEvSO_
		.amdhsa_group_segment_fixed_size 0
		.amdhsa_private_segment_fixed_size 0
		.amdhsa_kernarg_size 40
		.amdhsa_user_sgpr_count 6
		.amdhsa_user_sgpr_private_segment_buffer 1
		.amdhsa_user_sgpr_dispatch_ptr 0
		.amdhsa_user_sgpr_queue_ptr 0
		.amdhsa_user_sgpr_kernarg_segment_ptr 1
		.amdhsa_user_sgpr_dispatch_id 0
		.amdhsa_user_sgpr_flat_scratch_init 0
		.amdhsa_user_sgpr_kernarg_preload_length 0
		.amdhsa_user_sgpr_kernarg_preload_offset 0
		.amdhsa_user_sgpr_private_segment_size 0
		.amdhsa_uses_dynamic_stack 0
		.amdhsa_system_sgpr_private_segment_wavefront_offset 0
		.amdhsa_system_sgpr_workgroup_id_x 1
		.amdhsa_system_sgpr_workgroup_id_y 0
		.amdhsa_system_sgpr_workgroup_id_z 0
		.amdhsa_system_sgpr_workgroup_info 0
		.amdhsa_system_vgpr_workitem_id 0
		.amdhsa_next_free_vgpr 1
		.amdhsa_next_free_sgpr 0
		.amdhsa_accum_offset 4
		.amdhsa_reserve_vcc 0
		.amdhsa_reserve_flat_scratch 0
		.amdhsa_float_round_mode_32 0
		.amdhsa_float_round_mode_16_64 0
		.amdhsa_float_denorm_mode_32 3
		.amdhsa_float_denorm_mode_16_64 3
		.amdhsa_dx10_clamp 1
		.amdhsa_ieee_mode 1
		.amdhsa_fp16_overflow 0
		.amdhsa_tg_split 0
		.amdhsa_exception_fp_ieee_invalid_op 0
		.amdhsa_exception_fp_denorm_src 0
		.amdhsa_exception_fp_ieee_div_zero 0
		.amdhsa_exception_fp_ieee_overflow 0
		.amdhsa_exception_fp_ieee_underflow 0
		.amdhsa_exception_fp_ieee_inexact 0
		.amdhsa_exception_int_div_zero 0
	.end_amdhsa_kernel
	.section	.text._ZN7rocprim17ROCPRIM_400000_NS6detail17trampoline_kernelINS0_14default_configENS1_38merge_sort_block_merge_config_selectorIjN6thrust23THRUST_200600_302600_NS5tupleIffNS6_9null_typeES8_S8_S8_S8_S8_S8_S8_EEEEZZNS1_27merge_sort_block_merge_implIS3_NS6_6detail15normal_iteratorINS6_10device_ptrIjEEEENSD_INSE_IS9_EEEEjNS1_19radix_merge_compareILb0ELb1EjNS0_19identity_decomposerEEEEE10hipError_tT0_T1_T2_jT3_P12ihipStream_tbPNSt15iterator_traitsISN_E10value_typeEPNST_ISO_E10value_typeEPSP_NS1_7vsmem_tEENKUlT_SN_SO_SP_E_clIPjSG_PS9_SI_EESM_S12_SN_SO_SP_EUlS12_E_NS1_11comp_targetILNS1_3genE9ELNS1_11target_archE1100ELNS1_3gpuE3ELNS1_3repE0EEENS1_48merge_mergepath_partition_config_static_selectorELNS0_4arch9wavefront6targetE1EEEvSO_,"axG",@progbits,_ZN7rocprim17ROCPRIM_400000_NS6detail17trampoline_kernelINS0_14default_configENS1_38merge_sort_block_merge_config_selectorIjN6thrust23THRUST_200600_302600_NS5tupleIffNS6_9null_typeES8_S8_S8_S8_S8_S8_S8_EEEEZZNS1_27merge_sort_block_merge_implIS3_NS6_6detail15normal_iteratorINS6_10device_ptrIjEEEENSD_INSE_IS9_EEEEjNS1_19radix_merge_compareILb0ELb1EjNS0_19identity_decomposerEEEEE10hipError_tT0_T1_T2_jT3_P12ihipStream_tbPNSt15iterator_traitsISN_E10value_typeEPNST_ISO_E10value_typeEPSP_NS1_7vsmem_tEENKUlT_SN_SO_SP_E_clIPjSG_PS9_SI_EESM_S12_SN_SO_SP_EUlS12_E_NS1_11comp_targetILNS1_3genE9ELNS1_11target_archE1100ELNS1_3gpuE3ELNS1_3repE0EEENS1_48merge_mergepath_partition_config_static_selectorELNS0_4arch9wavefront6targetE1EEEvSO_,comdat
.Lfunc_end97:
	.size	_ZN7rocprim17ROCPRIM_400000_NS6detail17trampoline_kernelINS0_14default_configENS1_38merge_sort_block_merge_config_selectorIjN6thrust23THRUST_200600_302600_NS5tupleIffNS6_9null_typeES8_S8_S8_S8_S8_S8_S8_EEEEZZNS1_27merge_sort_block_merge_implIS3_NS6_6detail15normal_iteratorINS6_10device_ptrIjEEEENSD_INSE_IS9_EEEEjNS1_19radix_merge_compareILb0ELb1EjNS0_19identity_decomposerEEEEE10hipError_tT0_T1_T2_jT3_P12ihipStream_tbPNSt15iterator_traitsISN_E10value_typeEPNST_ISO_E10value_typeEPSP_NS1_7vsmem_tEENKUlT_SN_SO_SP_E_clIPjSG_PS9_SI_EESM_S12_SN_SO_SP_EUlS12_E_NS1_11comp_targetILNS1_3genE9ELNS1_11target_archE1100ELNS1_3gpuE3ELNS1_3repE0EEENS1_48merge_mergepath_partition_config_static_selectorELNS0_4arch9wavefront6targetE1EEEvSO_, .Lfunc_end97-_ZN7rocprim17ROCPRIM_400000_NS6detail17trampoline_kernelINS0_14default_configENS1_38merge_sort_block_merge_config_selectorIjN6thrust23THRUST_200600_302600_NS5tupleIffNS6_9null_typeES8_S8_S8_S8_S8_S8_S8_EEEEZZNS1_27merge_sort_block_merge_implIS3_NS6_6detail15normal_iteratorINS6_10device_ptrIjEEEENSD_INSE_IS9_EEEEjNS1_19radix_merge_compareILb0ELb1EjNS0_19identity_decomposerEEEEE10hipError_tT0_T1_T2_jT3_P12ihipStream_tbPNSt15iterator_traitsISN_E10value_typeEPNST_ISO_E10value_typeEPSP_NS1_7vsmem_tEENKUlT_SN_SO_SP_E_clIPjSG_PS9_SI_EESM_S12_SN_SO_SP_EUlS12_E_NS1_11comp_targetILNS1_3genE9ELNS1_11target_archE1100ELNS1_3gpuE3ELNS1_3repE0EEENS1_48merge_mergepath_partition_config_static_selectorELNS0_4arch9wavefront6targetE1EEEvSO_
                                        ; -- End function
	.section	.AMDGPU.csdata,"",@progbits
; Kernel info:
; codeLenInByte = 0
; NumSgprs: 4
; NumVgprs: 0
; NumAgprs: 0
; TotalNumVgprs: 0
; ScratchSize: 0
; MemoryBound: 0
; FloatMode: 240
; IeeeMode: 1
; LDSByteSize: 0 bytes/workgroup (compile time only)
; SGPRBlocks: 0
; VGPRBlocks: 0
; NumSGPRsForWavesPerEU: 4
; NumVGPRsForWavesPerEU: 1
; AccumOffset: 4
; Occupancy: 8
; WaveLimiterHint : 0
; COMPUTE_PGM_RSRC2:SCRATCH_EN: 0
; COMPUTE_PGM_RSRC2:USER_SGPR: 6
; COMPUTE_PGM_RSRC2:TRAP_HANDLER: 0
; COMPUTE_PGM_RSRC2:TGID_X_EN: 1
; COMPUTE_PGM_RSRC2:TGID_Y_EN: 0
; COMPUTE_PGM_RSRC2:TGID_Z_EN: 0
; COMPUTE_PGM_RSRC2:TIDIG_COMP_CNT: 0
; COMPUTE_PGM_RSRC3_GFX90A:ACCUM_OFFSET: 0
; COMPUTE_PGM_RSRC3_GFX90A:TG_SPLIT: 0
	.section	.text._ZN7rocprim17ROCPRIM_400000_NS6detail17trampoline_kernelINS0_14default_configENS1_38merge_sort_block_merge_config_selectorIjN6thrust23THRUST_200600_302600_NS5tupleIffNS6_9null_typeES8_S8_S8_S8_S8_S8_S8_EEEEZZNS1_27merge_sort_block_merge_implIS3_NS6_6detail15normal_iteratorINS6_10device_ptrIjEEEENSD_INSE_IS9_EEEEjNS1_19radix_merge_compareILb0ELb1EjNS0_19identity_decomposerEEEEE10hipError_tT0_T1_T2_jT3_P12ihipStream_tbPNSt15iterator_traitsISN_E10value_typeEPNST_ISO_E10value_typeEPSP_NS1_7vsmem_tEENKUlT_SN_SO_SP_E_clIPjSG_PS9_SI_EESM_S12_SN_SO_SP_EUlS12_E_NS1_11comp_targetILNS1_3genE8ELNS1_11target_archE1030ELNS1_3gpuE2ELNS1_3repE0EEENS1_48merge_mergepath_partition_config_static_selectorELNS0_4arch9wavefront6targetE1EEEvSO_,"axG",@progbits,_ZN7rocprim17ROCPRIM_400000_NS6detail17trampoline_kernelINS0_14default_configENS1_38merge_sort_block_merge_config_selectorIjN6thrust23THRUST_200600_302600_NS5tupleIffNS6_9null_typeES8_S8_S8_S8_S8_S8_S8_EEEEZZNS1_27merge_sort_block_merge_implIS3_NS6_6detail15normal_iteratorINS6_10device_ptrIjEEEENSD_INSE_IS9_EEEEjNS1_19radix_merge_compareILb0ELb1EjNS0_19identity_decomposerEEEEE10hipError_tT0_T1_T2_jT3_P12ihipStream_tbPNSt15iterator_traitsISN_E10value_typeEPNST_ISO_E10value_typeEPSP_NS1_7vsmem_tEENKUlT_SN_SO_SP_E_clIPjSG_PS9_SI_EESM_S12_SN_SO_SP_EUlS12_E_NS1_11comp_targetILNS1_3genE8ELNS1_11target_archE1030ELNS1_3gpuE2ELNS1_3repE0EEENS1_48merge_mergepath_partition_config_static_selectorELNS0_4arch9wavefront6targetE1EEEvSO_,comdat
	.protected	_ZN7rocprim17ROCPRIM_400000_NS6detail17trampoline_kernelINS0_14default_configENS1_38merge_sort_block_merge_config_selectorIjN6thrust23THRUST_200600_302600_NS5tupleIffNS6_9null_typeES8_S8_S8_S8_S8_S8_S8_EEEEZZNS1_27merge_sort_block_merge_implIS3_NS6_6detail15normal_iteratorINS6_10device_ptrIjEEEENSD_INSE_IS9_EEEEjNS1_19radix_merge_compareILb0ELb1EjNS0_19identity_decomposerEEEEE10hipError_tT0_T1_T2_jT3_P12ihipStream_tbPNSt15iterator_traitsISN_E10value_typeEPNST_ISO_E10value_typeEPSP_NS1_7vsmem_tEENKUlT_SN_SO_SP_E_clIPjSG_PS9_SI_EESM_S12_SN_SO_SP_EUlS12_E_NS1_11comp_targetILNS1_3genE8ELNS1_11target_archE1030ELNS1_3gpuE2ELNS1_3repE0EEENS1_48merge_mergepath_partition_config_static_selectorELNS0_4arch9wavefront6targetE1EEEvSO_ ; -- Begin function _ZN7rocprim17ROCPRIM_400000_NS6detail17trampoline_kernelINS0_14default_configENS1_38merge_sort_block_merge_config_selectorIjN6thrust23THRUST_200600_302600_NS5tupleIffNS6_9null_typeES8_S8_S8_S8_S8_S8_S8_EEEEZZNS1_27merge_sort_block_merge_implIS3_NS6_6detail15normal_iteratorINS6_10device_ptrIjEEEENSD_INSE_IS9_EEEEjNS1_19radix_merge_compareILb0ELb1EjNS0_19identity_decomposerEEEEE10hipError_tT0_T1_T2_jT3_P12ihipStream_tbPNSt15iterator_traitsISN_E10value_typeEPNST_ISO_E10value_typeEPSP_NS1_7vsmem_tEENKUlT_SN_SO_SP_E_clIPjSG_PS9_SI_EESM_S12_SN_SO_SP_EUlS12_E_NS1_11comp_targetILNS1_3genE8ELNS1_11target_archE1030ELNS1_3gpuE2ELNS1_3repE0EEENS1_48merge_mergepath_partition_config_static_selectorELNS0_4arch9wavefront6targetE1EEEvSO_
	.globl	_ZN7rocprim17ROCPRIM_400000_NS6detail17trampoline_kernelINS0_14default_configENS1_38merge_sort_block_merge_config_selectorIjN6thrust23THRUST_200600_302600_NS5tupleIffNS6_9null_typeES8_S8_S8_S8_S8_S8_S8_EEEEZZNS1_27merge_sort_block_merge_implIS3_NS6_6detail15normal_iteratorINS6_10device_ptrIjEEEENSD_INSE_IS9_EEEEjNS1_19radix_merge_compareILb0ELb1EjNS0_19identity_decomposerEEEEE10hipError_tT0_T1_T2_jT3_P12ihipStream_tbPNSt15iterator_traitsISN_E10value_typeEPNST_ISO_E10value_typeEPSP_NS1_7vsmem_tEENKUlT_SN_SO_SP_E_clIPjSG_PS9_SI_EESM_S12_SN_SO_SP_EUlS12_E_NS1_11comp_targetILNS1_3genE8ELNS1_11target_archE1030ELNS1_3gpuE2ELNS1_3repE0EEENS1_48merge_mergepath_partition_config_static_selectorELNS0_4arch9wavefront6targetE1EEEvSO_
	.p2align	8
	.type	_ZN7rocprim17ROCPRIM_400000_NS6detail17trampoline_kernelINS0_14default_configENS1_38merge_sort_block_merge_config_selectorIjN6thrust23THRUST_200600_302600_NS5tupleIffNS6_9null_typeES8_S8_S8_S8_S8_S8_S8_EEEEZZNS1_27merge_sort_block_merge_implIS3_NS6_6detail15normal_iteratorINS6_10device_ptrIjEEEENSD_INSE_IS9_EEEEjNS1_19radix_merge_compareILb0ELb1EjNS0_19identity_decomposerEEEEE10hipError_tT0_T1_T2_jT3_P12ihipStream_tbPNSt15iterator_traitsISN_E10value_typeEPNST_ISO_E10value_typeEPSP_NS1_7vsmem_tEENKUlT_SN_SO_SP_E_clIPjSG_PS9_SI_EESM_S12_SN_SO_SP_EUlS12_E_NS1_11comp_targetILNS1_3genE8ELNS1_11target_archE1030ELNS1_3gpuE2ELNS1_3repE0EEENS1_48merge_mergepath_partition_config_static_selectorELNS0_4arch9wavefront6targetE1EEEvSO_,@function
_ZN7rocprim17ROCPRIM_400000_NS6detail17trampoline_kernelINS0_14default_configENS1_38merge_sort_block_merge_config_selectorIjN6thrust23THRUST_200600_302600_NS5tupleIffNS6_9null_typeES8_S8_S8_S8_S8_S8_S8_EEEEZZNS1_27merge_sort_block_merge_implIS3_NS6_6detail15normal_iteratorINS6_10device_ptrIjEEEENSD_INSE_IS9_EEEEjNS1_19radix_merge_compareILb0ELb1EjNS0_19identity_decomposerEEEEE10hipError_tT0_T1_T2_jT3_P12ihipStream_tbPNSt15iterator_traitsISN_E10value_typeEPNST_ISO_E10value_typeEPSP_NS1_7vsmem_tEENKUlT_SN_SO_SP_E_clIPjSG_PS9_SI_EESM_S12_SN_SO_SP_EUlS12_E_NS1_11comp_targetILNS1_3genE8ELNS1_11target_archE1030ELNS1_3gpuE2ELNS1_3repE0EEENS1_48merge_mergepath_partition_config_static_selectorELNS0_4arch9wavefront6targetE1EEEvSO_: ; @_ZN7rocprim17ROCPRIM_400000_NS6detail17trampoline_kernelINS0_14default_configENS1_38merge_sort_block_merge_config_selectorIjN6thrust23THRUST_200600_302600_NS5tupleIffNS6_9null_typeES8_S8_S8_S8_S8_S8_S8_EEEEZZNS1_27merge_sort_block_merge_implIS3_NS6_6detail15normal_iteratorINS6_10device_ptrIjEEEENSD_INSE_IS9_EEEEjNS1_19radix_merge_compareILb0ELb1EjNS0_19identity_decomposerEEEEE10hipError_tT0_T1_T2_jT3_P12ihipStream_tbPNSt15iterator_traitsISN_E10value_typeEPNST_ISO_E10value_typeEPSP_NS1_7vsmem_tEENKUlT_SN_SO_SP_E_clIPjSG_PS9_SI_EESM_S12_SN_SO_SP_EUlS12_E_NS1_11comp_targetILNS1_3genE8ELNS1_11target_archE1030ELNS1_3gpuE2ELNS1_3repE0EEENS1_48merge_mergepath_partition_config_static_selectorELNS0_4arch9wavefront6targetE1EEEvSO_
; %bb.0:
	.section	.rodata,"a",@progbits
	.p2align	6, 0x0
	.amdhsa_kernel _ZN7rocprim17ROCPRIM_400000_NS6detail17trampoline_kernelINS0_14default_configENS1_38merge_sort_block_merge_config_selectorIjN6thrust23THRUST_200600_302600_NS5tupleIffNS6_9null_typeES8_S8_S8_S8_S8_S8_S8_EEEEZZNS1_27merge_sort_block_merge_implIS3_NS6_6detail15normal_iteratorINS6_10device_ptrIjEEEENSD_INSE_IS9_EEEEjNS1_19radix_merge_compareILb0ELb1EjNS0_19identity_decomposerEEEEE10hipError_tT0_T1_T2_jT3_P12ihipStream_tbPNSt15iterator_traitsISN_E10value_typeEPNST_ISO_E10value_typeEPSP_NS1_7vsmem_tEENKUlT_SN_SO_SP_E_clIPjSG_PS9_SI_EESM_S12_SN_SO_SP_EUlS12_E_NS1_11comp_targetILNS1_3genE8ELNS1_11target_archE1030ELNS1_3gpuE2ELNS1_3repE0EEENS1_48merge_mergepath_partition_config_static_selectorELNS0_4arch9wavefront6targetE1EEEvSO_
		.amdhsa_group_segment_fixed_size 0
		.amdhsa_private_segment_fixed_size 0
		.amdhsa_kernarg_size 40
		.amdhsa_user_sgpr_count 6
		.amdhsa_user_sgpr_private_segment_buffer 1
		.amdhsa_user_sgpr_dispatch_ptr 0
		.amdhsa_user_sgpr_queue_ptr 0
		.amdhsa_user_sgpr_kernarg_segment_ptr 1
		.amdhsa_user_sgpr_dispatch_id 0
		.amdhsa_user_sgpr_flat_scratch_init 0
		.amdhsa_user_sgpr_kernarg_preload_length 0
		.amdhsa_user_sgpr_kernarg_preload_offset 0
		.amdhsa_user_sgpr_private_segment_size 0
		.amdhsa_uses_dynamic_stack 0
		.amdhsa_system_sgpr_private_segment_wavefront_offset 0
		.amdhsa_system_sgpr_workgroup_id_x 1
		.amdhsa_system_sgpr_workgroup_id_y 0
		.amdhsa_system_sgpr_workgroup_id_z 0
		.amdhsa_system_sgpr_workgroup_info 0
		.amdhsa_system_vgpr_workitem_id 0
		.amdhsa_next_free_vgpr 1
		.amdhsa_next_free_sgpr 0
		.amdhsa_accum_offset 4
		.amdhsa_reserve_vcc 0
		.amdhsa_reserve_flat_scratch 0
		.amdhsa_float_round_mode_32 0
		.amdhsa_float_round_mode_16_64 0
		.amdhsa_float_denorm_mode_32 3
		.amdhsa_float_denorm_mode_16_64 3
		.amdhsa_dx10_clamp 1
		.amdhsa_ieee_mode 1
		.amdhsa_fp16_overflow 0
		.amdhsa_tg_split 0
		.amdhsa_exception_fp_ieee_invalid_op 0
		.amdhsa_exception_fp_denorm_src 0
		.amdhsa_exception_fp_ieee_div_zero 0
		.amdhsa_exception_fp_ieee_overflow 0
		.amdhsa_exception_fp_ieee_underflow 0
		.amdhsa_exception_fp_ieee_inexact 0
		.amdhsa_exception_int_div_zero 0
	.end_amdhsa_kernel
	.section	.text._ZN7rocprim17ROCPRIM_400000_NS6detail17trampoline_kernelINS0_14default_configENS1_38merge_sort_block_merge_config_selectorIjN6thrust23THRUST_200600_302600_NS5tupleIffNS6_9null_typeES8_S8_S8_S8_S8_S8_S8_EEEEZZNS1_27merge_sort_block_merge_implIS3_NS6_6detail15normal_iteratorINS6_10device_ptrIjEEEENSD_INSE_IS9_EEEEjNS1_19radix_merge_compareILb0ELb1EjNS0_19identity_decomposerEEEEE10hipError_tT0_T1_T2_jT3_P12ihipStream_tbPNSt15iterator_traitsISN_E10value_typeEPNST_ISO_E10value_typeEPSP_NS1_7vsmem_tEENKUlT_SN_SO_SP_E_clIPjSG_PS9_SI_EESM_S12_SN_SO_SP_EUlS12_E_NS1_11comp_targetILNS1_3genE8ELNS1_11target_archE1030ELNS1_3gpuE2ELNS1_3repE0EEENS1_48merge_mergepath_partition_config_static_selectorELNS0_4arch9wavefront6targetE1EEEvSO_,"axG",@progbits,_ZN7rocprim17ROCPRIM_400000_NS6detail17trampoline_kernelINS0_14default_configENS1_38merge_sort_block_merge_config_selectorIjN6thrust23THRUST_200600_302600_NS5tupleIffNS6_9null_typeES8_S8_S8_S8_S8_S8_S8_EEEEZZNS1_27merge_sort_block_merge_implIS3_NS6_6detail15normal_iteratorINS6_10device_ptrIjEEEENSD_INSE_IS9_EEEEjNS1_19radix_merge_compareILb0ELb1EjNS0_19identity_decomposerEEEEE10hipError_tT0_T1_T2_jT3_P12ihipStream_tbPNSt15iterator_traitsISN_E10value_typeEPNST_ISO_E10value_typeEPSP_NS1_7vsmem_tEENKUlT_SN_SO_SP_E_clIPjSG_PS9_SI_EESM_S12_SN_SO_SP_EUlS12_E_NS1_11comp_targetILNS1_3genE8ELNS1_11target_archE1030ELNS1_3gpuE2ELNS1_3repE0EEENS1_48merge_mergepath_partition_config_static_selectorELNS0_4arch9wavefront6targetE1EEEvSO_,comdat
.Lfunc_end98:
	.size	_ZN7rocprim17ROCPRIM_400000_NS6detail17trampoline_kernelINS0_14default_configENS1_38merge_sort_block_merge_config_selectorIjN6thrust23THRUST_200600_302600_NS5tupleIffNS6_9null_typeES8_S8_S8_S8_S8_S8_S8_EEEEZZNS1_27merge_sort_block_merge_implIS3_NS6_6detail15normal_iteratorINS6_10device_ptrIjEEEENSD_INSE_IS9_EEEEjNS1_19radix_merge_compareILb0ELb1EjNS0_19identity_decomposerEEEEE10hipError_tT0_T1_T2_jT3_P12ihipStream_tbPNSt15iterator_traitsISN_E10value_typeEPNST_ISO_E10value_typeEPSP_NS1_7vsmem_tEENKUlT_SN_SO_SP_E_clIPjSG_PS9_SI_EESM_S12_SN_SO_SP_EUlS12_E_NS1_11comp_targetILNS1_3genE8ELNS1_11target_archE1030ELNS1_3gpuE2ELNS1_3repE0EEENS1_48merge_mergepath_partition_config_static_selectorELNS0_4arch9wavefront6targetE1EEEvSO_, .Lfunc_end98-_ZN7rocprim17ROCPRIM_400000_NS6detail17trampoline_kernelINS0_14default_configENS1_38merge_sort_block_merge_config_selectorIjN6thrust23THRUST_200600_302600_NS5tupleIffNS6_9null_typeES8_S8_S8_S8_S8_S8_S8_EEEEZZNS1_27merge_sort_block_merge_implIS3_NS6_6detail15normal_iteratorINS6_10device_ptrIjEEEENSD_INSE_IS9_EEEEjNS1_19radix_merge_compareILb0ELb1EjNS0_19identity_decomposerEEEEE10hipError_tT0_T1_T2_jT3_P12ihipStream_tbPNSt15iterator_traitsISN_E10value_typeEPNST_ISO_E10value_typeEPSP_NS1_7vsmem_tEENKUlT_SN_SO_SP_E_clIPjSG_PS9_SI_EESM_S12_SN_SO_SP_EUlS12_E_NS1_11comp_targetILNS1_3genE8ELNS1_11target_archE1030ELNS1_3gpuE2ELNS1_3repE0EEENS1_48merge_mergepath_partition_config_static_selectorELNS0_4arch9wavefront6targetE1EEEvSO_
                                        ; -- End function
	.section	.AMDGPU.csdata,"",@progbits
; Kernel info:
; codeLenInByte = 0
; NumSgprs: 4
; NumVgprs: 0
; NumAgprs: 0
; TotalNumVgprs: 0
; ScratchSize: 0
; MemoryBound: 0
; FloatMode: 240
; IeeeMode: 1
; LDSByteSize: 0 bytes/workgroup (compile time only)
; SGPRBlocks: 0
; VGPRBlocks: 0
; NumSGPRsForWavesPerEU: 4
; NumVGPRsForWavesPerEU: 1
; AccumOffset: 4
; Occupancy: 8
; WaveLimiterHint : 0
; COMPUTE_PGM_RSRC2:SCRATCH_EN: 0
; COMPUTE_PGM_RSRC2:USER_SGPR: 6
; COMPUTE_PGM_RSRC2:TRAP_HANDLER: 0
; COMPUTE_PGM_RSRC2:TGID_X_EN: 1
; COMPUTE_PGM_RSRC2:TGID_Y_EN: 0
; COMPUTE_PGM_RSRC2:TGID_Z_EN: 0
; COMPUTE_PGM_RSRC2:TIDIG_COMP_CNT: 0
; COMPUTE_PGM_RSRC3_GFX90A:ACCUM_OFFSET: 0
; COMPUTE_PGM_RSRC3_GFX90A:TG_SPLIT: 0
	.section	.text._ZN7rocprim17ROCPRIM_400000_NS6detail17trampoline_kernelINS0_14default_configENS1_38merge_sort_block_merge_config_selectorIjN6thrust23THRUST_200600_302600_NS5tupleIffNS6_9null_typeES8_S8_S8_S8_S8_S8_S8_EEEEZZNS1_27merge_sort_block_merge_implIS3_NS6_6detail15normal_iteratorINS6_10device_ptrIjEEEENSD_INSE_IS9_EEEEjNS1_19radix_merge_compareILb0ELb1EjNS0_19identity_decomposerEEEEE10hipError_tT0_T1_T2_jT3_P12ihipStream_tbPNSt15iterator_traitsISN_E10value_typeEPNST_ISO_E10value_typeEPSP_NS1_7vsmem_tEENKUlT_SN_SO_SP_E_clIPjSG_PS9_SI_EESM_S12_SN_SO_SP_EUlS12_E0_NS1_11comp_targetILNS1_3genE0ELNS1_11target_archE4294967295ELNS1_3gpuE0ELNS1_3repE0EEENS1_38merge_mergepath_config_static_selectorELNS0_4arch9wavefront6targetE1EEEvSO_,"axG",@progbits,_ZN7rocprim17ROCPRIM_400000_NS6detail17trampoline_kernelINS0_14default_configENS1_38merge_sort_block_merge_config_selectorIjN6thrust23THRUST_200600_302600_NS5tupleIffNS6_9null_typeES8_S8_S8_S8_S8_S8_S8_EEEEZZNS1_27merge_sort_block_merge_implIS3_NS6_6detail15normal_iteratorINS6_10device_ptrIjEEEENSD_INSE_IS9_EEEEjNS1_19radix_merge_compareILb0ELb1EjNS0_19identity_decomposerEEEEE10hipError_tT0_T1_T2_jT3_P12ihipStream_tbPNSt15iterator_traitsISN_E10value_typeEPNST_ISO_E10value_typeEPSP_NS1_7vsmem_tEENKUlT_SN_SO_SP_E_clIPjSG_PS9_SI_EESM_S12_SN_SO_SP_EUlS12_E0_NS1_11comp_targetILNS1_3genE0ELNS1_11target_archE4294967295ELNS1_3gpuE0ELNS1_3repE0EEENS1_38merge_mergepath_config_static_selectorELNS0_4arch9wavefront6targetE1EEEvSO_,comdat
	.protected	_ZN7rocprim17ROCPRIM_400000_NS6detail17trampoline_kernelINS0_14default_configENS1_38merge_sort_block_merge_config_selectorIjN6thrust23THRUST_200600_302600_NS5tupleIffNS6_9null_typeES8_S8_S8_S8_S8_S8_S8_EEEEZZNS1_27merge_sort_block_merge_implIS3_NS6_6detail15normal_iteratorINS6_10device_ptrIjEEEENSD_INSE_IS9_EEEEjNS1_19radix_merge_compareILb0ELb1EjNS0_19identity_decomposerEEEEE10hipError_tT0_T1_T2_jT3_P12ihipStream_tbPNSt15iterator_traitsISN_E10value_typeEPNST_ISO_E10value_typeEPSP_NS1_7vsmem_tEENKUlT_SN_SO_SP_E_clIPjSG_PS9_SI_EESM_S12_SN_SO_SP_EUlS12_E0_NS1_11comp_targetILNS1_3genE0ELNS1_11target_archE4294967295ELNS1_3gpuE0ELNS1_3repE0EEENS1_38merge_mergepath_config_static_selectorELNS0_4arch9wavefront6targetE1EEEvSO_ ; -- Begin function _ZN7rocprim17ROCPRIM_400000_NS6detail17trampoline_kernelINS0_14default_configENS1_38merge_sort_block_merge_config_selectorIjN6thrust23THRUST_200600_302600_NS5tupleIffNS6_9null_typeES8_S8_S8_S8_S8_S8_S8_EEEEZZNS1_27merge_sort_block_merge_implIS3_NS6_6detail15normal_iteratorINS6_10device_ptrIjEEEENSD_INSE_IS9_EEEEjNS1_19radix_merge_compareILb0ELb1EjNS0_19identity_decomposerEEEEE10hipError_tT0_T1_T2_jT3_P12ihipStream_tbPNSt15iterator_traitsISN_E10value_typeEPNST_ISO_E10value_typeEPSP_NS1_7vsmem_tEENKUlT_SN_SO_SP_E_clIPjSG_PS9_SI_EESM_S12_SN_SO_SP_EUlS12_E0_NS1_11comp_targetILNS1_3genE0ELNS1_11target_archE4294967295ELNS1_3gpuE0ELNS1_3repE0EEENS1_38merge_mergepath_config_static_selectorELNS0_4arch9wavefront6targetE1EEEvSO_
	.globl	_ZN7rocprim17ROCPRIM_400000_NS6detail17trampoline_kernelINS0_14default_configENS1_38merge_sort_block_merge_config_selectorIjN6thrust23THRUST_200600_302600_NS5tupleIffNS6_9null_typeES8_S8_S8_S8_S8_S8_S8_EEEEZZNS1_27merge_sort_block_merge_implIS3_NS6_6detail15normal_iteratorINS6_10device_ptrIjEEEENSD_INSE_IS9_EEEEjNS1_19radix_merge_compareILb0ELb1EjNS0_19identity_decomposerEEEEE10hipError_tT0_T1_T2_jT3_P12ihipStream_tbPNSt15iterator_traitsISN_E10value_typeEPNST_ISO_E10value_typeEPSP_NS1_7vsmem_tEENKUlT_SN_SO_SP_E_clIPjSG_PS9_SI_EESM_S12_SN_SO_SP_EUlS12_E0_NS1_11comp_targetILNS1_3genE0ELNS1_11target_archE4294967295ELNS1_3gpuE0ELNS1_3repE0EEENS1_38merge_mergepath_config_static_selectorELNS0_4arch9wavefront6targetE1EEEvSO_
	.p2align	8
	.type	_ZN7rocprim17ROCPRIM_400000_NS6detail17trampoline_kernelINS0_14default_configENS1_38merge_sort_block_merge_config_selectorIjN6thrust23THRUST_200600_302600_NS5tupleIffNS6_9null_typeES8_S8_S8_S8_S8_S8_S8_EEEEZZNS1_27merge_sort_block_merge_implIS3_NS6_6detail15normal_iteratorINS6_10device_ptrIjEEEENSD_INSE_IS9_EEEEjNS1_19radix_merge_compareILb0ELb1EjNS0_19identity_decomposerEEEEE10hipError_tT0_T1_T2_jT3_P12ihipStream_tbPNSt15iterator_traitsISN_E10value_typeEPNST_ISO_E10value_typeEPSP_NS1_7vsmem_tEENKUlT_SN_SO_SP_E_clIPjSG_PS9_SI_EESM_S12_SN_SO_SP_EUlS12_E0_NS1_11comp_targetILNS1_3genE0ELNS1_11target_archE4294967295ELNS1_3gpuE0ELNS1_3repE0EEENS1_38merge_mergepath_config_static_selectorELNS0_4arch9wavefront6targetE1EEEvSO_,@function
_ZN7rocprim17ROCPRIM_400000_NS6detail17trampoline_kernelINS0_14default_configENS1_38merge_sort_block_merge_config_selectorIjN6thrust23THRUST_200600_302600_NS5tupleIffNS6_9null_typeES8_S8_S8_S8_S8_S8_S8_EEEEZZNS1_27merge_sort_block_merge_implIS3_NS6_6detail15normal_iteratorINS6_10device_ptrIjEEEENSD_INSE_IS9_EEEEjNS1_19radix_merge_compareILb0ELb1EjNS0_19identity_decomposerEEEEE10hipError_tT0_T1_T2_jT3_P12ihipStream_tbPNSt15iterator_traitsISN_E10value_typeEPNST_ISO_E10value_typeEPSP_NS1_7vsmem_tEENKUlT_SN_SO_SP_E_clIPjSG_PS9_SI_EESM_S12_SN_SO_SP_EUlS12_E0_NS1_11comp_targetILNS1_3genE0ELNS1_11target_archE4294967295ELNS1_3gpuE0ELNS1_3repE0EEENS1_38merge_mergepath_config_static_selectorELNS0_4arch9wavefront6targetE1EEEvSO_: ; @_ZN7rocprim17ROCPRIM_400000_NS6detail17trampoline_kernelINS0_14default_configENS1_38merge_sort_block_merge_config_selectorIjN6thrust23THRUST_200600_302600_NS5tupleIffNS6_9null_typeES8_S8_S8_S8_S8_S8_S8_EEEEZZNS1_27merge_sort_block_merge_implIS3_NS6_6detail15normal_iteratorINS6_10device_ptrIjEEEENSD_INSE_IS9_EEEEjNS1_19radix_merge_compareILb0ELb1EjNS0_19identity_decomposerEEEEE10hipError_tT0_T1_T2_jT3_P12ihipStream_tbPNSt15iterator_traitsISN_E10value_typeEPNST_ISO_E10value_typeEPSP_NS1_7vsmem_tEENKUlT_SN_SO_SP_E_clIPjSG_PS9_SI_EESM_S12_SN_SO_SP_EUlS12_E0_NS1_11comp_targetILNS1_3genE0ELNS1_11target_archE4294967295ELNS1_3gpuE0ELNS1_3repE0EEENS1_38merge_mergepath_config_static_selectorELNS0_4arch9wavefront6targetE1EEEvSO_
; %bb.0:
	.section	.rodata,"a",@progbits
	.p2align	6, 0x0
	.amdhsa_kernel _ZN7rocprim17ROCPRIM_400000_NS6detail17trampoline_kernelINS0_14default_configENS1_38merge_sort_block_merge_config_selectorIjN6thrust23THRUST_200600_302600_NS5tupleIffNS6_9null_typeES8_S8_S8_S8_S8_S8_S8_EEEEZZNS1_27merge_sort_block_merge_implIS3_NS6_6detail15normal_iteratorINS6_10device_ptrIjEEEENSD_INSE_IS9_EEEEjNS1_19radix_merge_compareILb0ELb1EjNS0_19identity_decomposerEEEEE10hipError_tT0_T1_T2_jT3_P12ihipStream_tbPNSt15iterator_traitsISN_E10value_typeEPNST_ISO_E10value_typeEPSP_NS1_7vsmem_tEENKUlT_SN_SO_SP_E_clIPjSG_PS9_SI_EESM_S12_SN_SO_SP_EUlS12_E0_NS1_11comp_targetILNS1_3genE0ELNS1_11target_archE4294967295ELNS1_3gpuE0ELNS1_3repE0EEENS1_38merge_mergepath_config_static_selectorELNS0_4arch9wavefront6targetE1EEEvSO_
		.amdhsa_group_segment_fixed_size 0
		.amdhsa_private_segment_fixed_size 0
		.amdhsa_kernarg_size 64
		.amdhsa_user_sgpr_count 6
		.amdhsa_user_sgpr_private_segment_buffer 1
		.amdhsa_user_sgpr_dispatch_ptr 0
		.amdhsa_user_sgpr_queue_ptr 0
		.amdhsa_user_sgpr_kernarg_segment_ptr 1
		.amdhsa_user_sgpr_dispatch_id 0
		.amdhsa_user_sgpr_flat_scratch_init 0
		.amdhsa_user_sgpr_kernarg_preload_length 0
		.amdhsa_user_sgpr_kernarg_preload_offset 0
		.amdhsa_user_sgpr_private_segment_size 0
		.amdhsa_uses_dynamic_stack 0
		.amdhsa_system_sgpr_private_segment_wavefront_offset 0
		.amdhsa_system_sgpr_workgroup_id_x 1
		.amdhsa_system_sgpr_workgroup_id_y 0
		.amdhsa_system_sgpr_workgroup_id_z 0
		.amdhsa_system_sgpr_workgroup_info 0
		.amdhsa_system_vgpr_workitem_id 0
		.amdhsa_next_free_vgpr 1
		.amdhsa_next_free_sgpr 0
		.amdhsa_accum_offset 4
		.amdhsa_reserve_vcc 0
		.amdhsa_reserve_flat_scratch 0
		.amdhsa_float_round_mode_32 0
		.amdhsa_float_round_mode_16_64 0
		.amdhsa_float_denorm_mode_32 3
		.amdhsa_float_denorm_mode_16_64 3
		.amdhsa_dx10_clamp 1
		.amdhsa_ieee_mode 1
		.amdhsa_fp16_overflow 0
		.amdhsa_tg_split 0
		.amdhsa_exception_fp_ieee_invalid_op 0
		.amdhsa_exception_fp_denorm_src 0
		.amdhsa_exception_fp_ieee_div_zero 0
		.amdhsa_exception_fp_ieee_overflow 0
		.amdhsa_exception_fp_ieee_underflow 0
		.amdhsa_exception_fp_ieee_inexact 0
		.amdhsa_exception_int_div_zero 0
	.end_amdhsa_kernel
	.section	.text._ZN7rocprim17ROCPRIM_400000_NS6detail17trampoline_kernelINS0_14default_configENS1_38merge_sort_block_merge_config_selectorIjN6thrust23THRUST_200600_302600_NS5tupleIffNS6_9null_typeES8_S8_S8_S8_S8_S8_S8_EEEEZZNS1_27merge_sort_block_merge_implIS3_NS6_6detail15normal_iteratorINS6_10device_ptrIjEEEENSD_INSE_IS9_EEEEjNS1_19radix_merge_compareILb0ELb1EjNS0_19identity_decomposerEEEEE10hipError_tT0_T1_T2_jT3_P12ihipStream_tbPNSt15iterator_traitsISN_E10value_typeEPNST_ISO_E10value_typeEPSP_NS1_7vsmem_tEENKUlT_SN_SO_SP_E_clIPjSG_PS9_SI_EESM_S12_SN_SO_SP_EUlS12_E0_NS1_11comp_targetILNS1_3genE0ELNS1_11target_archE4294967295ELNS1_3gpuE0ELNS1_3repE0EEENS1_38merge_mergepath_config_static_selectorELNS0_4arch9wavefront6targetE1EEEvSO_,"axG",@progbits,_ZN7rocprim17ROCPRIM_400000_NS6detail17trampoline_kernelINS0_14default_configENS1_38merge_sort_block_merge_config_selectorIjN6thrust23THRUST_200600_302600_NS5tupleIffNS6_9null_typeES8_S8_S8_S8_S8_S8_S8_EEEEZZNS1_27merge_sort_block_merge_implIS3_NS6_6detail15normal_iteratorINS6_10device_ptrIjEEEENSD_INSE_IS9_EEEEjNS1_19radix_merge_compareILb0ELb1EjNS0_19identity_decomposerEEEEE10hipError_tT0_T1_T2_jT3_P12ihipStream_tbPNSt15iterator_traitsISN_E10value_typeEPNST_ISO_E10value_typeEPSP_NS1_7vsmem_tEENKUlT_SN_SO_SP_E_clIPjSG_PS9_SI_EESM_S12_SN_SO_SP_EUlS12_E0_NS1_11comp_targetILNS1_3genE0ELNS1_11target_archE4294967295ELNS1_3gpuE0ELNS1_3repE0EEENS1_38merge_mergepath_config_static_selectorELNS0_4arch9wavefront6targetE1EEEvSO_,comdat
.Lfunc_end99:
	.size	_ZN7rocprim17ROCPRIM_400000_NS6detail17trampoline_kernelINS0_14default_configENS1_38merge_sort_block_merge_config_selectorIjN6thrust23THRUST_200600_302600_NS5tupleIffNS6_9null_typeES8_S8_S8_S8_S8_S8_S8_EEEEZZNS1_27merge_sort_block_merge_implIS3_NS6_6detail15normal_iteratorINS6_10device_ptrIjEEEENSD_INSE_IS9_EEEEjNS1_19radix_merge_compareILb0ELb1EjNS0_19identity_decomposerEEEEE10hipError_tT0_T1_T2_jT3_P12ihipStream_tbPNSt15iterator_traitsISN_E10value_typeEPNST_ISO_E10value_typeEPSP_NS1_7vsmem_tEENKUlT_SN_SO_SP_E_clIPjSG_PS9_SI_EESM_S12_SN_SO_SP_EUlS12_E0_NS1_11comp_targetILNS1_3genE0ELNS1_11target_archE4294967295ELNS1_3gpuE0ELNS1_3repE0EEENS1_38merge_mergepath_config_static_selectorELNS0_4arch9wavefront6targetE1EEEvSO_, .Lfunc_end99-_ZN7rocprim17ROCPRIM_400000_NS6detail17trampoline_kernelINS0_14default_configENS1_38merge_sort_block_merge_config_selectorIjN6thrust23THRUST_200600_302600_NS5tupleIffNS6_9null_typeES8_S8_S8_S8_S8_S8_S8_EEEEZZNS1_27merge_sort_block_merge_implIS3_NS6_6detail15normal_iteratorINS6_10device_ptrIjEEEENSD_INSE_IS9_EEEEjNS1_19radix_merge_compareILb0ELb1EjNS0_19identity_decomposerEEEEE10hipError_tT0_T1_T2_jT3_P12ihipStream_tbPNSt15iterator_traitsISN_E10value_typeEPNST_ISO_E10value_typeEPSP_NS1_7vsmem_tEENKUlT_SN_SO_SP_E_clIPjSG_PS9_SI_EESM_S12_SN_SO_SP_EUlS12_E0_NS1_11comp_targetILNS1_3genE0ELNS1_11target_archE4294967295ELNS1_3gpuE0ELNS1_3repE0EEENS1_38merge_mergepath_config_static_selectorELNS0_4arch9wavefront6targetE1EEEvSO_
                                        ; -- End function
	.section	.AMDGPU.csdata,"",@progbits
; Kernel info:
; codeLenInByte = 0
; NumSgprs: 4
; NumVgprs: 0
; NumAgprs: 0
; TotalNumVgprs: 0
; ScratchSize: 0
; MemoryBound: 0
; FloatMode: 240
; IeeeMode: 1
; LDSByteSize: 0 bytes/workgroup (compile time only)
; SGPRBlocks: 0
; VGPRBlocks: 0
; NumSGPRsForWavesPerEU: 4
; NumVGPRsForWavesPerEU: 1
; AccumOffset: 4
; Occupancy: 8
; WaveLimiterHint : 0
; COMPUTE_PGM_RSRC2:SCRATCH_EN: 0
; COMPUTE_PGM_RSRC2:USER_SGPR: 6
; COMPUTE_PGM_RSRC2:TRAP_HANDLER: 0
; COMPUTE_PGM_RSRC2:TGID_X_EN: 1
; COMPUTE_PGM_RSRC2:TGID_Y_EN: 0
; COMPUTE_PGM_RSRC2:TGID_Z_EN: 0
; COMPUTE_PGM_RSRC2:TIDIG_COMP_CNT: 0
; COMPUTE_PGM_RSRC3_GFX90A:ACCUM_OFFSET: 0
; COMPUTE_PGM_RSRC3_GFX90A:TG_SPLIT: 0
	.section	.text._ZN7rocprim17ROCPRIM_400000_NS6detail17trampoline_kernelINS0_14default_configENS1_38merge_sort_block_merge_config_selectorIjN6thrust23THRUST_200600_302600_NS5tupleIffNS6_9null_typeES8_S8_S8_S8_S8_S8_S8_EEEEZZNS1_27merge_sort_block_merge_implIS3_NS6_6detail15normal_iteratorINS6_10device_ptrIjEEEENSD_INSE_IS9_EEEEjNS1_19radix_merge_compareILb0ELb1EjNS0_19identity_decomposerEEEEE10hipError_tT0_T1_T2_jT3_P12ihipStream_tbPNSt15iterator_traitsISN_E10value_typeEPNST_ISO_E10value_typeEPSP_NS1_7vsmem_tEENKUlT_SN_SO_SP_E_clIPjSG_PS9_SI_EESM_S12_SN_SO_SP_EUlS12_E0_NS1_11comp_targetILNS1_3genE10ELNS1_11target_archE1201ELNS1_3gpuE5ELNS1_3repE0EEENS1_38merge_mergepath_config_static_selectorELNS0_4arch9wavefront6targetE1EEEvSO_,"axG",@progbits,_ZN7rocprim17ROCPRIM_400000_NS6detail17trampoline_kernelINS0_14default_configENS1_38merge_sort_block_merge_config_selectorIjN6thrust23THRUST_200600_302600_NS5tupleIffNS6_9null_typeES8_S8_S8_S8_S8_S8_S8_EEEEZZNS1_27merge_sort_block_merge_implIS3_NS6_6detail15normal_iteratorINS6_10device_ptrIjEEEENSD_INSE_IS9_EEEEjNS1_19radix_merge_compareILb0ELb1EjNS0_19identity_decomposerEEEEE10hipError_tT0_T1_T2_jT3_P12ihipStream_tbPNSt15iterator_traitsISN_E10value_typeEPNST_ISO_E10value_typeEPSP_NS1_7vsmem_tEENKUlT_SN_SO_SP_E_clIPjSG_PS9_SI_EESM_S12_SN_SO_SP_EUlS12_E0_NS1_11comp_targetILNS1_3genE10ELNS1_11target_archE1201ELNS1_3gpuE5ELNS1_3repE0EEENS1_38merge_mergepath_config_static_selectorELNS0_4arch9wavefront6targetE1EEEvSO_,comdat
	.protected	_ZN7rocprim17ROCPRIM_400000_NS6detail17trampoline_kernelINS0_14default_configENS1_38merge_sort_block_merge_config_selectorIjN6thrust23THRUST_200600_302600_NS5tupleIffNS6_9null_typeES8_S8_S8_S8_S8_S8_S8_EEEEZZNS1_27merge_sort_block_merge_implIS3_NS6_6detail15normal_iteratorINS6_10device_ptrIjEEEENSD_INSE_IS9_EEEEjNS1_19radix_merge_compareILb0ELb1EjNS0_19identity_decomposerEEEEE10hipError_tT0_T1_T2_jT3_P12ihipStream_tbPNSt15iterator_traitsISN_E10value_typeEPNST_ISO_E10value_typeEPSP_NS1_7vsmem_tEENKUlT_SN_SO_SP_E_clIPjSG_PS9_SI_EESM_S12_SN_SO_SP_EUlS12_E0_NS1_11comp_targetILNS1_3genE10ELNS1_11target_archE1201ELNS1_3gpuE5ELNS1_3repE0EEENS1_38merge_mergepath_config_static_selectorELNS0_4arch9wavefront6targetE1EEEvSO_ ; -- Begin function _ZN7rocprim17ROCPRIM_400000_NS6detail17trampoline_kernelINS0_14default_configENS1_38merge_sort_block_merge_config_selectorIjN6thrust23THRUST_200600_302600_NS5tupleIffNS6_9null_typeES8_S8_S8_S8_S8_S8_S8_EEEEZZNS1_27merge_sort_block_merge_implIS3_NS6_6detail15normal_iteratorINS6_10device_ptrIjEEEENSD_INSE_IS9_EEEEjNS1_19radix_merge_compareILb0ELb1EjNS0_19identity_decomposerEEEEE10hipError_tT0_T1_T2_jT3_P12ihipStream_tbPNSt15iterator_traitsISN_E10value_typeEPNST_ISO_E10value_typeEPSP_NS1_7vsmem_tEENKUlT_SN_SO_SP_E_clIPjSG_PS9_SI_EESM_S12_SN_SO_SP_EUlS12_E0_NS1_11comp_targetILNS1_3genE10ELNS1_11target_archE1201ELNS1_3gpuE5ELNS1_3repE0EEENS1_38merge_mergepath_config_static_selectorELNS0_4arch9wavefront6targetE1EEEvSO_
	.globl	_ZN7rocprim17ROCPRIM_400000_NS6detail17trampoline_kernelINS0_14default_configENS1_38merge_sort_block_merge_config_selectorIjN6thrust23THRUST_200600_302600_NS5tupleIffNS6_9null_typeES8_S8_S8_S8_S8_S8_S8_EEEEZZNS1_27merge_sort_block_merge_implIS3_NS6_6detail15normal_iteratorINS6_10device_ptrIjEEEENSD_INSE_IS9_EEEEjNS1_19radix_merge_compareILb0ELb1EjNS0_19identity_decomposerEEEEE10hipError_tT0_T1_T2_jT3_P12ihipStream_tbPNSt15iterator_traitsISN_E10value_typeEPNST_ISO_E10value_typeEPSP_NS1_7vsmem_tEENKUlT_SN_SO_SP_E_clIPjSG_PS9_SI_EESM_S12_SN_SO_SP_EUlS12_E0_NS1_11comp_targetILNS1_3genE10ELNS1_11target_archE1201ELNS1_3gpuE5ELNS1_3repE0EEENS1_38merge_mergepath_config_static_selectorELNS0_4arch9wavefront6targetE1EEEvSO_
	.p2align	8
	.type	_ZN7rocprim17ROCPRIM_400000_NS6detail17trampoline_kernelINS0_14default_configENS1_38merge_sort_block_merge_config_selectorIjN6thrust23THRUST_200600_302600_NS5tupleIffNS6_9null_typeES8_S8_S8_S8_S8_S8_S8_EEEEZZNS1_27merge_sort_block_merge_implIS3_NS6_6detail15normal_iteratorINS6_10device_ptrIjEEEENSD_INSE_IS9_EEEEjNS1_19radix_merge_compareILb0ELb1EjNS0_19identity_decomposerEEEEE10hipError_tT0_T1_T2_jT3_P12ihipStream_tbPNSt15iterator_traitsISN_E10value_typeEPNST_ISO_E10value_typeEPSP_NS1_7vsmem_tEENKUlT_SN_SO_SP_E_clIPjSG_PS9_SI_EESM_S12_SN_SO_SP_EUlS12_E0_NS1_11comp_targetILNS1_3genE10ELNS1_11target_archE1201ELNS1_3gpuE5ELNS1_3repE0EEENS1_38merge_mergepath_config_static_selectorELNS0_4arch9wavefront6targetE1EEEvSO_,@function
_ZN7rocprim17ROCPRIM_400000_NS6detail17trampoline_kernelINS0_14default_configENS1_38merge_sort_block_merge_config_selectorIjN6thrust23THRUST_200600_302600_NS5tupleIffNS6_9null_typeES8_S8_S8_S8_S8_S8_S8_EEEEZZNS1_27merge_sort_block_merge_implIS3_NS6_6detail15normal_iteratorINS6_10device_ptrIjEEEENSD_INSE_IS9_EEEEjNS1_19radix_merge_compareILb0ELb1EjNS0_19identity_decomposerEEEEE10hipError_tT0_T1_T2_jT3_P12ihipStream_tbPNSt15iterator_traitsISN_E10value_typeEPNST_ISO_E10value_typeEPSP_NS1_7vsmem_tEENKUlT_SN_SO_SP_E_clIPjSG_PS9_SI_EESM_S12_SN_SO_SP_EUlS12_E0_NS1_11comp_targetILNS1_3genE10ELNS1_11target_archE1201ELNS1_3gpuE5ELNS1_3repE0EEENS1_38merge_mergepath_config_static_selectorELNS0_4arch9wavefront6targetE1EEEvSO_: ; @_ZN7rocprim17ROCPRIM_400000_NS6detail17trampoline_kernelINS0_14default_configENS1_38merge_sort_block_merge_config_selectorIjN6thrust23THRUST_200600_302600_NS5tupleIffNS6_9null_typeES8_S8_S8_S8_S8_S8_S8_EEEEZZNS1_27merge_sort_block_merge_implIS3_NS6_6detail15normal_iteratorINS6_10device_ptrIjEEEENSD_INSE_IS9_EEEEjNS1_19radix_merge_compareILb0ELb1EjNS0_19identity_decomposerEEEEE10hipError_tT0_T1_T2_jT3_P12ihipStream_tbPNSt15iterator_traitsISN_E10value_typeEPNST_ISO_E10value_typeEPSP_NS1_7vsmem_tEENKUlT_SN_SO_SP_E_clIPjSG_PS9_SI_EESM_S12_SN_SO_SP_EUlS12_E0_NS1_11comp_targetILNS1_3genE10ELNS1_11target_archE1201ELNS1_3gpuE5ELNS1_3repE0EEENS1_38merge_mergepath_config_static_selectorELNS0_4arch9wavefront6targetE1EEEvSO_
; %bb.0:
	.section	.rodata,"a",@progbits
	.p2align	6, 0x0
	.amdhsa_kernel _ZN7rocprim17ROCPRIM_400000_NS6detail17trampoline_kernelINS0_14default_configENS1_38merge_sort_block_merge_config_selectorIjN6thrust23THRUST_200600_302600_NS5tupleIffNS6_9null_typeES8_S8_S8_S8_S8_S8_S8_EEEEZZNS1_27merge_sort_block_merge_implIS3_NS6_6detail15normal_iteratorINS6_10device_ptrIjEEEENSD_INSE_IS9_EEEEjNS1_19radix_merge_compareILb0ELb1EjNS0_19identity_decomposerEEEEE10hipError_tT0_T1_T2_jT3_P12ihipStream_tbPNSt15iterator_traitsISN_E10value_typeEPNST_ISO_E10value_typeEPSP_NS1_7vsmem_tEENKUlT_SN_SO_SP_E_clIPjSG_PS9_SI_EESM_S12_SN_SO_SP_EUlS12_E0_NS1_11comp_targetILNS1_3genE10ELNS1_11target_archE1201ELNS1_3gpuE5ELNS1_3repE0EEENS1_38merge_mergepath_config_static_selectorELNS0_4arch9wavefront6targetE1EEEvSO_
		.amdhsa_group_segment_fixed_size 0
		.amdhsa_private_segment_fixed_size 0
		.amdhsa_kernarg_size 64
		.amdhsa_user_sgpr_count 6
		.amdhsa_user_sgpr_private_segment_buffer 1
		.amdhsa_user_sgpr_dispatch_ptr 0
		.amdhsa_user_sgpr_queue_ptr 0
		.amdhsa_user_sgpr_kernarg_segment_ptr 1
		.amdhsa_user_sgpr_dispatch_id 0
		.amdhsa_user_sgpr_flat_scratch_init 0
		.amdhsa_user_sgpr_kernarg_preload_length 0
		.amdhsa_user_sgpr_kernarg_preload_offset 0
		.amdhsa_user_sgpr_private_segment_size 0
		.amdhsa_uses_dynamic_stack 0
		.amdhsa_system_sgpr_private_segment_wavefront_offset 0
		.amdhsa_system_sgpr_workgroup_id_x 1
		.amdhsa_system_sgpr_workgroup_id_y 0
		.amdhsa_system_sgpr_workgroup_id_z 0
		.amdhsa_system_sgpr_workgroup_info 0
		.amdhsa_system_vgpr_workitem_id 0
		.amdhsa_next_free_vgpr 1
		.amdhsa_next_free_sgpr 0
		.amdhsa_accum_offset 4
		.amdhsa_reserve_vcc 0
		.amdhsa_reserve_flat_scratch 0
		.amdhsa_float_round_mode_32 0
		.amdhsa_float_round_mode_16_64 0
		.amdhsa_float_denorm_mode_32 3
		.amdhsa_float_denorm_mode_16_64 3
		.amdhsa_dx10_clamp 1
		.amdhsa_ieee_mode 1
		.amdhsa_fp16_overflow 0
		.amdhsa_tg_split 0
		.amdhsa_exception_fp_ieee_invalid_op 0
		.amdhsa_exception_fp_denorm_src 0
		.amdhsa_exception_fp_ieee_div_zero 0
		.amdhsa_exception_fp_ieee_overflow 0
		.amdhsa_exception_fp_ieee_underflow 0
		.amdhsa_exception_fp_ieee_inexact 0
		.amdhsa_exception_int_div_zero 0
	.end_amdhsa_kernel
	.section	.text._ZN7rocprim17ROCPRIM_400000_NS6detail17trampoline_kernelINS0_14default_configENS1_38merge_sort_block_merge_config_selectorIjN6thrust23THRUST_200600_302600_NS5tupleIffNS6_9null_typeES8_S8_S8_S8_S8_S8_S8_EEEEZZNS1_27merge_sort_block_merge_implIS3_NS6_6detail15normal_iteratorINS6_10device_ptrIjEEEENSD_INSE_IS9_EEEEjNS1_19radix_merge_compareILb0ELb1EjNS0_19identity_decomposerEEEEE10hipError_tT0_T1_T2_jT3_P12ihipStream_tbPNSt15iterator_traitsISN_E10value_typeEPNST_ISO_E10value_typeEPSP_NS1_7vsmem_tEENKUlT_SN_SO_SP_E_clIPjSG_PS9_SI_EESM_S12_SN_SO_SP_EUlS12_E0_NS1_11comp_targetILNS1_3genE10ELNS1_11target_archE1201ELNS1_3gpuE5ELNS1_3repE0EEENS1_38merge_mergepath_config_static_selectorELNS0_4arch9wavefront6targetE1EEEvSO_,"axG",@progbits,_ZN7rocprim17ROCPRIM_400000_NS6detail17trampoline_kernelINS0_14default_configENS1_38merge_sort_block_merge_config_selectorIjN6thrust23THRUST_200600_302600_NS5tupleIffNS6_9null_typeES8_S8_S8_S8_S8_S8_S8_EEEEZZNS1_27merge_sort_block_merge_implIS3_NS6_6detail15normal_iteratorINS6_10device_ptrIjEEEENSD_INSE_IS9_EEEEjNS1_19radix_merge_compareILb0ELb1EjNS0_19identity_decomposerEEEEE10hipError_tT0_T1_T2_jT3_P12ihipStream_tbPNSt15iterator_traitsISN_E10value_typeEPNST_ISO_E10value_typeEPSP_NS1_7vsmem_tEENKUlT_SN_SO_SP_E_clIPjSG_PS9_SI_EESM_S12_SN_SO_SP_EUlS12_E0_NS1_11comp_targetILNS1_3genE10ELNS1_11target_archE1201ELNS1_3gpuE5ELNS1_3repE0EEENS1_38merge_mergepath_config_static_selectorELNS0_4arch9wavefront6targetE1EEEvSO_,comdat
.Lfunc_end100:
	.size	_ZN7rocprim17ROCPRIM_400000_NS6detail17trampoline_kernelINS0_14default_configENS1_38merge_sort_block_merge_config_selectorIjN6thrust23THRUST_200600_302600_NS5tupleIffNS6_9null_typeES8_S8_S8_S8_S8_S8_S8_EEEEZZNS1_27merge_sort_block_merge_implIS3_NS6_6detail15normal_iteratorINS6_10device_ptrIjEEEENSD_INSE_IS9_EEEEjNS1_19radix_merge_compareILb0ELb1EjNS0_19identity_decomposerEEEEE10hipError_tT0_T1_T2_jT3_P12ihipStream_tbPNSt15iterator_traitsISN_E10value_typeEPNST_ISO_E10value_typeEPSP_NS1_7vsmem_tEENKUlT_SN_SO_SP_E_clIPjSG_PS9_SI_EESM_S12_SN_SO_SP_EUlS12_E0_NS1_11comp_targetILNS1_3genE10ELNS1_11target_archE1201ELNS1_3gpuE5ELNS1_3repE0EEENS1_38merge_mergepath_config_static_selectorELNS0_4arch9wavefront6targetE1EEEvSO_, .Lfunc_end100-_ZN7rocprim17ROCPRIM_400000_NS6detail17trampoline_kernelINS0_14default_configENS1_38merge_sort_block_merge_config_selectorIjN6thrust23THRUST_200600_302600_NS5tupleIffNS6_9null_typeES8_S8_S8_S8_S8_S8_S8_EEEEZZNS1_27merge_sort_block_merge_implIS3_NS6_6detail15normal_iteratorINS6_10device_ptrIjEEEENSD_INSE_IS9_EEEEjNS1_19radix_merge_compareILb0ELb1EjNS0_19identity_decomposerEEEEE10hipError_tT0_T1_T2_jT3_P12ihipStream_tbPNSt15iterator_traitsISN_E10value_typeEPNST_ISO_E10value_typeEPSP_NS1_7vsmem_tEENKUlT_SN_SO_SP_E_clIPjSG_PS9_SI_EESM_S12_SN_SO_SP_EUlS12_E0_NS1_11comp_targetILNS1_3genE10ELNS1_11target_archE1201ELNS1_3gpuE5ELNS1_3repE0EEENS1_38merge_mergepath_config_static_selectorELNS0_4arch9wavefront6targetE1EEEvSO_
                                        ; -- End function
	.section	.AMDGPU.csdata,"",@progbits
; Kernel info:
; codeLenInByte = 0
; NumSgprs: 4
; NumVgprs: 0
; NumAgprs: 0
; TotalNumVgprs: 0
; ScratchSize: 0
; MemoryBound: 0
; FloatMode: 240
; IeeeMode: 1
; LDSByteSize: 0 bytes/workgroup (compile time only)
; SGPRBlocks: 0
; VGPRBlocks: 0
; NumSGPRsForWavesPerEU: 4
; NumVGPRsForWavesPerEU: 1
; AccumOffset: 4
; Occupancy: 8
; WaveLimiterHint : 0
; COMPUTE_PGM_RSRC2:SCRATCH_EN: 0
; COMPUTE_PGM_RSRC2:USER_SGPR: 6
; COMPUTE_PGM_RSRC2:TRAP_HANDLER: 0
; COMPUTE_PGM_RSRC2:TGID_X_EN: 1
; COMPUTE_PGM_RSRC2:TGID_Y_EN: 0
; COMPUTE_PGM_RSRC2:TGID_Z_EN: 0
; COMPUTE_PGM_RSRC2:TIDIG_COMP_CNT: 0
; COMPUTE_PGM_RSRC3_GFX90A:ACCUM_OFFSET: 0
; COMPUTE_PGM_RSRC3_GFX90A:TG_SPLIT: 0
	.section	.text._ZN7rocprim17ROCPRIM_400000_NS6detail17trampoline_kernelINS0_14default_configENS1_38merge_sort_block_merge_config_selectorIjN6thrust23THRUST_200600_302600_NS5tupleIffNS6_9null_typeES8_S8_S8_S8_S8_S8_S8_EEEEZZNS1_27merge_sort_block_merge_implIS3_NS6_6detail15normal_iteratorINS6_10device_ptrIjEEEENSD_INSE_IS9_EEEEjNS1_19radix_merge_compareILb0ELb1EjNS0_19identity_decomposerEEEEE10hipError_tT0_T1_T2_jT3_P12ihipStream_tbPNSt15iterator_traitsISN_E10value_typeEPNST_ISO_E10value_typeEPSP_NS1_7vsmem_tEENKUlT_SN_SO_SP_E_clIPjSG_PS9_SI_EESM_S12_SN_SO_SP_EUlS12_E0_NS1_11comp_targetILNS1_3genE5ELNS1_11target_archE942ELNS1_3gpuE9ELNS1_3repE0EEENS1_38merge_mergepath_config_static_selectorELNS0_4arch9wavefront6targetE1EEEvSO_,"axG",@progbits,_ZN7rocprim17ROCPRIM_400000_NS6detail17trampoline_kernelINS0_14default_configENS1_38merge_sort_block_merge_config_selectorIjN6thrust23THRUST_200600_302600_NS5tupleIffNS6_9null_typeES8_S8_S8_S8_S8_S8_S8_EEEEZZNS1_27merge_sort_block_merge_implIS3_NS6_6detail15normal_iteratorINS6_10device_ptrIjEEEENSD_INSE_IS9_EEEEjNS1_19radix_merge_compareILb0ELb1EjNS0_19identity_decomposerEEEEE10hipError_tT0_T1_T2_jT3_P12ihipStream_tbPNSt15iterator_traitsISN_E10value_typeEPNST_ISO_E10value_typeEPSP_NS1_7vsmem_tEENKUlT_SN_SO_SP_E_clIPjSG_PS9_SI_EESM_S12_SN_SO_SP_EUlS12_E0_NS1_11comp_targetILNS1_3genE5ELNS1_11target_archE942ELNS1_3gpuE9ELNS1_3repE0EEENS1_38merge_mergepath_config_static_selectorELNS0_4arch9wavefront6targetE1EEEvSO_,comdat
	.protected	_ZN7rocprim17ROCPRIM_400000_NS6detail17trampoline_kernelINS0_14default_configENS1_38merge_sort_block_merge_config_selectorIjN6thrust23THRUST_200600_302600_NS5tupleIffNS6_9null_typeES8_S8_S8_S8_S8_S8_S8_EEEEZZNS1_27merge_sort_block_merge_implIS3_NS6_6detail15normal_iteratorINS6_10device_ptrIjEEEENSD_INSE_IS9_EEEEjNS1_19radix_merge_compareILb0ELb1EjNS0_19identity_decomposerEEEEE10hipError_tT0_T1_T2_jT3_P12ihipStream_tbPNSt15iterator_traitsISN_E10value_typeEPNST_ISO_E10value_typeEPSP_NS1_7vsmem_tEENKUlT_SN_SO_SP_E_clIPjSG_PS9_SI_EESM_S12_SN_SO_SP_EUlS12_E0_NS1_11comp_targetILNS1_3genE5ELNS1_11target_archE942ELNS1_3gpuE9ELNS1_3repE0EEENS1_38merge_mergepath_config_static_selectorELNS0_4arch9wavefront6targetE1EEEvSO_ ; -- Begin function _ZN7rocprim17ROCPRIM_400000_NS6detail17trampoline_kernelINS0_14default_configENS1_38merge_sort_block_merge_config_selectorIjN6thrust23THRUST_200600_302600_NS5tupleIffNS6_9null_typeES8_S8_S8_S8_S8_S8_S8_EEEEZZNS1_27merge_sort_block_merge_implIS3_NS6_6detail15normal_iteratorINS6_10device_ptrIjEEEENSD_INSE_IS9_EEEEjNS1_19radix_merge_compareILb0ELb1EjNS0_19identity_decomposerEEEEE10hipError_tT0_T1_T2_jT3_P12ihipStream_tbPNSt15iterator_traitsISN_E10value_typeEPNST_ISO_E10value_typeEPSP_NS1_7vsmem_tEENKUlT_SN_SO_SP_E_clIPjSG_PS9_SI_EESM_S12_SN_SO_SP_EUlS12_E0_NS1_11comp_targetILNS1_3genE5ELNS1_11target_archE942ELNS1_3gpuE9ELNS1_3repE0EEENS1_38merge_mergepath_config_static_selectorELNS0_4arch9wavefront6targetE1EEEvSO_
	.globl	_ZN7rocprim17ROCPRIM_400000_NS6detail17trampoline_kernelINS0_14default_configENS1_38merge_sort_block_merge_config_selectorIjN6thrust23THRUST_200600_302600_NS5tupleIffNS6_9null_typeES8_S8_S8_S8_S8_S8_S8_EEEEZZNS1_27merge_sort_block_merge_implIS3_NS6_6detail15normal_iteratorINS6_10device_ptrIjEEEENSD_INSE_IS9_EEEEjNS1_19radix_merge_compareILb0ELb1EjNS0_19identity_decomposerEEEEE10hipError_tT0_T1_T2_jT3_P12ihipStream_tbPNSt15iterator_traitsISN_E10value_typeEPNST_ISO_E10value_typeEPSP_NS1_7vsmem_tEENKUlT_SN_SO_SP_E_clIPjSG_PS9_SI_EESM_S12_SN_SO_SP_EUlS12_E0_NS1_11comp_targetILNS1_3genE5ELNS1_11target_archE942ELNS1_3gpuE9ELNS1_3repE0EEENS1_38merge_mergepath_config_static_selectorELNS0_4arch9wavefront6targetE1EEEvSO_
	.p2align	8
	.type	_ZN7rocprim17ROCPRIM_400000_NS6detail17trampoline_kernelINS0_14default_configENS1_38merge_sort_block_merge_config_selectorIjN6thrust23THRUST_200600_302600_NS5tupleIffNS6_9null_typeES8_S8_S8_S8_S8_S8_S8_EEEEZZNS1_27merge_sort_block_merge_implIS3_NS6_6detail15normal_iteratorINS6_10device_ptrIjEEEENSD_INSE_IS9_EEEEjNS1_19radix_merge_compareILb0ELb1EjNS0_19identity_decomposerEEEEE10hipError_tT0_T1_T2_jT3_P12ihipStream_tbPNSt15iterator_traitsISN_E10value_typeEPNST_ISO_E10value_typeEPSP_NS1_7vsmem_tEENKUlT_SN_SO_SP_E_clIPjSG_PS9_SI_EESM_S12_SN_SO_SP_EUlS12_E0_NS1_11comp_targetILNS1_3genE5ELNS1_11target_archE942ELNS1_3gpuE9ELNS1_3repE0EEENS1_38merge_mergepath_config_static_selectorELNS0_4arch9wavefront6targetE1EEEvSO_,@function
_ZN7rocprim17ROCPRIM_400000_NS6detail17trampoline_kernelINS0_14default_configENS1_38merge_sort_block_merge_config_selectorIjN6thrust23THRUST_200600_302600_NS5tupleIffNS6_9null_typeES8_S8_S8_S8_S8_S8_S8_EEEEZZNS1_27merge_sort_block_merge_implIS3_NS6_6detail15normal_iteratorINS6_10device_ptrIjEEEENSD_INSE_IS9_EEEEjNS1_19radix_merge_compareILb0ELb1EjNS0_19identity_decomposerEEEEE10hipError_tT0_T1_T2_jT3_P12ihipStream_tbPNSt15iterator_traitsISN_E10value_typeEPNST_ISO_E10value_typeEPSP_NS1_7vsmem_tEENKUlT_SN_SO_SP_E_clIPjSG_PS9_SI_EESM_S12_SN_SO_SP_EUlS12_E0_NS1_11comp_targetILNS1_3genE5ELNS1_11target_archE942ELNS1_3gpuE9ELNS1_3repE0EEENS1_38merge_mergepath_config_static_selectorELNS0_4arch9wavefront6targetE1EEEvSO_: ; @_ZN7rocprim17ROCPRIM_400000_NS6detail17trampoline_kernelINS0_14default_configENS1_38merge_sort_block_merge_config_selectorIjN6thrust23THRUST_200600_302600_NS5tupleIffNS6_9null_typeES8_S8_S8_S8_S8_S8_S8_EEEEZZNS1_27merge_sort_block_merge_implIS3_NS6_6detail15normal_iteratorINS6_10device_ptrIjEEEENSD_INSE_IS9_EEEEjNS1_19radix_merge_compareILb0ELb1EjNS0_19identity_decomposerEEEEE10hipError_tT0_T1_T2_jT3_P12ihipStream_tbPNSt15iterator_traitsISN_E10value_typeEPNST_ISO_E10value_typeEPSP_NS1_7vsmem_tEENKUlT_SN_SO_SP_E_clIPjSG_PS9_SI_EESM_S12_SN_SO_SP_EUlS12_E0_NS1_11comp_targetILNS1_3genE5ELNS1_11target_archE942ELNS1_3gpuE9ELNS1_3repE0EEENS1_38merge_mergepath_config_static_selectorELNS0_4arch9wavefront6targetE1EEEvSO_
; %bb.0:
	.section	.rodata,"a",@progbits
	.p2align	6, 0x0
	.amdhsa_kernel _ZN7rocprim17ROCPRIM_400000_NS6detail17trampoline_kernelINS0_14default_configENS1_38merge_sort_block_merge_config_selectorIjN6thrust23THRUST_200600_302600_NS5tupleIffNS6_9null_typeES8_S8_S8_S8_S8_S8_S8_EEEEZZNS1_27merge_sort_block_merge_implIS3_NS6_6detail15normal_iteratorINS6_10device_ptrIjEEEENSD_INSE_IS9_EEEEjNS1_19radix_merge_compareILb0ELb1EjNS0_19identity_decomposerEEEEE10hipError_tT0_T1_T2_jT3_P12ihipStream_tbPNSt15iterator_traitsISN_E10value_typeEPNST_ISO_E10value_typeEPSP_NS1_7vsmem_tEENKUlT_SN_SO_SP_E_clIPjSG_PS9_SI_EESM_S12_SN_SO_SP_EUlS12_E0_NS1_11comp_targetILNS1_3genE5ELNS1_11target_archE942ELNS1_3gpuE9ELNS1_3repE0EEENS1_38merge_mergepath_config_static_selectorELNS0_4arch9wavefront6targetE1EEEvSO_
		.amdhsa_group_segment_fixed_size 0
		.amdhsa_private_segment_fixed_size 0
		.amdhsa_kernarg_size 64
		.amdhsa_user_sgpr_count 6
		.amdhsa_user_sgpr_private_segment_buffer 1
		.amdhsa_user_sgpr_dispatch_ptr 0
		.amdhsa_user_sgpr_queue_ptr 0
		.amdhsa_user_sgpr_kernarg_segment_ptr 1
		.amdhsa_user_sgpr_dispatch_id 0
		.amdhsa_user_sgpr_flat_scratch_init 0
		.amdhsa_user_sgpr_kernarg_preload_length 0
		.amdhsa_user_sgpr_kernarg_preload_offset 0
		.amdhsa_user_sgpr_private_segment_size 0
		.amdhsa_uses_dynamic_stack 0
		.amdhsa_system_sgpr_private_segment_wavefront_offset 0
		.amdhsa_system_sgpr_workgroup_id_x 1
		.amdhsa_system_sgpr_workgroup_id_y 0
		.amdhsa_system_sgpr_workgroup_id_z 0
		.amdhsa_system_sgpr_workgroup_info 0
		.amdhsa_system_vgpr_workitem_id 0
		.amdhsa_next_free_vgpr 1
		.amdhsa_next_free_sgpr 0
		.amdhsa_accum_offset 4
		.amdhsa_reserve_vcc 0
		.amdhsa_reserve_flat_scratch 0
		.amdhsa_float_round_mode_32 0
		.amdhsa_float_round_mode_16_64 0
		.amdhsa_float_denorm_mode_32 3
		.amdhsa_float_denorm_mode_16_64 3
		.amdhsa_dx10_clamp 1
		.amdhsa_ieee_mode 1
		.amdhsa_fp16_overflow 0
		.amdhsa_tg_split 0
		.amdhsa_exception_fp_ieee_invalid_op 0
		.amdhsa_exception_fp_denorm_src 0
		.amdhsa_exception_fp_ieee_div_zero 0
		.amdhsa_exception_fp_ieee_overflow 0
		.amdhsa_exception_fp_ieee_underflow 0
		.amdhsa_exception_fp_ieee_inexact 0
		.amdhsa_exception_int_div_zero 0
	.end_amdhsa_kernel
	.section	.text._ZN7rocprim17ROCPRIM_400000_NS6detail17trampoline_kernelINS0_14default_configENS1_38merge_sort_block_merge_config_selectorIjN6thrust23THRUST_200600_302600_NS5tupleIffNS6_9null_typeES8_S8_S8_S8_S8_S8_S8_EEEEZZNS1_27merge_sort_block_merge_implIS3_NS6_6detail15normal_iteratorINS6_10device_ptrIjEEEENSD_INSE_IS9_EEEEjNS1_19radix_merge_compareILb0ELb1EjNS0_19identity_decomposerEEEEE10hipError_tT0_T1_T2_jT3_P12ihipStream_tbPNSt15iterator_traitsISN_E10value_typeEPNST_ISO_E10value_typeEPSP_NS1_7vsmem_tEENKUlT_SN_SO_SP_E_clIPjSG_PS9_SI_EESM_S12_SN_SO_SP_EUlS12_E0_NS1_11comp_targetILNS1_3genE5ELNS1_11target_archE942ELNS1_3gpuE9ELNS1_3repE0EEENS1_38merge_mergepath_config_static_selectorELNS0_4arch9wavefront6targetE1EEEvSO_,"axG",@progbits,_ZN7rocprim17ROCPRIM_400000_NS6detail17trampoline_kernelINS0_14default_configENS1_38merge_sort_block_merge_config_selectorIjN6thrust23THRUST_200600_302600_NS5tupleIffNS6_9null_typeES8_S8_S8_S8_S8_S8_S8_EEEEZZNS1_27merge_sort_block_merge_implIS3_NS6_6detail15normal_iteratorINS6_10device_ptrIjEEEENSD_INSE_IS9_EEEEjNS1_19radix_merge_compareILb0ELb1EjNS0_19identity_decomposerEEEEE10hipError_tT0_T1_T2_jT3_P12ihipStream_tbPNSt15iterator_traitsISN_E10value_typeEPNST_ISO_E10value_typeEPSP_NS1_7vsmem_tEENKUlT_SN_SO_SP_E_clIPjSG_PS9_SI_EESM_S12_SN_SO_SP_EUlS12_E0_NS1_11comp_targetILNS1_3genE5ELNS1_11target_archE942ELNS1_3gpuE9ELNS1_3repE0EEENS1_38merge_mergepath_config_static_selectorELNS0_4arch9wavefront6targetE1EEEvSO_,comdat
.Lfunc_end101:
	.size	_ZN7rocprim17ROCPRIM_400000_NS6detail17trampoline_kernelINS0_14default_configENS1_38merge_sort_block_merge_config_selectorIjN6thrust23THRUST_200600_302600_NS5tupleIffNS6_9null_typeES8_S8_S8_S8_S8_S8_S8_EEEEZZNS1_27merge_sort_block_merge_implIS3_NS6_6detail15normal_iteratorINS6_10device_ptrIjEEEENSD_INSE_IS9_EEEEjNS1_19radix_merge_compareILb0ELb1EjNS0_19identity_decomposerEEEEE10hipError_tT0_T1_T2_jT3_P12ihipStream_tbPNSt15iterator_traitsISN_E10value_typeEPNST_ISO_E10value_typeEPSP_NS1_7vsmem_tEENKUlT_SN_SO_SP_E_clIPjSG_PS9_SI_EESM_S12_SN_SO_SP_EUlS12_E0_NS1_11comp_targetILNS1_3genE5ELNS1_11target_archE942ELNS1_3gpuE9ELNS1_3repE0EEENS1_38merge_mergepath_config_static_selectorELNS0_4arch9wavefront6targetE1EEEvSO_, .Lfunc_end101-_ZN7rocprim17ROCPRIM_400000_NS6detail17trampoline_kernelINS0_14default_configENS1_38merge_sort_block_merge_config_selectorIjN6thrust23THRUST_200600_302600_NS5tupleIffNS6_9null_typeES8_S8_S8_S8_S8_S8_S8_EEEEZZNS1_27merge_sort_block_merge_implIS3_NS6_6detail15normal_iteratorINS6_10device_ptrIjEEEENSD_INSE_IS9_EEEEjNS1_19radix_merge_compareILb0ELb1EjNS0_19identity_decomposerEEEEE10hipError_tT0_T1_T2_jT3_P12ihipStream_tbPNSt15iterator_traitsISN_E10value_typeEPNST_ISO_E10value_typeEPSP_NS1_7vsmem_tEENKUlT_SN_SO_SP_E_clIPjSG_PS9_SI_EESM_S12_SN_SO_SP_EUlS12_E0_NS1_11comp_targetILNS1_3genE5ELNS1_11target_archE942ELNS1_3gpuE9ELNS1_3repE0EEENS1_38merge_mergepath_config_static_selectorELNS0_4arch9wavefront6targetE1EEEvSO_
                                        ; -- End function
	.section	.AMDGPU.csdata,"",@progbits
; Kernel info:
; codeLenInByte = 0
; NumSgprs: 4
; NumVgprs: 0
; NumAgprs: 0
; TotalNumVgprs: 0
; ScratchSize: 0
; MemoryBound: 0
; FloatMode: 240
; IeeeMode: 1
; LDSByteSize: 0 bytes/workgroup (compile time only)
; SGPRBlocks: 0
; VGPRBlocks: 0
; NumSGPRsForWavesPerEU: 4
; NumVGPRsForWavesPerEU: 1
; AccumOffset: 4
; Occupancy: 8
; WaveLimiterHint : 0
; COMPUTE_PGM_RSRC2:SCRATCH_EN: 0
; COMPUTE_PGM_RSRC2:USER_SGPR: 6
; COMPUTE_PGM_RSRC2:TRAP_HANDLER: 0
; COMPUTE_PGM_RSRC2:TGID_X_EN: 1
; COMPUTE_PGM_RSRC2:TGID_Y_EN: 0
; COMPUTE_PGM_RSRC2:TGID_Z_EN: 0
; COMPUTE_PGM_RSRC2:TIDIG_COMP_CNT: 0
; COMPUTE_PGM_RSRC3_GFX90A:ACCUM_OFFSET: 0
; COMPUTE_PGM_RSRC3_GFX90A:TG_SPLIT: 0
	.section	.text._ZN7rocprim17ROCPRIM_400000_NS6detail17trampoline_kernelINS0_14default_configENS1_38merge_sort_block_merge_config_selectorIjN6thrust23THRUST_200600_302600_NS5tupleIffNS6_9null_typeES8_S8_S8_S8_S8_S8_S8_EEEEZZNS1_27merge_sort_block_merge_implIS3_NS6_6detail15normal_iteratorINS6_10device_ptrIjEEEENSD_INSE_IS9_EEEEjNS1_19radix_merge_compareILb0ELb1EjNS0_19identity_decomposerEEEEE10hipError_tT0_T1_T2_jT3_P12ihipStream_tbPNSt15iterator_traitsISN_E10value_typeEPNST_ISO_E10value_typeEPSP_NS1_7vsmem_tEENKUlT_SN_SO_SP_E_clIPjSG_PS9_SI_EESM_S12_SN_SO_SP_EUlS12_E0_NS1_11comp_targetILNS1_3genE4ELNS1_11target_archE910ELNS1_3gpuE8ELNS1_3repE0EEENS1_38merge_mergepath_config_static_selectorELNS0_4arch9wavefront6targetE1EEEvSO_,"axG",@progbits,_ZN7rocprim17ROCPRIM_400000_NS6detail17trampoline_kernelINS0_14default_configENS1_38merge_sort_block_merge_config_selectorIjN6thrust23THRUST_200600_302600_NS5tupleIffNS6_9null_typeES8_S8_S8_S8_S8_S8_S8_EEEEZZNS1_27merge_sort_block_merge_implIS3_NS6_6detail15normal_iteratorINS6_10device_ptrIjEEEENSD_INSE_IS9_EEEEjNS1_19radix_merge_compareILb0ELb1EjNS0_19identity_decomposerEEEEE10hipError_tT0_T1_T2_jT3_P12ihipStream_tbPNSt15iterator_traitsISN_E10value_typeEPNST_ISO_E10value_typeEPSP_NS1_7vsmem_tEENKUlT_SN_SO_SP_E_clIPjSG_PS9_SI_EESM_S12_SN_SO_SP_EUlS12_E0_NS1_11comp_targetILNS1_3genE4ELNS1_11target_archE910ELNS1_3gpuE8ELNS1_3repE0EEENS1_38merge_mergepath_config_static_selectorELNS0_4arch9wavefront6targetE1EEEvSO_,comdat
	.protected	_ZN7rocprim17ROCPRIM_400000_NS6detail17trampoline_kernelINS0_14default_configENS1_38merge_sort_block_merge_config_selectorIjN6thrust23THRUST_200600_302600_NS5tupleIffNS6_9null_typeES8_S8_S8_S8_S8_S8_S8_EEEEZZNS1_27merge_sort_block_merge_implIS3_NS6_6detail15normal_iteratorINS6_10device_ptrIjEEEENSD_INSE_IS9_EEEEjNS1_19radix_merge_compareILb0ELb1EjNS0_19identity_decomposerEEEEE10hipError_tT0_T1_T2_jT3_P12ihipStream_tbPNSt15iterator_traitsISN_E10value_typeEPNST_ISO_E10value_typeEPSP_NS1_7vsmem_tEENKUlT_SN_SO_SP_E_clIPjSG_PS9_SI_EESM_S12_SN_SO_SP_EUlS12_E0_NS1_11comp_targetILNS1_3genE4ELNS1_11target_archE910ELNS1_3gpuE8ELNS1_3repE0EEENS1_38merge_mergepath_config_static_selectorELNS0_4arch9wavefront6targetE1EEEvSO_ ; -- Begin function _ZN7rocprim17ROCPRIM_400000_NS6detail17trampoline_kernelINS0_14default_configENS1_38merge_sort_block_merge_config_selectorIjN6thrust23THRUST_200600_302600_NS5tupleIffNS6_9null_typeES8_S8_S8_S8_S8_S8_S8_EEEEZZNS1_27merge_sort_block_merge_implIS3_NS6_6detail15normal_iteratorINS6_10device_ptrIjEEEENSD_INSE_IS9_EEEEjNS1_19radix_merge_compareILb0ELb1EjNS0_19identity_decomposerEEEEE10hipError_tT0_T1_T2_jT3_P12ihipStream_tbPNSt15iterator_traitsISN_E10value_typeEPNST_ISO_E10value_typeEPSP_NS1_7vsmem_tEENKUlT_SN_SO_SP_E_clIPjSG_PS9_SI_EESM_S12_SN_SO_SP_EUlS12_E0_NS1_11comp_targetILNS1_3genE4ELNS1_11target_archE910ELNS1_3gpuE8ELNS1_3repE0EEENS1_38merge_mergepath_config_static_selectorELNS0_4arch9wavefront6targetE1EEEvSO_
	.globl	_ZN7rocprim17ROCPRIM_400000_NS6detail17trampoline_kernelINS0_14default_configENS1_38merge_sort_block_merge_config_selectorIjN6thrust23THRUST_200600_302600_NS5tupleIffNS6_9null_typeES8_S8_S8_S8_S8_S8_S8_EEEEZZNS1_27merge_sort_block_merge_implIS3_NS6_6detail15normal_iteratorINS6_10device_ptrIjEEEENSD_INSE_IS9_EEEEjNS1_19radix_merge_compareILb0ELb1EjNS0_19identity_decomposerEEEEE10hipError_tT0_T1_T2_jT3_P12ihipStream_tbPNSt15iterator_traitsISN_E10value_typeEPNST_ISO_E10value_typeEPSP_NS1_7vsmem_tEENKUlT_SN_SO_SP_E_clIPjSG_PS9_SI_EESM_S12_SN_SO_SP_EUlS12_E0_NS1_11comp_targetILNS1_3genE4ELNS1_11target_archE910ELNS1_3gpuE8ELNS1_3repE0EEENS1_38merge_mergepath_config_static_selectorELNS0_4arch9wavefront6targetE1EEEvSO_
	.p2align	8
	.type	_ZN7rocprim17ROCPRIM_400000_NS6detail17trampoline_kernelINS0_14default_configENS1_38merge_sort_block_merge_config_selectorIjN6thrust23THRUST_200600_302600_NS5tupleIffNS6_9null_typeES8_S8_S8_S8_S8_S8_S8_EEEEZZNS1_27merge_sort_block_merge_implIS3_NS6_6detail15normal_iteratorINS6_10device_ptrIjEEEENSD_INSE_IS9_EEEEjNS1_19radix_merge_compareILb0ELb1EjNS0_19identity_decomposerEEEEE10hipError_tT0_T1_T2_jT3_P12ihipStream_tbPNSt15iterator_traitsISN_E10value_typeEPNST_ISO_E10value_typeEPSP_NS1_7vsmem_tEENKUlT_SN_SO_SP_E_clIPjSG_PS9_SI_EESM_S12_SN_SO_SP_EUlS12_E0_NS1_11comp_targetILNS1_3genE4ELNS1_11target_archE910ELNS1_3gpuE8ELNS1_3repE0EEENS1_38merge_mergepath_config_static_selectorELNS0_4arch9wavefront6targetE1EEEvSO_,@function
_ZN7rocprim17ROCPRIM_400000_NS6detail17trampoline_kernelINS0_14default_configENS1_38merge_sort_block_merge_config_selectorIjN6thrust23THRUST_200600_302600_NS5tupleIffNS6_9null_typeES8_S8_S8_S8_S8_S8_S8_EEEEZZNS1_27merge_sort_block_merge_implIS3_NS6_6detail15normal_iteratorINS6_10device_ptrIjEEEENSD_INSE_IS9_EEEEjNS1_19radix_merge_compareILb0ELb1EjNS0_19identity_decomposerEEEEE10hipError_tT0_T1_T2_jT3_P12ihipStream_tbPNSt15iterator_traitsISN_E10value_typeEPNST_ISO_E10value_typeEPSP_NS1_7vsmem_tEENKUlT_SN_SO_SP_E_clIPjSG_PS9_SI_EESM_S12_SN_SO_SP_EUlS12_E0_NS1_11comp_targetILNS1_3genE4ELNS1_11target_archE910ELNS1_3gpuE8ELNS1_3repE0EEENS1_38merge_mergepath_config_static_selectorELNS0_4arch9wavefront6targetE1EEEvSO_: ; @_ZN7rocprim17ROCPRIM_400000_NS6detail17trampoline_kernelINS0_14default_configENS1_38merge_sort_block_merge_config_selectorIjN6thrust23THRUST_200600_302600_NS5tupleIffNS6_9null_typeES8_S8_S8_S8_S8_S8_S8_EEEEZZNS1_27merge_sort_block_merge_implIS3_NS6_6detail15normal_iteratorINS6_10device_ptrIjEEEENSD_INSE_IS9_EEEEjNS1_19radix_merge_compareILb0ELb1EjNS0_19identity_decomposerEEEEE10hipError_tT0_T1_T2_jT3_P12ihipStream_tbPNSt15iterator_traitsISN_E10value_typeEPNST_ISO_E10value_typeEPSP_NS1_7vsmem_tEENKUlT_SN_SO_SP_E_clIPjSG_PS9_SI_EESM_S12_SN_SO_SP_EUlS12_E0_NS1_11comp_targetILNS1_3genE4ELNS1_11target_archE910ELNS1_3gpuE8ELNS1_3repE0EEENS1_38merge_mergepath_config_static_selectorELNS0_4arch9wavefront6targetE1EEEvSO_
; %bb.0:
	s_load_dwordx2 s[22:23], s[4:5], 0x40
	s_load_dwordx2 s[16:17], s[4:5], 0x30
	s_add_u32 s0, s4, 64
	s_addc_u32 s1, s5, 0
	s_waitcnt lgkmcnt(0)
	s_mul_i32 s2, s23, s8
	s_add_i32 s2, s2, s7
	s_mul_i32 s2, s2, s22
	s_add_i32 s20, s2, s6
	s_cmp_ge_u32 s20, s16
	s_cbranch_scc1 .LBB102_46
; %bb.1:
	s_load_dwordx8 s[8:15], s[4:5], 0x10
	s_load_dwordx2 s[28:29], s[4:5], 0x8
	s_load_dwordx2 s[2:3], s[4:5], 0x38
	s_mov_b32 s21, 0
	v_mov_b32_e32 v5, 0
	s_waitcnt lgkmcnt(0)
	s_lshr_b32 s7, s14, 10
	s_cmp_lg_u32 s20, s7
	s_cselect_b64 s[18:19], -1, 0
	s_lshl_b64 s[4:5], s[20:21], 2
	s_add_u32 s2, s2, s4
	s_addc_u32 s3, s3, s5
	s_lshr_b32 s4, s15, 9
	s_and_b32 s4, s4, 0x7ffffe
	s_load_dwordx2 s[2:3], s[2:3], 0x0
	s_sub_i32 s5, 0, s4
	s_and_b32 s4, s20, s5
	s_lshl_b32 s23, s4, 10
	s_lshl_b32 s16, s20, 10
	;; [unrolled: 1-line block ×3, first 2 shown]
	s_sub_i32 s24, s16, s23
	s_add_i32 s25, s4, s15
	s_add_i32 s24, s25, s24
	s_waitcnt lgkmcnt(0)
	s_sub_i32 s4, s24, s2
	s_sub_i32 s24, s24, s3
	;; [unrolled: 1-line block ×3, first 2 shown]
	s_min_u32 s4, s14, s4
	s_addk_i32 s24, 0x400
	s_or_b32 s5, s20, s5
	s_min_u32 s25, s14, s23
	s_add_i32 s23, s23, s15
	s_cmp_eq_u32 s5, -1
	s_cselect_b32 s3, s25, s3
	s_cselect_b32 s5, s23, s24
	s_sub_i32 s15, s3, s2
	s_mov_b32 s3, s21
	s_min_u32 s26, s5, s14
	s_lshl_b64 s[24:25], s[2:3], 2
	s_add_u32 s24, s28, s24
	s_mov_b32 s5, s21
	s_addc_u32 s25, s29, s25
	s_lshl_b64 s[30:31], s[4:5], 2
	s_add_u32 s21, s28, s30
	s_addc_u32 s23, s29, s31
	s_cmp_lt_u32 s6, s22
	s_cselect_b32 s6, 12, 18
	global_load_dword v1, v5, s[0:1] offset:14
	s_add_u32 s0, s0, s6
	s_addc_u32 s1, s1, 0
	global_load_ushort v2, v5, s[0:1]
	s_cmp_eq_u32 s20, s7
	s_waitcnt vmcnt(1)
	v_lshrrev_b32_e32 v3, 16, v1
	v_and_b32_e32 v1, 0xffff, v1
	v_mul_lo_u32 v1, v1, v3
	s_waitcnt vmcnt(0)
	v_mul_lo_u32 v19, v1, v2
	v_add_u32_e32 v8, v19, v0
	v_lshlrev_b32_e32 v1, 2, v0
	v_add_u32_e32 v6, v8, v19
	s_cbranch_scc1 .LBB102_3
; %bb.2:
	v_mov_b32_e32 v2, s25
	v_add_co_u32_e32 v7, vcc, s24, v1
	v_subrev_u32_e32 v4, s15, v0
	v_addc_co_u32_e32 v9, vcc, 0, v2, vcc
	v_lshlrev_b64 v[2:3], 2, v[4:5]
	v_mov_b32_e32 v4, s23
	v_add_co_u32_e32 v2, vcc, s21, v2
	v_addc_co_u32_e32 v3, vcc, v4, v3, vcc
	v_cmp_gt_u32_e32 vcc, s15, v0
	v_cndmask_b32_e32 v3, v3, v9, vcc
	v_mov_b32_e32 v9, v5
	v_cndmask_b32_e32 v2, v2, v7, vcc
	v_lshlrev_b64 v[10:11], 2, v[8:9]
	global_load_dword v2, v[2:3], off
	v_mov_b32_e32 v3, s25
	v_add_co_u32_e32 v7, vcc, s24, v10
	v_subrev_u32_e32 v4, s15, v8
	v_addc_co_u32_e32 v3, vcc, v3, v11, vcc
	v_lshlrev_b64 v[10:11], 2, v[4:5]
	v_mov_b32_e32 v4, s23
	v_add_co_u32_e32 v9, vcc, s21, v10
	v_addc_co_u32_e32 v4, vcc, v4, v11, vcc
	v_cmp_gt_u32_e32 vcc, s15, v8
	v_cndmask_b32_e32 v11, v4, v3, vcc
	v_cndmask_b32_e32 v10, v9, v7, vcc
	v_mov_b32_e32 v7, v5
	global_load_dword v3, v[10:11], off
	v_lshlrev_b64 v[10:11], 2, v[6:7]
	v_mov_b32_e32 v4, s25
	v_add_co_u32_e32 v7, vcc, s24, v10
	v_addc_co_u32_e32 v9, vcc, v4, v11, vcc
	v_subrev_u32_e32 v4, s15, v6
	v_lshlrev_b64 v[4:5], 2, v[4:5]
	v_mov_b32_e32 v10, s23
	v_add_co_u32_e32 v4, vcc, s21, v4
	v_addc_co_u32_e32 v5, vcc, v10, v5, vcc
	v_cmp_gt_u32_e32 vcc, s15, v6
	v_cndmask_b32_e32 v5, v5, v9, vcc
	v_cndmask_b32_e32 v4, v4, v7, vcc
	global_load_dword v4, v[4:5], off
	v_add_u32_e32 v10, v6, v19
	s_mov_b64 s[0:1], -1
	s_sub_i32 s20, s26, s4
	s_cbranch_execz .LBB102_4
	s_branch .LBB102_9
.LBB102_3:
	s_mov_b64 s[0:1], 0
                                        ; implicit-def: $vgpr2_vgpr3_vgpr4_vgpr5
                                        ; implicit-def: $vgpr10
	s_sub_i32 s20, s26, s4
.LBB102_4:
	s_add_i32 s6, s20, s15
	v_cmp_gt_u32_e32 vcc, s6, v0
                                        ; implicit-def: $vgpr2_vgpr3_vgpr4_vgpr5
	s_and_saveexec_b64 s[0:1], vcc
	s_cbranch_execnz .LBB102_47
; %bb.5:
	s_or_b64 exec, exec, s[0:1]
	v_cmp_gt_u32_e32 vcc, s6, v8
	s_and_saveexec_b64 s[0:1], vcc
	s_cbranch_execnz .LBB102_48
.LBB102_6:
	s_or_b64 exec, exec, s[0:1]
	v_cmp_gt_u32_e32 vcc, s6, v6
	s_and_saveexec_b64 s[0:1], vcc
	s_cbranch_execz .LBB102_8
.LBB102_7:
	v_mov_b32_e32 v7, 0
	v_lshlrev_b64 v[10:11], 2, v[6:7]
	s_waitcnt vmcnt(0)
	v_mov_b32_e32 v4, s25
	v_add_co_u32_e32 v9, vcc, s24, v10
	v_addc_co_u32_e32 v4, vcc, v4, v11, vcc
	v_subrev_u32_e32 v10, s15, v6
	v_mov_b32_e32 v11, v7
	v_lshlrev_b64 v[10:11], 2, v[10:11]
	v_mov_b32_e32 v7, s23
	v_add_co_u32_e32 v10, vcc, s21, v10
	v_addc_co_u32_e32 v7, vcc, v7, v11, vcc
	v_cmp_gt_u32_e32 vcc, s15, v6
	v_cndmask_b32_e32 v11, v7, v4, vcc
	v_cndmask_b32_e32 v10, v10, v9, vcc
	global_load_dword v4, v[10:11], off
.LBB102_8:
	s_or_b64 exec, exec, s[0:1]
	v_add_u32_e32 v10, v6, v19
	v_cmp_gt_u32_e64 s[0:1], s6, v10
.LBB102_9:
	s_and_saveexec_b64 s[6:7], s[0:1]
	s_cbranch_execz .LBB102_11
; %bb.10:
	v_mov_b32_e32 v11, 0
	v_lshlrev_b64 v[12:13], 2, v[10:11]
	v_mov_b32_e32 v5, s25
	v_add_co_u32_e32 v7, vcc, s24, v12
	v_addc_co_u32_e32 v5, vcc, v5, v13, vcc
	v_cmp_gt_u32_e32 vcc, s15, v10
	v_subrev_u32_e32 v10, s15, v10
	v_lshlrev_b64 v[10:11], 2, v[10:11]
	v_mov_b32_e32 v9, s23
	v_add_co_u32_e64 v10, s[0:1], s21, v10
	v_addc_co_u32_e64 v9, s[0:1], v9, v11, s[0:1]
	v_cndmask_b32_e32 v11, v9, v5, vcc
	v_cndmask_b32_e32 v10, v10, v7, vcc
	global_load_dword v5, v[10:11], off
.LBB102_11:
	s_or_b64 exec, exec, s[6:7]
	s_lshl_b64 s[0:1], s[2:3], 3
	s_add_u32 s6, s10, s0
	s_addc_u32 s7, s11, s1
	s_lshl_b64 s[0:1], s[4:5], 3
	s_add_u32 s4, s10, s0
	s_addc_u32 s5, s11, s1
	s_andn2_b64 vcc, exec, s[18:19]
	v_lshlrev_b32_e32 v18, 3, v0
	s_waitcnt vmcnt(0)
	ds_write2st64_b32 v1, v2, v3 offset1:4
	ds_write2st64_b32 v1, v4, v5 offset0:8 offset1:12
	s_cbranch_vccnz .LBB102_13
; %bb.12:
	v_mov_b32_e32 v17, 0
	v_mov_b32_e32 v7, s7
	v_add_co_u32_e32 v9, vcc, s6, v18
	v_subrev_u32_e32 v16, s15, v0
	v_addc_co_u32_e32 v7, vcc, 0, v7, vcc
	v_lshlrev_b64 v[10:11], 3, v[16:17]
	v_mov_b32_e32 v12, s5
	v_add_co_u32_e32 v10, vcc, s4, v10
	v_addc_co_u32_e32 v11, vcc, v12, v11, vcc
	v_cmp_gt_u32_e32 vcc, s15, v0
	v_cndmask_b32_e32 v10, v10, v9, vcc
	v_mov_b32_e32 v9, v17
	v_lshlrev_b64 v[12:13], 3, v[8:9]
	v_cndmask_b32_e32 v11, v11, v7, vcc
	v_mov_b32_e32 v7, s7
	v_add_co_u32_e32 v9, vcc, s6, v12
	v_subrev_u32_e32 v16, s15, v8
	v_addc_co_u32_e32 v7, vcc, v7, v13, vcc
	v_lshlrev_b64 v[12:13], 3, v[16:17]
	v_mov_b32_e32 v14, s5
	v_add_co_u32_e32 v12, vcc, s4, v12
	v_addc_co_u32_e32 v13, vcc, v14, v13, vcc
	v_cmp_gt_u32_e32 vcc, s15, v8
	v_cndmask_b32_e32 v13, v13, v7, vcc
	v_mov_b32_e32 v7, v17
	v_lshlrev_b64 v[14:15], 3, v[6:7]
	v_cndmask_b32_e32 v12, v12, v9, vcc
	v_mov_b32_e32 v7, s7
	v_add_co_u32_e32 v9, vcc, s6, v14
	v_subrev_u32_e32 v16, s15, v6
	v_addc_co_u32_e32 v7, vcc, v7, v15, vcc
	v_lshlrev_b64 v[14:15], 3, v[16:17]
	v_mov_b32_e32 v16, s5
	v_add_co_u32_e32 v14, vcc, s4, v14
	v_addc_co_u32_e32 v15, vcc, v16, v15, vcc
	v_add_u32_e32 v16, v6, v19
	v_cmp_gt_u32_e32 vcc, s15, v6
	v_lshlrev_b64 v[20:21], 3, v[16:17]
	v_cndmask_b32_e32 v15, v15, v7, vcc
	v_cndmask_b32_e32 v14, v14, v9, vcc
	v_mov_b32_e32 v7, s7
	v_add_co_u32_e32 v9, vcc, s6, v20
	v_addc_co_u32_e32 v7, vcc, v7, v21, vcc
	v_cmp_gt_u32_e32 vcc, s15, v16
	v_subrev_u32_e32 v16, s15, v16
	v_lshlrev_b64 v[16:17], 3, v[16:17]
	v_mov_b32_e32 v20, s5
	v_add_co_u32_e64 v16, s[0:1], s4, v16
	v_addc_co_u32_e64 v17, s[0:1], v20, v17, s[0:1]
	v_cndmask_b32_e32 v17, v17, v7, vcc
	v_cndmask_b32_e32 v16, v16, v9, vcc
	global_load_dwordx2 v[10:11], v[10:11], off
	s_add_i32 s21, s20, s15
	global_load_dwordx2 v[12:13], v[12:13], off
	s_nop 0
	global_load_dwordx2 v[14:15], v[14:15], off
	s_nop 0
	global_load_dwordx2 v[16:17], v[16:17], off
	s_cbranch_execz .LBB102_14
	s_branch .LBB102_23
.LBB102_13:
                                        ; implicit-def: $vgpr17
                                        ; implicit-def: $vgpr14_vgpr15
                                        ; implicit-def: $vgpr12_vgpr13
                                        ; implicit-def: $vgpr10_vgpr11
                                        ; implicit-def: $sgpr21
.LBB102_14:
	s_mov_b32 s0, 0
	s_add_i32 s21, s20, s15
	s_mov_b32 s1, s0
	v_cmp_gt_u32_e32 vcc, s21, v0
	s_waitcnt vmcnt(3)
	v_pk_mov_b32 v[10:11], s[0:1], s[0:1] op_sel:[0,1]
	s_and_saveexec_b64 s[2:3], vcc
	s_cbranch_execz .LBB102_16
; %bb.15:
	v_mov_b32_e32 v11, 0
	v_mov_b32_e32 v7, s7
	v_add_co_u32_e32 v9, vcc, s6, v18
	v_subrev_u32_e32 v10, s15, v0
	v_addc_co_u32_e32 v7, vcc, 0, v7, vcc
	v_lshlrev_b64 v[10:11], 3, v[10:11]
	s_waitcnt vmcnt(2)
	v_mov_b32_e32 v12, s5
	v_add_co_u32_e32 v10, vcc, s4, v10
	v_addc_co_u32_e32 v11, vcc, v12, v11, vcc
	v_cmp_gt_u32_e32 vcc, s15, v0
	v_cndmask_b32_e32 v11, v11, v7, vcc
	v_cndmask_b32_e32 v10, v10, v9, vcc
	global_load_dwordx2 v[10:11], v[10:11], off
.LBB102_16:
	s_or_b64 exec, exec, s[2:3]
	v_cmp_gt_u32_e32 vcc, s21, v8
	s_waitcnt vmcnt(2)
	v_pk_mov_b32 v[12:13], s[0:1], s[0:1] op_sel:[0,1]
	s_and_saveexec_b64 s[2:3], vcc
	s_cbranch_execz .LBB102_18
; %bb.17:
	v_mov_b32_e32 v9, 0
	v_lshlrev_b64 v[12:13], 3, v[8:9]
	v_mov_b32_e32 v7, s7
	v_add_co_u32_e32 v12, vcc, s6, v12
	v_addc_co_u32_e32 v7, vcc, v7, v13, vcc
	v_cmp_gt_u32_e32 vcc, s15, v8
	v_subrev_u32_e32 v8, s15, v8
	v_lshlrev_b64 v[8:9], 3, v[8:9]
	v_mov_b32_e32 v13, s5
	v_add_co_u32_e64 v8, s[0:1], s4, v8
	v_addc_co_u32_e64 v9, s[0:1], v13, v9, s[0:1]
	v_cndmask_b32_e32 v9, v9, v7, vcc
	v_cndmask_b32_e32 v8, v8, v12, vcc
	global_load_dwordx2 v[12:13], v[8:9], off
.LBB102_18:
	s_or_b64 exec, exec, s[2:3]
	s_mov_b32 s0, 0
	s_mov_b32 s1, s0
	v_cmp_gt_u32_e32 vcc, s21, v6
	s_waitcnt vmcnt(1)
	v_pk_mov_b32 v[14:15], s[0:1], s[0:1] op_sel:[0,1]
	s_and_saveexec_b64 s[0:1], vcc
	s_cbranch_execz .LBB102_20
; %bb.19:
	v_mov_b32_e32 v7, 0
	v_lshlrev_b64 v[8:9], 3, v[6:7]
	v_mov_b32_e32 v14, s7
	v_add_co_u32_e32 v15, vcc, s6, v8
	v_addc_co_u32_e32 v14, vcc, v14, v9, vcc
	v_subrev_u32_e32 v8, s15, v6
	v_mov_b32_e32 v9, v7
	v_lshlrev_b64 v[8:9], 3, v[8:9]
	v_mov_b32_e32 v7, s5
	v_add_co_u32_e32 v8, vcc, s4, v8
	v_addc_co_u32_e32 v7, vcc, v7, v9, vcc
	v_cmp_gt_u32_e32 vcc, s15, v6
	v_cndmask_b32_e32 v9, v7, v14, vcc
	v_cndmask_b32_e32 v8, v8, v15, vcc
	global_load_dwordx2 v[14:15], v[8:9], off
.LBB102_20:
	s_or_b64 exec, exec, s[0:1]
	v_add_u32_e32 v6, v6, v19
	v_cmp_gt_u32_e32 vcc, s21, v6
	s_waitcnt vmcnt(0)
	v_mov_b32_e32 v17, 0
	v_mov_b32_e32 v16, 0
	s_and_saveexec_b64 s[2:3], vcc
	s_cbranch_execz .LBB102_22
; %bb.21:
	v_mov_b32_e32 v7, 0
	v_lshlrev_b64 v[8:9], 3, v[6:7]
	v_mov_b32_e32 v16, s7
	v_add_co_u32_e32 v8, vcc, s6, v8
	v_addc_co_u32_e32 v9, vcc, v16, v9, vcc
	v_cmp_gt_u32_e32 vcc, s15, v6
	v_subrev_u32_e32 v6, s15, v6
	v_lshlrev_b64 v[6:7], 3, v[6:7]
	v_mov_b32_e32 v16, s5
	v_add_co_u32_e64 v6, s[0:1], s4, v6
	v_addc_co_u32_e64 v7, s[0:1], v16, v7, s[0:1]
	v_cndmask_b32_e32 v7, v7, v9, vcc
	v_cndmask_b32_e32 v6, v6, v8, vcc
	global_load_dwordx2 v[16:17], v[6:7], off
.LBB102_22:
	s_or_b64 exec, exec, s[2:3]
.LBB102_23:
	v_min_u32_e32 v7, s21, v1
	v_sub_u32_e64 v6, v7, s20 clamp
	v_min_u32_e32 v8, s15, v7
	v_cmp_lt_u32_e32 vcc, v6, v8
	s_waitcnt lgkmcnt(0)
	s_barrier
	s_and_saveexec_b64 s[0:1], vcc
	s_cbranch_execz .LBB102_27
; %bb.24:
	v_lshlrev_b32_e32 v9, 2, v7
	v_lshl_add_u32 v9, s15, 2, v9
	s_mov_b64 s[2:3], 0
.LBB102_25:                             ; =>This Inner Loop Header: Depth=1
	v_add_u32_e32 v19, v8, v6
	v_lshrrev_b32_e32 v19, 1, v19
	v_not_b32_e32 v20, v19
	v_lshlrev_b32_e32 v21, 2, v19
	v_lshl_add_u32 v20, v20, 2, v9
	ds_read_b32 v21, v21
	ds_read_b32 v20, v20
	v_add_u32_e32 v22, 1, v19
	s_waitcnt lgkmcnt(1)
	v_and_b32_e32 v21, s17, v21
	s_waitcnt lgkmcnt(0)
	v_and_b32_e32 v20, s17, v20
	v_cmp_gt_u32_e32 vcc, v21, v20
	v_cndmask_b32_e32 v8, v8, v19, vcc
	v_cndmask_b32_e32 v6, v22, v6, vcc
	v_cmp_ge_u32_e32 vcc, v6, v8
	s_or_b64 s[2:3], vcc, s[2:3]
	s_andn2_b64 exec, exec, s[2:3]
	s_cbranch_execnz .LBB102_25
; %bb.26:
	s_or_b64 exec, exec, s[2:3]
.LBB102_27:
	s_or_b64 exec, exec, s[0:1]
	v_sub_u32_e32 v7, v7, v6
	v_add_u32_e32 v19, s15, v7
	v_cmp_ge_u32_e32 vcc, s15, v6
	v_cmp_ge_u32_e64 s[0:1], s21, v19
	s_or_b64 s[0:1], vcc, s[0:1]
                                        ; implicit-def: $vgpr20
                                        ; implicit-def: $vgpr9
                                        ; implicit-def: $vgpr8
                                        ; implicit-def: $vgpr7
	s_and_saveexec_b64 s[10:11], s[0:1]
	s_cbranch_execz .LBB102_33
; %bb.28:
	v_cmp_gt_u32_e32 vcc, s15, v6
                                        ; implicit-def: $vgpr2
	s_and_saveexec_b64 s[0:1], vcc
	s_cbranch_execz .LBB102_30
; %bb.29:
	v_lshlrev_b32_e32 v2, 2, v6
	ds_read_b32 v2, v2
.LBB102_30:
	s_or_b64 exec, exec, s[0:1]
	v_cmp_le_u32_e64 s[0:1], s21, v19
	v_cmp_gt_u32_e64 s[2:3], s21, v19
                                        ; implicit-def: $vgpr3
	s_and_saveexec_b64 s[4:5], s[2:3]
	s_cbranch_execz .LBB102_32
; %bb.31:
	v_lshlrev_b32_e32 v3, 2, v19
	ds_read_b32 v3, v3
.LBB102_32:
	s_or_b64 exec, exec, s[4:5]
	s_waitcnt lgkmcnt(0)
	v_and_b32_e32 v4, s17, v3
	v_and_b32_e32 v5, s17, v2
	v_cmp_le_u32_e64 s[2:3], v5, v4
	s_and_b64 s[2:3], vcc, s[2:3]
	s_or_b64 vcc, s[0:1], s[2:3]
	v_mov_b32_e32 v4, s21
	v_mov_b32_e32 v5, s15
	v_cndmask_b32_e32 v7, v19, v6, vcc
	v_cndmask_b32_e32 v8, v4, v5, vcc
	v_add_u32_e32 v9, 1, v7
	v_add_u32_e32 v8, -1, v8
	v_min_u32_e32 v8, v9, v8
	v_lshlrev_b32_e32 v8, 2, v8
	ds_read_b32 v8, v8
	v_cndmask_b32_e32 v19, v9, v19, vcc
	v_cndmask_b32_e32 v6, v6, v9, vcc
	v_cmp_gt_u32_e64 s[2:3], s15, v6
	v_cmp_le_u32_e64 s[0:1], s21, v19
	s_waitcnt lgkmcnt(0)
	v_cndmask_b32_e32 v20, v8, v3, vcc
	v_cndmask_b32_e32 v21, v2, v8, vcc
	v_and_b32_e32 v8, s17, v20
	v_and_b32_e32 v9, s17, v21
	v_cmp_le_u32_e64 s[4:5], v9, v8
	s_and_b64 s[2:3], s[2:3], s[4:5]
	s_or_b64 s[0:1], s[0:1], s[2:3]
	v_cndmask_b32_e64 v8, v19, v6, s[0:1]
	v_cndmask_b32_e64 v9, v4, v5, s[0:1]
	v_add_u32_e32 v22, 1, v8
	v_add_u32_e32 v9, -1, v9
	v_min_u32_e32 v9, v22, v9
	v_lshlrev_b32_e32 v9, 2, v9
	ds_read_b32 v9, v9
	v_cndmask_b32_e64 v19, v22, v19, s[0:1]
	v_cndmask_b32_e64 v6, v6, v22, s[0:1]
	v_cmp_gt_u32_e64 s[4:5], s15, v6
	v_cmp_le_u32_e64 s[2:3], s21, v19
	s_waitcnt lgkmcnt(0)
	v_cndmask_b32_e64 v23, v9, v20, s[0:1]
	v_cndmask_b32_e64 v24, v21, v9, s[0:1]
	v_and_b32_e32 v9, s17, v23
	v_and_b32_e32 v22, s17, v24
	v_cmp_le_u32_e64 s[6:7], v22, v9
	s_and_b64 s[4:5], s[4:5], s[6:7]
	s_or_b64 s[2:3], s[2:3], s[4:5]
	v_cndmask_b32_e64 v9, v19, v6, s[2:3]
	v_cndmask_b32_e64 v4, v4, v5, s[2:3]
	v_add_u32_e32 v5, 1, v9
	v_add_u32_e32 v4, -1, v4
	v_min_u32_e32 v4, v5, v4
	v_lshlrev_b32_e32 v4, 2, v4
	ds_read_b32 v22, v4
	v_cndmask_b32_e32 v2, v3, v2, vcc
	v_cndmask_b32_e64 v3, v20, v21, s[0:1]
	v_cndmask_b32_e64 v19, v5, v19, s[2:3]
	;; [unrolled: 1-line block ×3, first 2 shown]
	s_waitcnt lgkmcnt(0)
	v_cndmask_b32_e64 v21, v22, v23, s[2:3]
	v_cndmask_b32_e64 v22, v24, v22, s[2:3]
	v_and_b32_e32 v6, s17, v21
	v_and_b32_e32 v20, s17, v22
	v_cndmask_b32_e64 v4, v23, v24, s[2:3]
	v_cmp_gt_u32_e64 s[0:1], s15, v5
	v_cmp_le_u32_e64 s[2:3], v20, v6
	v_cmp_le_u32_e32 vcc, s21, v19
	s_and_b64 s[0:1], s[0:1], s[2:3]
	s_or_b64 vcc, vcc, s[0:1]
	v_cndmask_b32_e32 v20, v19, v5, vcc
	v_cndmask_b32_e32 v5, v21, v22, vcc
.LBB102_33:
	s_or_b64 exec, exec, s[10:11]
	v_add_u32_e32 v22, v1, v1
	v_lshlrev_b32_e32 v6, 3, v7
	v_lshlrev_b32_e32 v7, 3, v8
	;; [unrolled: 1-line block ×4, first 2 shown]
	s_barrier
	s_waitcnt vmcnt(2)
	ds_write2st64_b64 v22, v[10:11], v[12:13] offset1:4
	s_waitcnt vmcnt(0)
	ds_write2st64_b64 v22, v[14:15], v[16:17] offset0:8 offset1:12
	s_waitcnt lgkmcnt(0)
	s_barrier
	ds_read_b64 v[10:11], v6
	ds_read_b64 v[12:13], v7
	;; [unrolled: 1-line block ×4, first 2 shown]
	s_mov_b32 s17, 0
	s_lshl_b64 s[0:1], s[16:17], 2
	v_lshrrev_b32_e32 v14, 3, v0
	s_add_u32 s0, s8, s0
	v_add_u32_e32 v16, v14, v1
	s_addc_u32 s1, s9, s1
	v_lshlrev_b32_e32 v17, 2, v16
	s_waitcnt lgkmcnt(0)
	s_barrier
	s_barrier
	ds_write2_b32 v17, v2, v3 offset1:1
	ds_write2_b32 v17, v4, v5 offset0:2 offset1:3
	v_or_b32_e32 v21, 0x100, v0
	v_or_b32_e32 v20, 0x200, v0
	;; [unrolled: 1-line block ×3, first 2 shown]
	v_mov_b32_e32 v3, s1
	v_add_co_u32_e32 v2, vcc, s0, v1
	v_lshrrev_b32_e32 v14, 5, v0
	v_lshrrev_b32_e32 v4, 5, v21
	;; [unrolled: 1-line block ×4, first 2 shown]
	v_addc_co_u32_e32 v3, vcc, 0, v3, vcc
	v_lshl_add_u32 v15, v14, 2, v1
	v_lshl_add_u32 v23, v4, 2, v1
	;; [unrolled: 1-line block ×4, first 2 shown]
	s_mov_b64 s[0:1], -1
	s_and_b64 vcc, exec, s[18:19]
	v_lshl_add_u32 v1, v4, 3, v22
	v_lshl_add_u32 v4, v5, 3, v22
	;; [unrolled: 1-line block ×3, first 2 shown]
	s_waitcnt lgkmcnt(0)
	s_cbranch_vccz .LBB102_35
; %bb.34:
	s_barrier
	ds_read_b32 v26, v15
	ds_read_b32 v27, v23 offset:1024
	ds_read_b32 v28, v24 offset:2048
	;; [unrolled: 1-line block ×3, first 2 shown]
	s_lshl_b64 s[0:1], s[16:17], 3
	s_add_u32 s0, s12, s0
	s_waitcnt lgkmcnt(3)
	global_store_dword v[2:3], v26, off
	s_waitcnt lgkmcnt(2)
	global_store_dword v[2:3], v27, off offset:1024
	s_waitcnt lgkmcnt(1)
	global_store_dword v[2:3], v28, off offset:2048
	;; [unrolled: 2-line block ×3, first 2 shown]
	v_lshlrev_b32_e32 v26, 3, v16
	v_lshl_add_u32 v22, v14, 3, v22
	s_barrier
	s_addc_u32 s1, s13, s1
	ds_write2_b64 v26, v[10:11], v[12:13] offset1:1
	ds_write2_b64 v26, v[6:7], v[8:9] offset0:2 offset1:3
	s_waitcnt lgkmcnt(0)
	s_barrier
	ds_read_b64 v[26:27], v22
	ds_read_b64 v[28:29], v1 offset:2048
	v_mov_b32_e32 v30, s1
	v_add_co_u32_e32 v22, vcc, s0, v18
	v_addc_co_u32_e32 v34, vcc, 0, v30, vcc
	ds_read_b64 v[30:31], v4 offset:4096
	ds_read_b64 v[32:33], v5 offset:6144
	s_waitcnt lgkmcnt(3)
	global_store_dwordx2 v18, v[26:27], s[0:1]
	s_waitcnt lgkmcnt(2)
	global_store_dwordx2 v18, v[28:29], s[0:1] offset:2048
	v_add_co_u32_e32 v26, vcc, 0x1000, v22
	v_addc_co_u32_e32 v27, vcc, 0, v34, vcc
	s_waitcnt lgkmcnt(1)
	global_store_dwordx2 v[26:27], v[30:31], off
	s_waitcnt lgkmcnt(0)
	global_store_dwordx2 v[26:27], v[32:33], off offset:2048
	s_mov_b64 s[0:1], 0
.LBB102_35:
	s_andn2_b64 vcc, exec, s[0:1]
	s_cbranch_vccnz .LBB102_46
; %bb.36:
	s_barrier
	ds_read_b32 v26, v23 offset:1024
	ds_read_b32 v23, v24 offset:2048
	;; [unrolled: 1-line block ×3, first 2 shown]
	s_sub_i32 s6, s14, s16
	v_cmp_gt_u32_e32 vcc, s6, v0
	s_and_saveexec_b64 s[0:1], vcc
	s_cbranch_execnz .LBB102_49
; %bb.37:
	s_or_b64 exec, exec, s[0:1]
	v_cmp_gt_u32_e64 s[2:3], s6, v21
	s_and_saveexec_b64 s[0:1], s[2:3]
	s_cbranch_execnz .LBB102_50
.LBB102_38:
	s_or_b64 exec, exec, s[0:1]
	v_cmp_gt_u32_e64 s[4:5], s6, v20
	s_and_saveexec_b64 s[0:1], s[4:5]
	s_cbranch_execnz .LBB102_51
.LBB102_39:
	s_or_b64 exec, exec, s[0:1]
	v_cmp_gt_u32_e64 s[0:1], s6, v19
	s_and_saveexec_b64 s[6:7], s[0:1]
	s_cbranch_execz .LBB102_41
.LBB102_40:
	s_waitcnt lgkmcnt(0)
	global_store_dword v[2:3], v22, off offset:3072
.LBB102_41:
	s_or_b64 exec, exec, s[6:7]
	v_lshl_add_u32 v2, v16, 2, v17
	s_waitcnt lgkmcnt(0)
	s_barrier
	ds_write2_b64 v2, v[10:11], v[12:13] offset1:1
	ds_write2_b64 v2, v[6:7], v[8:9] offset0:2 offset1:3
	s_waitcnt lgkmcnt(0)
	s_barrier
	ds_read_b64 v[8:9], v1 offset:2048
	ds_read_b64 v[6:7], v4 offset:4096
	;; [unrolled: 1-line block ×3, first 2 shown]
	s_lshl_b64 s[6:7], s[16:17], 3
	s_add_u32 s6, s12, s6
	s_addc_u32 s7, s13, s7
	v_mov_b32_e32 v1, s7
	v_add_co_u32_e64 v4, s[6:7], s6, v18
	v_addc_co_u32_e64 v5, s[6:7], 0, v1, s[6:7]
	s_and_saveexec_b64 s[6:7], vcc
	s_cbranch_execnz .LBB102_52
; %bb.42:
	s_or_b64 exec, exec, s[6:7]
	s_and_saveexec_b64 s[6:7], s[2:3]
	s_cbranch_execnz .LBB102_53
.LBB102_43:
	s_or_b64 exec, exec, s[6:7]
	s_and_saveexec_b64 s[2:3], s[4:5]
	s_cbranch_execnz .LBB102_54
.LBB102_44:
	s_or_b64 exec, exec, s[2:3]
	s_and_saveexec_b64 s[2:3], s[0:1]
	s_cbranch_execz .LBB102_46
.LBB102_45:
	v_add_co_u32_e32 v0, vcc, 0x1000, v4
	v_addc_co_u32_e32 v1, vcc, 0, v5, vcc
	s_waitcnt lgkmcnt(0)
	global_store_dwordx2 v[0:1], v[2:3], off offset:2048
.LBB102_46:
	s_endpgm
.LBB102_47:
	s_waitcnt vmcnt(2)
	v_mov_b32_e32 v2, s25
	s_waitcnt vmcnt(0)
	v_add_co_u32_e32 v4, vcc, s24, v1
	v_mov_b32_e32 v3, 0
	v_addc_co_u32_e32 v5, vcc, 0, v2, vcc
	v_subrev_u32_e32 v2, s15, v0
	v_lshlrev_b64 v[2:3], 2, v[2:3]
	v_mov_b32_e32 v7, s23
	v_add_co_u32_e32 v2, vcc, s21, v2
	v_addc_co_u32_e32 v3, vcc, v7, v3, vcc
	v_cmp_gt_u32_e32 vcc, s15, v0
	v_cndmask_b32_e32 v3, v3, v5, vcc
	v_cndmask_b32_e32 v2, v2, v4, vcc
	global_load_dword v2, v[2:3], off
	s_or_b64 exec, exec, s[0:1]
	v_cmp_gt_u32_e32 vcc, s6, v8
	s_and_saveexec_b64 s[0:1], vcc
	s_cbranch_execz .LBB102_6
.LBB102_48:
	v_mov_b32_e32 v9, 0
	v_lshlrev_b64 v[10:11], 2, v[8:9]
	s_waitcnt vmcnt(1)
	v_mov_b32_e32 v3, s25
	v_add_co_u32_e32 v7, vcc, s24, v10
	v_addc_co_u32_e32 v3, vcc, v3, v11, vcc
	v_subrev_u32_e32 v10, s15, v8
	v_mov_b32_e32 v11, v9
	v_lshlrev_b64 v[10:11], 2, v[10:11]
	v_mov_b32_e32 v9, s23
	v_add_co_u32_e32 v10, vcc, s21, v10
	v_addc_co_u32_e32 v9, vcc, v9, v11, vcc
	v_cmp_gt_u32_e32 vcc, s15, v8
	v_cndmask_b32_e32 v11, v9, v3, vcc
	v_cndmask_b32_e32 v10, v10, v7, vcc
	global_load_dword v3, v[10:11], off
	s_or_b64 exec, exec, s[0:1]
	v_cmp_gt_u32_e32 vcc, s6, v6
	s_and_saveexec_b64 s[0:1], vcc
	s_cbranch_execnz .LBB102_7
	s_branch .LBB102_8
.LBB102_49:
	ds_read_b32 v24, v15
	s_waitcnt lgkmcnt(0)
	global_store_dword v[2:3], v24, off
	s_or_b64 exec, exec, s[0:1]
	v_cmp_gt_u32_e64 s[2:3], s6, v21
	s_and_saveexec_b64 s[0:1], s[2:3]
	s_cbranch_execz .LBB102_38
.LBB102_50:
	s_waitcnt lgkmcnt(2)
	global_store_dword v[2:3], v26, off offset:1024
	s_or_b64 exec, exec, s[0:1]
	v_cmp_gt_u32_e64 s[4:5], s6, v20
	s_and_saveexec_b64 s[0:1], s[4:5]
	s_cbranch_execz .LBB102_39
.LBB102_51:
	s_waitcnt lgkmcnt(1)
	global_store_dword v[2:3], v23, off offset:2048
	s_or_b64 exec, exec, s[0:1]
	v_cmp_gt_u32_e64 s[0:1], s6, v19
	s_and_saveexec_b64 s[6:7], s[0:1]
	s_cbranch_execnz .LBB102_40
	s_branch .LBB102_41
.LBB102_52:
	v_add_u32_e32 v0, v14, v0
	v_lshl_add_u32 v0, v0, 2, v15
	ds_read_b64 v[0:1], v0
	s_waitcnt lgkmcnt(0)
	global_store_dwordx2 v[4:5], v[0:1], off
	s_or_b64 exec, exec, s[6:7]
	s_and_saveexec_b64 s[6:7], s[2:3]
	s_cbranch_execz .LBB102_43
.LBB102_53:
	s_waitcnt lgkmcnt(2)
	global_store_dwordx2 v[4:5], v[8:9], off offset:2048
	s_or_b64 exec, exec, s[6:7]
	s_and_saveexec_b64 s[2:3], s[4:5]
	s_cbranch_execz .LBB102_44
.LBB102_54:
	v_add_co_u32_e32 v0, vcc, 0x1000, v4
	v_addc_co_u32_e32 v1, vcc, 0, v5, vcc
	s_waitcnt lgkmcnt(1)
	global_store_dwordx2 v[0:1], v[6:7], off
	s_or_b64 exec, exec, s[2:3]
	s_and_saveexec_b64 s[2:3], s[0:1]
	s_cbranch_execnz .LBB102_45
	s_branch .LBB102_46
	.section	.rodata,"a",@progbits
	.p2align	6, 0x0
	.amdhsa_kernel _ZN7rocprim17ROCPRIM_400000_NS6detail17trampoline_kernelINS0_14default_configENS1_38merge_sort_block_merge_config_selectorIjN6thrust23THRUST_200600_302600_NS5tupleIffNS6_9null_typeES8_S8_S8_S8_S8_S8_S8_EEEEZZNS1_27merge_sort_block_merge_implIS3_NS6_6detail15normal_iteratorINS6_10device_ptrIjEEEENSD_INSE_IS9_EEEEjNS1_19radix_merge_compareILb0ELb1EjNS0_19identity_decomposerEEEEE10hipError_tT0_T1_T2_jT3_P12ihipStream_tbPNSt15iterator_traitsISN_E10value_typeEPNST_ISO_E10value_typeEPSP_NS1_7vsmem_tEENKUlT_SN_SO_SP_E_clIPjSG_PS9_SI_EESM_S12_SN_SO_SP_EUlS12_E0_NS1_11comp_targetILNS1_3genE4ELNS1_11target_archE910ELNS1_3gpuE8ELNS1_3repE0EEENS1_38merge_mergepath_config_static_selectorELNS0_4arch9wavefront6targetE1EEEvSO_
		.amdhsa_group_segment_fixed_size 8448
		.amdhsa_private_segment_fixed_size 0
		.amdhsa_kernarg_size 320
		.amdhsa_user_sgpr_count 6
		.amdhsa_user_sgpr_private_segment_buffer 1
		.amdhsa_user_sgpr_dispatch_ptr 0
		.amdhsa_user_sgpr_queue_ptr 0
		.amdhsa_user_sgpr_kernarg_segment_ptr 1
		.amdhsa_user_sgpr_dispatch_id 0
		.amdhsa_user_sgpr_flat_scratch_init 0
		.amdhsa_user_sgpr_kernarg_preload_length 0
		.amdhsa_user_sgpr_kernarg_preload_offset 0
		.amdhsa_user_sgpr_private_segment_size 0
		.amdhsa_uses_dynamic_stack 0
		.amdhsa_system_sgpr_private_segment_wavefront_offset 0
		.amdhsa_system_sgpr_workgroup_id_x 1
		.amdhsa_system_sgpr_workgroup_id_y 1
		.amdhsa_system_sgpr_workgroup_id_z 1
		.amdhsa_system_sgpr_workgroup_info 0
		.amdhsa_system_vgpr_workitem_id 0
		.amdhsa_next_free_vgpr 35
		.amdhsa_next_free_sgpr 32
		.amdhsa_accum_offset 36
		.amdhsa_reserve_vcc 1
		.amdhsa_reserve_flat_scratch 0
		.amdhsa_float_round_mode_32 0
		.amdhsa_float_round_mode_16_64 0
		.amdhsa_float_denorm_mode_32 3
		.amdhsa_float_denorm_mode_16_64 3
		.amdhsa_dx10_clamp 1
		.amdhsa_ieee_mode 1
		.amdhsa_fp16_overflow 0
		.amdhsa_tg_split 0
		.amdhsa_exception_fp_ieee_invalid_op 0
		.amdhsa_exception_fp_denorm_src 0
		.amdhsa_exception_fp_ieee_div_zero 0
		.amdhsa_exception_fp_ieee_overflow 0
		.amdhsa_exception_fp_ieee_underflow 0
		.amdhsa_exception_fp_ieee_inexact 0
		.amdhsa_exception_int_div_zero 0
	.end_amdhsa_kernel
	.section	.text._ZN7rocprim17ROCPRIM_400000_NS6detail17trampoline_kernelINS0_14default_configENS1_38merge_sort_block_merge_config_selectorIjN6thrust23THRUST_200600_302600_NS5tupleIffNS6_9null_typeES8_S8_S8_S8_S8_S8_S8_EEEEZZNS1_27merge_sort_block_merge_implIS3_NS6_6detail15normal_iteratorINS6_10device_ptrIjEEEENSD_INSE_IS9_EEEEjNS1_19radix_merge_compareILb0ELb1EjNS0_19identity_decomposerEEEEE10hipError_tT0_T1_T2_jT3_P12ihipStream_tbPNSt15iterator_traitsISN_E10value_typeEPNST_ISO_E10value_typeEPSP_NS1_7vsmem_tEENKUlT_SN_SO_SP_E_clIPjSG_PS9_SI_EESM_S12_SN_SO_SP_EUlS12_E0_NS1_11comp_targetILNS1_3genE4ELNS1_11target_archE910ELNS1_3gpuE8ELNS1_3repE0EEENS1_38merge_mergepath_config_static_selectorELNS0_4arch9wavefront6targetE1EEEvSO_,"axG",@progbits,_ZN7rocprim17ROCPRIM_400000_NS6detail17trampoline_kernelINS0_14default_configENS1_38merge_sort_block_merge_config_selectorIjN6thrust23THRUST_200600_302600_NS5tupleIffNS6_9null_typeES8_S8_S8_S8_S8_S8_S8_EEEEZZNS1_27merge_sort_block_merge_implIS3_NS6_6detail15normal_iteratorINS6_10device_ptrIjEEEENSD_INSE_IS9_EEEEjNS1_19radix_merge_compareILb0ELb1EjNS0_19identity_decomposerEEEEE10hipError_tT0_T1_T2_jT3_P12ihipStream_tbPNSt15iterator_traitsISN_E10value_typeEPNST_ISO_E10value_typeEPSP_NS1_7vsmem_tEENKUlT_SN_SO_SP_E_clIPjSG_PS9_SI_EESM_S12_SN_SO_SP_EUlS12_E0_NS1_11comp_targetILNS1_3genE4ELNS1_11target_archE910ELNS1_3gpuE8ELNS1_3repE0EEENS1_38merge_mergepath_config_static_selectorELNS0_4arch9wavefront6targetE1EEEvSO_,comdat
.Lfunc_end102:
	.size	_ZN7rocprim17ROCPRIM_400000_NS6detail17trampoline_kernelINS0_14default_configENS1_38merge_sort_block_merge_config_selectorIjN6thrust23THRUST_200600_302600_NS5tupleIffNS6_9null_typeES8_S8_S8_S8_S8_S8_S8_EEEEZZNS1_27merge_sort_block_merge_implIS3_NS6_6detail15normal_iteratorINS6_10device_ptrIjEEEENSD_INSE_IS9_EEEEjNS1_19radix_merge_compareILb0ELb1EjNS0_19identity_decomposerEEEEE10hipError_tT0_T1_T2_jT3_P12ihipStream_tbPNSt15iterator_traitsISN_E10value_typeEPNST_ISO_E10value_typeEPSP_NS1_7vsmem_tEENKUlT_SN_SO_SP_E_clIPjSG_PS9_SI_EESM_S12_SN_SO_SP_EUlS12_E0_NS1_11comp_targetILNS1_3genE4ELNS1_11target_archE910ELNS1_3gpuE8ELNS1_3repE0EEENS1_38merge_mergepath_config_static_selectorELNS0_4arch9wavefront6targetE1EEEvSO_, .Lfunc_end102-_ZN7rocprim17ROCPRIM_400000_NS6detail17trampoline_kernelINS0_14default_configENS1_38merge_sort_block_merge_config_selectorIjN6thrust23THRUST_200600_302600_NS5tupleIffNS6_9null_typeES8_S8_S8_S8_S8_S8_S8_EEEEZZNS1_27merge_sort_block_merge_implIS3_NS6_6detail15normal_iteratorINS6_10device_ptrIjEEEENSD_INSE_IS9_EEEEjNS1_19radix_merge_compareILb0ELb1EjNS0_19identity_decomposerEEEEE10hipError_tT0_T1_T2_jT3_P12ihipStream_tbPNSt15iterator_traitsISN_E10value_typeEPNST_ISO_E10value_typeEPSP_NS1_7vsmem_tEENKUlT_SN_SO_SP_E_clIPjSG_PS9_SI_EESM_S12_SN_SO_SP_EUlS12_E0_NS1_11comp_targetILNS1_3genE4ELNS1_11target_archE910ELNS1_3gpuE8ELNS1_3repE0EEENS1_38merge_mergepath_config_static_selectorELNS0_4arch9wavefront6targetE1EEEvSO_
                                        ; -- End function
	.section	.AMDGPU.csdata,"",@progbits
; Kernel info:
; codeLenInByte = 3400
; NumSgprs: 36
; NumVgprs: 35
; NumAgprs: 0
; TotalNumVgprs: 35
; ScratchSize: 0
; MemoryBound: 0
; FloatMode: 240
; IeeeMode: 1
; LDSByteSize: 8448 bytes/workgroup (compile time only)
; SGPRBlocks: 4
; VGPRBlocks: 4
; NumSGPRsForWavesPerEU: 36
; NumVGPRsForWavesPerEU: 35
; AccumOffset: 36
; Occupancy: 7
; WaveLimiterHint : 1
; COMPUTE_PGM_RSRC2:SCRATCH_EN: 0
; COMPUTE_PGM_RSRC2:USER_SGPR: 6
; COMPUTE_PGM_RSRC2:TRAP_HANDLER: 0
; COMPUTE_PGM_RSRC2:TGID_X_EN: 1
; COMPUTE_PGM_RSRC2:TGID_Y_EN: 1
; COMPUTE_PGM_RSRC2:TGID_Z_EN: 1
; COMPUTE_PGM_RSRC2:TIDIG_COMP_CNT: 0
; COMPUTE_PGM_RSRC3_GFX90A:ACCUM_OFFSET: 8
; COMPUTE_PGM_RSRC3_GFX90A:TG_SPLIT: 0
	.section	.text._ZN7rocprim17ROCPRIM_400000_NS6detail17trampoline_kernelINS0_14default_configENS1_38merge_sort_block_merge_config_selectorIjN6thrust23THRUST_200600_302600_NS5tupleIffNS6_9null_typeES8_S8_S8_S8_S8_S8_S8_EEEEZZNS1_27merge_sort_block_merge_implIS3_NS6_6detail15normal_iteratorINS6_10device_ptrIjEEEENSD_INSE_IS9_EEEEjNS1_19radix_merge_compareILb0ELb1EjNS0_19identity_decomposerEEEEE10hipError_tT0_T1_T2_jT3_P12ihipStream_tbPNSt15iterator_traitsISN_E10value_typeEPNST_ISO_E10value_typeEPSP_NS1_7vsmem_tEENKUlT_SN_SO_SP_E_clIPjSG_PS9_SI_EESM_S12_SN_SO_SP_EUlS12_E0_NS1_11comp_targetILNS1_3genE3ELNS1_11target_archE908ELNS1_3gpuE7ELNS1_3repE0EEENS1_38merge_mergepath_config_static_selectorELNS0_4arch9wavefront6targetE1EEEvSO_,"axG",@progbits,_ZN7rocprim17ROCPRIM_400000_NS6detail17trampoline_kernelINS0_14default_configENS1_38merge_sort_block_merge_config_selectorIjN6thrust23THRUST_200600_302600_NS5tupleIffNS6_9null_typeES8_S8_S8_S8_S8_S8_S8_EEEEZZNS1_27merge_sort_block_merge_implIS3_NS6_6detail15normal_iteratorINS6_10device_ptrIjEEEENSD_INSE_IS9_EEEEjNS1_19radix_merge_compareILb0ELb1EjNS0_19identity_decomposerEEEEE10hipError_tT0_T1_T2_jT3_P12ihipStream_tbPNSt15iterator_traitsISN_E10value_typeEPNST_ISO_E10value_typeEPSP_NS1_7vsmem_tEENKUlT_SN_SO_SP_E_clIPjSG_PS9_SI_EESM_S12_SN_SO_SP_EUlS12_E0_NS1_11comp_targetILNS1_3genE3ELNS1_11target_archE908ELNS1_3gpuE7ELNS1_3repE0EEENS1_38merge_mergepath_config_static_selectorELNS0_4arch9wavefront6targetE1EEEvSO_,comdat
	.protected	_ZN7rocprim17ROCPRIM_400000_NS6detail17trampoline_kernelINS0_14default_configENS1_38merge_sort_block_merge_config_selectorIjN6thrust23THRUST_200600_302600_NS5tupleIffNS6_9null_typeES8_S8_S8_S8_S8_S8_S8_EEEEZZNS1_27merge_sort_block_merge_implIS3_NS6_6detail15normal_iteratorINS6_10device_ptrIjEEEENSD_INSE_IS9_EEEEjNS1_19radix_merge_compareILb0ELb1EjNS0_19identity_decomposerEEEEE10hipError_tT0_T1_T2_jT3_P12ihipStream_tbPNSt15iterator_traitsISN_E10value_typeEPNST_ISO_E10value_typeEPSP_NS1_7vsmem_tEENKUlT_SN_SO_SP_E_clIPjSG_PS9_SI_EESM_S12_SN_SO_SP_EUlS12_E0_NS1_11comp_targetILNS1_3genE3ELNS1_11target_archE908ELNS1_3gpuE7ELNS1_3repE0EEENS1_38merge_mergepath_config_static_selectorELNS0_4arch9wavefront6targetE1EEEvSO_ ; -- Begin function _ZN7rocprim17ROCPRIM_400000_NS6detail17trampoline_kernelINS0_14default_configENS1_38merge_sort_block_merge_config_selectorIjN6thrust23THRUST_200600_302600_NS5tupleIffNS6_9null_typeES8_S8_S8_S8_S8_S8_S8_EEEEZZNS1_27merge_sort_block_merge_implIS3_NS6_6detail15normal_iteratorINS6_10device_ptrIjEEEENSD_INSE_IS9_EEEEjNS1_19radix_merge_compareILb0ELb1EjNS0_19identity_decomposerEEEEE10hipError_tT0_T1_T2_jT3_P12ihipStream_tbPNSt15iterator_traitsISN_E10value_typeEPNST_ISO_E10value_typeEPSP_NS1_7vsmem_tEENKUlT_SN_SO_SP_E_clIPjSG_PS9_SI_EESM_S12_SN_SO_SP_EUlS12_E0_NS1_11comp_targetILNS1_3genE3ELNS1_11target_archE908ELNS1_3gpuE7ELNS1_3repE0EEENS1_38merge_mergepath_config_static_selectorELNS0_4arch9wavefront6targetE1EEEvSO_
	.globl	_ZN7rocprim17ROCPRIM_400000_NS6detail17trampoline_kernelINS0_14default_configENS1_38merge_sort_block_merge_config_selectorIjN6thrust23THRUST_200600_302600_NS5tupleIffNS6_9null_typeES8_S8_S8_S8_S8_S8_S8_EEEEZZNS1_27merge_sort_block_merge_implIS3_NS6_6detail15normal_iteratorINS6_10device_ptrIjEEEENSD_INSE_IS9_EEEEjNS1_19radix_merge_compareILb0ELb1EjNS0_19identity_decomposerEEEEE10hipError_tT0_T1_T2_jT3_P12ihipStream_tbPNSt15iterator_traitsISN_E10value_typeEPNST_ISO_E10value_typeEPSP_NS1_7vsmem_tEENKUlT_SN_SO_SP_E_clIPjSG_PS9_SI_EESM_S12_SN_SO_SP_EUlS12_E0_NS1_11comp_targetILNS1_3genE3ELNS1_11target_archE908ELNS1_3gpuE7ELNS1_3repE0EEENS1_38merge_mergepath_config_static_selectorELNS0_4arch9wavefront6targetE1EEEvSO_
	.p2align	8
	.type	_ZN7rocprim17ROCPRIM_400000_NS6detail17trampoline_kernelINS0_14default_configENS1_38merge_sort_block_merge_config_selectorIjN6thrust23THRUST_200600_302600_NS5tupleIffNS6_9null_typeES8_S8_S8_S8_S8_S8_S8_EEEEZZNS1_27merge_sort_block_merge_implIS3_NS6_6detail15normal_iteratorINS6_10device_ptrIjEEEENSD_INSE_IS9_EEEEjNS1_19radix_merge_compareILb0ELb1EjNS0_19identity_decomposerEEEEE10hipError_tT0_T1_T2_jT3_P12ihipStream_tbPNSt15iterator_traitsISN_E10value_typeEPNST_ISO_E10value_typeEPSP_NS1_7vsmem_tEENKUlT_SN_SO_SP_E_clIPjSG_PS9_SI_EESM_S12_SN_SO_SP_EUlS12_E0_NS1_11comp_targetILNS1_3genE3ELNS1_11target_archE908ELNS1_3gpuE7ELNS1_3repE0EEENS1_38merge_mergepath_config_static_selectorELNS0_4arch9wavefront6targetE1EEEvSO_,@function
_ZN7rocprim17ROCPRIM_400000_NS6detail17trampoline_kernelINS0_14default_configENS1_38merge_sort_block_merge_config_selectorIjN6thrust23THRUST_200600_302600_NS5tupleIffNS6_9null_typeES8_S8_S8_S8_S8_S8_S8_EEEEZZNS1_27merge_sort_block_merge_implIS3_NS6_6detail15normal_iteratorINS6_10device_ptrIjEEEENSD_INSE_IS9_EEEEjNS1_19radix_merge_compareILb0ELb1EjNS0_19identity_decomposerEEEEE10hipError_tT0_T1_T2_jT3_P12ihipStream_tbPNSt15iterator_traitsISN_E10value_typeEPNST_ISO_E10value_typeEPSP_NS1_7vsmem_tEENKUlT_SN_SO_SP_E_clIPjSG_PS9_SI_EESM_S12_SN_SO_SP_EUlS12_E0_NS1_11comp_targetILNS1_3genE3ELNS1_11target_archE908ELNS1_3gpuE7ELNS1_3repE0EEENS1_38merge_mergepath_config_static_selectorELNS0_4arch9wavefront6targetE1EEEvSO_: ; @_ZN7rocprim17ROCPRIM_400000_NS6detail17trampoline_kernelINS0_14default_configENS1_38merge_sort_block_merge_config_selectorIjN6thrust23THRUST_200600_302600_NS5tupleIffNS6_9null_typeES8_S8_S8_S8_S8_S8_S8_EEEEZZNS1_27merge_sort_block_merge_implIS3_NS6_6detail15normal_iteratorINS6_10device_ptrIjEEEENSD_INSE_IS9_EEEEjNS1_19radix_merge_compareILb0ELb1EjNS0_19identity_decomposerEEEEE10hipError_tT0_T1_T2_jT3_P12ihipStream_tbPNSt15iterator_traitsISN_E10value_typeEPNST_ISO_E10value_typeEPSP_NS1_7vsmem_tEENKUlT_SN_SO_SP_E_clIPjSG_PS9_SI_EESM_S12_SN_SO_SP_EUlS12_E0_NS1_11comp_targetILNS1_3genE3ELNS1_11target_archE908ELNS1_3gpuE7ELNS1_3repE0EEENS1_38merge_mergepath_config_static_selectorELNS0_4arch9wavefront6targetE1EEEvSO_
; %bb.0:
	.section	.rodata,"a",@progbits
	.p2align	6, 0x0
	.amdhsa_kernel _ZN7rocprim17ROCPRIM_400000_NS6detail17trampoline_kernelINS0_14default_configENS1_38merge_sort_block_merge_config_selectorIjN6thrust23THRUST_200600_302600_NS5tupleIffNS6_9null_typeES8_S8_S8_S8_S8_S8_S8_EEEEZZNS1_27merge_sort_block_merge_implIS3_NS6_6detail15normal_iteratorINS6_10device_ptrIjEEEENSD_INSE_IS9_EEEEjNS1_19radix_merge_compareILb0ELb1EjNS0_19identity_decomposerEEEEE10hipError_tT0_T1_T2_jT3_P12ihipStream_tbPNSt15iterator_traitsISN_E10value_typeEPNST_ISO_E10value_typeEPSP_NS1_7vsmem_tEENKUlT_SN_SO_SP_E_clIPjSG_PS9_SI_EESM_S12_SN_SO_SP_EUlS12_E0_NS1_11comp_targetILNS1_3genE3ELNS1_11target_archE908ELNS1_3gpuE7ELNS1_3repE0EEENS1_38merge_mergepath_config_static_selectorELNS0_4arch9wavefront6targetE1EEEvSO_
		.amdhsa_group_segment_fixed_size 0
		.amdhsa_private_segment_fixed_size 0
		.amdhsa_kernarg_size 64
		.amdhsa_user_sgpr_count 6
		.amdhsa_user_sgpr_private_segment_buffer 1
		.amdhsa_user_sgpr_dispatch_ptr 0
		.amdhsa_user_sgpr_queue_ptr 0
		.amdhsa_user_sgpr_kernarg_segment_ptr 1
		.amdhsa_user_sgpr_dispatch_id 0
		.amdhsa_user_sgpr_flat_scratch_init 0
		.amdhsa_user_sgpr_kernarg_preload_length 0
		.amdhsa_user_sgpr_kernarg_preload_offset 0
		.amdhsa_user_sgpr_private_segment_size 0
		.amdhsa_uses_dynamic_stack 0
		.amdhsa_system_sgpr_private_segment_wavefront_offset 0
		.amdhsa_system_sgpr_workgroup_id_x 1
		.amdhsa_system_sgpr_workgroup_id_y 0
		.amdhsa_system_sgpr_workgroup_id_z 0
		.amdhsa_system_sgpr_workgroup_info 0
		.amdhsa_system_vgpr_workitem_id 0
		.amdhsa_next_free_vgpr 1
		.amdhsa_next_free_sgpr 0
		.amdhsa_accum_offset 4
		.amdhsa_reserve_vcc 0
		.amdhsa_reserve_flat_scratch 0
		.amdhsa_float_round_mode_32 0
		.amdhsa_float_round_mode_16_64 0
		.amdhsa_float_denorm_mode_32 3
		.amdhsa_float_denorm_mode_16_64 3
		.amdhsa_dx10_clamp 1
		.amdhsa_ieee_mode 1
		.amdhsa_fp16_overflow 0
		.amdhsa_tg_split 0
		.amdhsa_exception_fp_ieee_invalid_op 0
		.amdhsa_exception_fp_denorm_src 0
		.amdhsa_exception_fp_ieee_div_zero 0
		.amdhsa_exception_fp_ieee_overflow 0
		.amdhsa_exception_fp_ieee_underflow 0
		.amdhsa_exception_fp_ieee_inexact 0
		.amdhsa_exception_int_div_zero 0
	.end_amdhsa_kernel
	.section	.text._ZN7rocprim17ROCPRIM_400000_NS6detail17trampoline_kernelINS0_14default_configENS1_38merge_sort_block_merge_config_selectorIjN6thrust23THRUST_200600_302600_NS5tupleIffNS6_9null_typeES8_S8_S8_S8_S8_S8_S8_EEEEZZNS1_27merge_sort_block_merge_implIS3_NS6_6detail15normal_iteratorINS6_10device_ptrIjEEEENSD_INSE_IS9_EEEEjNS1_19radix_merge_compareILb0ELb1EjNS0_19identity_decomposerEEEEE10hipError_tT0_T1_T2_jT3_P12ihipStream_tbPNSt15iterator_traitsISN_E10value_typeEPNST_ISO_E10value_typeEPSP_NS1_7vsmem_tEENKUlT_SN_SO_SP_E_clIPjSG_PS9_SI_EESM_S12_SN_SO_SP_EUlS12_E0_NS1_11comp_targetILNS1_3genE3ELNS1_11target_archE908ELNS1_3gpuE7ELNS1_3repE0EEENS1_38merge_mergepath_config_static_selectorELNS0_4arch9wavefront6targetE1EEEvSO_,"axG",@progbits,_ZN7rocprim17ROCPRIM_400000_NS6detail17trampoline_kernelINS0_14default_configENS1_38merge_sort_block_merge_config_selectorIjN6thrust23THRUST_200600_302600_NS5tupleIffNS6_9null_typeES8_S8_S8_S8_S8_S8_S8_EEEEZZNS1_27merge_sort_block_merge_implIS3_NS6_6detail15normal_iteratorINS6_10device_ptrIjEEEENSD_INSE_IS9_EEEEjNS1_19radix_merge_compareILb0ELb1EjNS0_19identity_decomposerEEEEE10hipError_tT0_T1_T2_jT3_P12ihipStream_tbPNSt15iterator_traitsISN_E10value_typeEPNST_ISO_E10value_typeEPSP_NS1_7vsmem_tEENKUlT_SN_SO_SP_E_clIPjSG_PS9_SI_EESM_S12_SN_SO_SP_EUlS12_E0_NS1_11comp_targetILNS1_3genE3ELNS1_11target_archE908ELNS1_3gpuE7ELNS1_3repE0EEENS1_38merge_mergepath_config_static_selectorELNS0_4arch9wavefront6targetE1EEEvSO_,comdat
.Lfunc_end103:
	.size	_ZN7rocprim17ROCPRIM_400000_NS6detail17trampoline_kernelINS0_14default_configENS1_38merge_sort_block_merge_config_selectorIjN6thrust23THRUST_200600_302600_NS5tupleIffNS6_9null_typeES8_S8_S8_S8_S8_S8_S8_EEEEZZNS1_27merge_sort_block_merge_implIS3_NS6_6detail15normal_iteratorINS6_10device_ptrIjEEEENSD_INSE_IS9_EEEEjNS1_19radix_merge_compareILb0ELb1EjNS0_19identity_decomposerEEEEE10hipError_tT0_T1_T2_jT3_P12ihipStream_tbPNSt15iterator_traitsISN_E10value_typeEPNST_ISO_E10value_typeEPSP_NS1_7vsmem_tEENKUlT_SN_SO_SP_E_clIPjSG_PS9_SI_EESM_S12_SN_SO_SP_EUlS12_E0_NS1_11comp_targetILNS1_3genE3ELNS1_11target_archE908ELNS1_3gpuE7ELNS1_3repE0EEENS1_38merge_mergepath_config_static_selectorELNS0_4arch9wavefront6targetE1EEEvSO_, .Lfunc_end103-_ZN7rocprim17ROCPRIM_400000_NS6detail17trampoline_kernelINS0_14default_configENS1_38merge_sort_block_merge_config_selectorIjN6thrust23THRUST_200600_302600_NS5tupleIffNS6_9null_typeES8_S8_S8_S8_S8_S8_S8_EEEEZZNS1_27merge_sort_block_merge_implIS3_NS6_6detail15normal_iteratorINS6_10device_ptrIjEEEENSD_INSE_IS9_EEEEjNS1_19radix_merge_compareILb0ELb1EjNS0_19identity_decomposerEEEEE10hipError_tT0_T1_T2_jT3_P12ihipStream_tbPNSt15iterator_traitsISN_E10value_typeEPNST_ISO_E10value_typeEPSP_NS1_7vsmem_tEENKUlT_SN_SO_SP_E_clIPjSG_PS9_SI_EESM_S12_SN_SO_SP_EUlS12_E0_NS1_11comp_targetILNS1_3genE3ELNS1_11target_archE908ELNS1_3gpuE7ELNS1_3repE0EEENS1_38merge_mergepath_config_static_selectorELNS0_4arch9wavefront6targetE1EEEvSO_
                                        ; -- End function
	.section	.AMDGPU.csdata,"",@progbits
; Kernel info:
; codeLenInByte = 0
; NumSgprs: 4
; NumVgprs: 0
; NumAgprs: 0
; TotalNumVgprs: 0
; ScratchSize: 0
; MemoryBound: 0
; FloatMode: 240
; IeeeMode: 1
; LDSByteSize: 0 bytes/workgroup (compile time only)
; SGPRBlocks: 0
; VGPRBlocks: 0
; NumSGPRsForWavesPerEU: 4
; NumVGPRsForWavesPerEU: 1
; AccumOffset: 4
; Occupancy: 8
; WaveLimiterHint : 0
; COMPUTE_PGM_RSRC2:SCRATCH_EN: 0
; COMPUTE_PGM_RSRC2:USER_SGPR: 6
; COMPUTE_PGM_RSRC2:TRAP_HANDLER: 0
; COMPUTE_PGM_RSRC2:TGID_X_EN: 1
; COMPUTE_PGM_RSRC2:TGID_Y_EN: 0
; COMPUTE_PGM_RSRC2:TGID_Z_EN: 0
; COMPUTE_PGM_RSRC2:TIDIG_COMP_CNT: 0
; COMPUTE_PGM_RSRC3_GFX90A:ACCUM_OFFSET: 0
; COMPUTE_PGM_RSRC3_GFX90A:TG_SPLIT: 0
	.section	.text._ZN7rocprim17ROCPRIM_400000_NS6detail17trampoline_kernelINS0_14default_configENS1_38merge_sort_block_merge_config_selectorIjN6thrust23THRUST_200600_302600_NS5tupleIffNS6_9null_typeES8_S8_S8_S8_S8_S8_S8_EEEEZZNS1_27merge_sort_block_merge_implIS3_NS6_6detail15normal_iteratorINS6_10device_ptrIjEEEENSD_INSE_IS9_EEEEjNS1_19radix_merge_compareILb0ELb1EjNS0_19identity_decomposerEEEEE10hipError_tT0_T1_T2_jT3_P12ihipStream_tbPNSt15iterator_traitsISN_E10value_typeEPNST_ISO_E10value_typeEPSP_NS1_7vsmem_tEENKUlT_SN_SO_SP_E_clIPjSG_PS9_SI_EESM_S12_SN_SO_SP_EUlS12_E0_NS1_11comp_targetILNS1_3genE2ELNS1_11target_archE906ELNS1_3gpuE6ELNS1_3repE0EEENS1_38merge_mergepath_config_static_selectorELNS0_4arch9wavefront6targetE1EEEvSO_,"axG",@progbits,_ZN7rocprim17ROCPRIM_400000_NS6detail17trampoline_kernelINS0_14default_configENS1_38merge_sort_block_merge_config_selectorIjN6thrust23THRUST_200600_302600_NS5tupleIffNS6_9null_typeES8_S8_S8_S8_S8_S8_S8_EEEEZZNS1_27merge_sort_block_merge_implIS3_NS6_6detail15normal_iteratorINS6_10device_ptrIjEEEENSD_INSE_IS9_EEEEjNS1_19radix_merge_compareILb0ELb1EjNS0_19identity_decomposerEEEEE10hipError_tT0_T1_T2_jT3_P12ihipStream_tbPNSt15iterator_traitsISN_E10value_typeEPNST_ISO_E10value_typeEPSP_NS1_7vsmem_tEENKUlT_SN_SO_SP_E_clIPjSG_PS9_SI_EESM_S12_SN_SO_SP_EUlS12_E0_NS1_11comp_targetILNS1_3genE2ELNS1_11target_archE906ELNS1_3gpuE6ELNS1_3repE0EEENS1_38merge_mergepath_config_static_selectorELNS0_4arch9wavefront6targetE1EEEvSO_,comdat
	.protected	_ZN7rocprim17ROCPRIM_400000_NS6detail17trampoline_kernelINS0_14default_configENS1_38merge_sort_block_merge_config_selectorIjN6thrust23THRUST_200600_302600_NS5tupleIffNS6_9null_typeES8_S8_S8_S8_S8_S8_S8_EEEEZZNS1_27merge_sort_block_merge_implIS3_NS6_6detail15normal_iteratorINS6_10device_ptrIjEEEENSD_INSE_IS9_EEEEjNS1_19radix_merge_compareILb0ELb1EjNS0_19identity_decomposerEEEEE10hipError_tT0_T1_T2_jT3_P12ihipStream_tbPNSt15iterator_traitsISN_E10value_typeEPNST_ISO_E10value_typeEPSP_NS1_7vsmem_tEENKUlT_SN_SO_SP_E_clIPjSG_PS9_SI_EESM_S12_SN_SO_SP_EUlS12_E0_NS1_11comp_targetILNS1_3genE2ELNS1_11target_archE906ELNS1_3gpuE6ELNS1_3repE0EEENS1_38merge_mergepath_config_static_selectorELNS0_4arch9wavefront6targetE1EEEvSO_ ; -- Begin function _ZN7rocprim17ROCPRIM_400000_NS6detail17trampoline_kernelINS0_14default_configENS1_38merge_sort_block_merge_config_selectorIjN6thrust23THRUST_200600_302600_NS5tupleIffNS6_9null_typeES8_S8_S8_S8_S8_S8_S8_EEEEZZNS1_27merge_sort_block_merge_implIS3_NS6_6detail15normal_iteratorINS6_10device_ptrIjEEEENSD_INSE_IS9_EEEEjNS1_19radix_merge_compareILb0ELb1EjNS0_19identity_decomposerEEEEE10hipError_tT0_T1_T2_jT3_P12ihipStream_tbPNSt15iterator_traitsISN_E10value_typeEPNST_ISO_E10value_typeEPSP_NS1_7vsmem_tEENKUlT_SN_SO_SP_E_clIPjSG_PS9_SI_EESM_S12_SN_SO_SP_EUlS12_E0_NS1_11comp_targetILNS1_3genE2ELNS1_11target_archE906ELNS1_3gpuE6ELNS1_3repE0EEENS1_38merge_mergepath_config_static_selectorELNS0_4arch9wavefront6targetE1EEEvSO_
	.globl	_ZN7rocprim17ROCPRIM_400000_NS6detail17trampoline_kernelINS0_14default_configENS1_38merge_sort_block_merge_config_selectorIjN6thrust23THRUST_200600_302600_NS5tupleIffNS6_9null_typeES8_S8_S8_S8_S8_S8_S8_EEEEZZNS1_27merge_sort_block_merge_implIS3_NS6_6detail15normal_iteratorINS6_10device_ptrIjEEEENSD_INSE_IS9_EEEEjNS1_19radix_merge_compareILb0ELb1EjNS0_19identity_decomposerEEEEE10hipError_tT0_T1_T2_jT3_P12ihipStream_tbPNSt15iterator_traitsISN_E10value_typeEPNST_ISO_E10value_typeEPSP_NS1_7vsmem_tEENKUlT_SN_SO_SP_E_clIPjSG_PS9_SI_EESM_S12_SN_SO_SP_EUlS12_E0_NS1_11comp_targetILNS1_3genE2ELNS1_11target_archE906ELNS1_3gpuE6ELNS1_3repE0EEENS1_38merge_mergepath_config_static_selectorELNS0_4arch9wavefront6targetE1EEEvSO_
	.p2align	8
	.type	_ZN7rocprim17ROCPRIM_400000_NS6detail17trampoline_kernelINS0_14default_configENS1_38merge_sort_block_merge_config_selectorIjN6thrust23THRUST_200600_302600_NS5tupleIffNS6_9null_typeES8_S8_S8_S8_S8_S8_S8_EEEEZZNS1_27merge_sort_block_merge_implIS3_NS6_6detail15normal_iteratorINS6_10device_ptrIjEEEENSD_INSE_IS9_EEEEjNS1_19radix_merge_compareILb0ELb1EjNS0_19identity_decomposerEEEEE10hipError_tT0_T1_T2_jT3_P12ihipStream_tbPNSt15iterator_traitsISN_E10value_typeEPNST_ISO_E10value_typeEPSP_NS1_7vsmem_tEENKUlT_SN_SO_SP_E_clIPjSG_PS9_SI_EESM_S12_SN_SO_SP_EUlS12_E0_NS1_11comp_targetILNS1_3genE2ELNS1_11target_archE906ELNS1_3gpuE6ELNS1_3repE0EEENS1_38merge_mergepath_config_static_selectorELNS0_4arch9wavefront6targetE1EEEvSO_,@function
_ZN7rocprim17ROCPRIM_400000_NS6detail17trampoline_kernelINS0_14default_configENS1_38merge_sort_block_merge_config_selectorIjN6thrust23THRUST_200600_302600_NS5tupleIffNS6_9null_typeES8_S8_S8_S8_S8_S8_S8_EEEEZZNS1_27merge_sort_block_merge_implIS3_NS6_6detail15normal_iteratorINS6_10device_ptrIjEEEENSD_INSE_IS9_EEEEjNS1_19radix_merge_compareILb0ELb1EjNS0_19identity_decomposerEEEEE10hipError_tT0_T1_T2_jT3_P12ihipStream_tbPNSt15iterator_traitsISN_E10value_typeEPNST_ISO_E10value_typeEPSP_NS1_7vsmem_tEENKUlT_SN_SO_SP_E_clIPjSG_PS9_SI_EESM_S12_SN_SO_SP_EUlS12_E0_NS1_11comp_targetILNS1_3genE2ELNS1_11target_archE906ELNS1_3gpuE6ELNS1_3repE0EEENS1_38merge_mergepath_config_static_selectorELNS0_4arch9wavefront6targetE1EEEvSO_: ; @_ZN7rocprim17ROCPRIM_400000_NS6detail17trampoline_kernelINS0_14default_configENS1_38merge_sort_block_merge_config_selectorIjN6thrust23THRUST_200600_302600_NS5tupleIffNS6_9null_typeES8_S8_S8_S8_S8_S8_S8_EEEEZZNS1_27merge_sort_block_merge_implIS3_NS6_6detail15normal_iteratorINS6_10device_ptrIjEEEENSD_INSE_IS9_EEEEjNS1_19radix_merge_compareILb0ELb1EjNS0_19identity_decomposerEEEEE10hipError_tT0_T1_T2_jT3_P12ihipStream_tbPNSt15iterator_traitsISN_E10value_typeEPNST_ISO_E10value_typeEPSP_NS1_7vsmem_tEENKUlT_SN_SO_SP_E_clIPjSG_PS9_SI_EESM_S12_SN_SO_SP_EUlS12_E0_NS1_11comp_targetILNS1_3genE2ELNS1_11target_archE906ELNS1_3gpuE6ELNS1_3repE0EEENS1_38merge_mergepath_config_static_selectorELNS0_4arch9wavefront6targetE1EEEvSO_
; %bb.0:
	.section	.rodata,"a",@progbits
	.p2align	6, 0x0
	.amdhsa_kernel _ZN7rocprim17ROCPRIM_400000_NS6detail17trampoline_kernelINS0_14default_configENS1_38merge_sort_block_merge_config_selectorIjN6thrust23THRUST_200600_302600_NS5tupleIffNS6_9null_typeES8_S8_S8_S8_S8_S8_S8_EEEEZZNS1_27merge_sort_block_merge_implIS3_NS6_6detail15normal_iteratorINS6_10device_ptrIjEEEENSD_INSE_IS9_EEEEjNS1_19radix_merge_compareILb0ELb1EjNS0_19identity_decomposerEEEEE10hipError_tT0_T1_T2_jT3_P12ihipStream_tbPNSt15iterator_traitsISN_E10value_typeEPNST_ISO_E10value_typeEPSP_NS1_7vsmem_tEENKUlT_SN_SO_SP_E_clIPjSG_PS9_SI_EESM_S12_SN_SO_SP_EUlS12_E0_NS1_11comp_targetILNS1_3genE2ELNS1_11target_archE906ELNS1_3gpuE6ELNS1_3repE0EEENS1_38merge_mergepath_config_static_selectorELNS0_4arch9wavefront6targetE1EEEvSO_
		.amdhsa_group_segment_fixed_size 0
		.amdhsa_private_segment_fixed_size 0
		.amdhsa_kernarg_size 64
		.amdhsa_user_sgpr_count 6
		.amdhsa_user_sgpr_private_segment_buffer 1
		.amdhsa_user_sgpr_dispatch_ptr 0
		.amdhsa_user_sgpr_queue_ptr 0
		.amdhsa_user_sgpr_kernarg_segment_ptr 1
		.amdhsa_user_sgpr_dispatch_id 0
		.amdhsa_user_sgpr_flat_scratch_init 0
		.amdhsa_user_sgpr_kernarg_preload_length 0
		.amdhsa_user_sgpr_kernarg_preload_offset 0
		.amdhsa_user_sgpr_private_segment_size 0
		.amdhsa_uses_dynamic_stack 0
		.amdhsa_system_sgpr_private_segment_wavefront_offset 0
		.amdhsa_system_sgpr_workgroup_id_x 1
		.amdhsa_system_sgpr_workgroup_id_y 0
		.amdhsa_system_sgpr_workgroup_id_z 0
		.amdhsa_system_sgpr_workgroup_info 0
		.amdhsa_system_vgpr_workitem_id 0
		.amdhsa_next_free_vgpr 1
		.amdhsa_next_free_sgpr 0
		.amdhsa_accum_offset 4
		.amdhsa_reserve_vcc 0
		.amdhsa_reserve_flat_scratch 0
		.amdhsa_float_round_mode_32 0
		.amdhsa_float_round_mode_16_64 0
		.amdhsa_float_denorm_mode_32 3
		.amdhsa_float_denorm_mode_16_64 3
		.amdhsa_dx10_clamp 1
		.amdhsa_ieee_mode 1
		.amdhsa_fp16_overflow 0
		.amdhsa_tg_split 0
		.amdhsa_exception_fp_ieee_invalid_op 0
		.amdhsa_exception_fp_denorm_src 0
		.amdhsa_exception_fp_ieee_div_zero 0
		.amdhsa_exception_fp_ieee_overflow 0
		.amdhsa_exception_fp_ieee_underflow 0
		.amdhsa_exception_fp_ieee_inexact 0
		.amdhsa_exception_int_div_zero 0
	.end_amdhsa_kernel
	.section	.text._ZN7rocprim17ROCPRIM_400000_NS6detail17trampoline_kernelINS0_14default_configENS1_38merge_sort_block_merge_config_selectorIjN6thrust23THRUST_200600_302600_NS5tupleIffNS6_9null_typeES8_S8_S8_S8_S8_S8_S8_EEEEZZNS1_27merge_sort_block_merge_implIS3_NS6_6detail15normal_iteratorINS6_10device_ptrIjEEEENSD_INSE_IS9_EEEEjNS1_19radix_merge_compareILb0ELb1EjNS0_19identity_decomposerEEEEE10hipError_tT0_T1_T2_jT3_P12ihipStream_tbPNSt15iterator_traitsISN_E10value_typeEPNST_ISO_E10value_typeEPSP_NS1_7vsmem_tEENKUlT_SN_SO_SP_E_clIPjSG_PS9_SI_EESM_S12_SN_SO_SP_EUlS12_E0_NS1_11comp_targetILNS1_3genE2ELNS1_11target_archE906ELNS1_3gpuE6ELNS1_3repE0EEENS1_38merge_mergepath_config_static_selectorELNS0_4arch9wavefront6targetE1EEEvSO_,"axG",@progbits,_ZN7rocprim17ROCPRIM_400000_NS6detail17trampoline_kernelINS0_14default_configENS1_38merge_sort_block_merge_config_selectorIjN6thrust23THRUST_200600_302600_NS5tupleIffNS6_9null_typeES8_S8_S8_S8_S8_S8_S8_EEEEZZNS1_27merge_sort_block_merge_implIS3_NS6_6detail15normal_iteratorINS6_10device_ptrIjEEEENSD_INSE_IS9_EEEEjNS1_19radix_merge_compareILb0ELb1EjNS0_19identity_decomposerEEEEE10hipError_tT0_T1_T2_jT3_P12ihipStream_tbPNSt15iterator_traitsISN_E10value_typeEPNST_ISO_E10value_typeEPSP_NS1_7vsmem_tEENKUlT_SN_SO_SP_E_clIPjSG_PS9_SI_EESM_S12_SN_SO_SP_EUlS12_E0_NS1_11comp_targetILNS1_3genE2ELNS1_11target_archE906ELNS1_3gpuE6ELNS1_3repE0EEENS1_38merge_mergepath_config_static_selectorELNS0_4arch9wavefront6targetE1EEEvSO_,comdat
.Lfunc_end104:
	.size	_ZN7rocprim17ROCPRIM_400000_NS6detail17trampoline_kernelINS0_14default_configENS1_38merge_sort_block_merge_config_selectorIjN6thrust23THRUST_200600_302600_NS5tupleIffNS6_9null_typeES8_S8_S8_S8_S8_S8_S8_EEEEZZNS1_27merge_sort_block_merge_implIS3_NS6_6detail15normal_iteratorINS6_10device_ptrIjEEEENSD_INSE_IS9_EEEEjNS1_19radix_merge_compareILb0ELb1EjNS0_19identity_decomposerEEEEE10hipError_tT0_T1_T2_jT3_P12ihipStream_tbPNSt15iterator_traitsISN_E10value_typeEPNST_ISO_E10value_typeEPSP_NS1_7vsmem_tEENKUlT_SN_SO_SP_E_clIPjSG_PS9_SI_EESM_S12_SN_SO_SP_EUlS12_E0_NS1_11comp_targetILNS1_3genE2ELNS1_11target_archE906ELNS1_3gpuE6ELNS1_3repE0EEENS1_38merge_mergepath_config_static_selectorELNS0_4arch9wavefront6targetE1EEEvSO_, .Lfunc_end104-_ZN7rocprim17ROCPRIM_400000_NS6detail17trampoline_kernelINS0_14default_configENS1_38merge_sort_block_merge_config_selectorIjN6thrust23THRUST_200600_302600_NS5tupleIffNS6_9null_typeES8_S8_S8_S8_S8_S8_S8_EEEEZZNS1_27merge_sort_block_merge_implIS3_NS6_6detail15normal_iteratorINS6_10device_ptrIjEEEENSD_INSE_IS9_EEEEjNS1_19radix_merge_compareILb0ELb1EjNS0_19identity_decomposerEEEEE10hipError_tT0_T1_T2_jT3_P12ihipStream_tbPNSt15iterator_traitsISN_E10value_typeEPNST_ISO_E10value_typeEPSP_NS1_7vsmem_tEENKUlT_SN_SO_SP_E_clIPjSG_PS9_SI_EESM_S12_SN_SO_SP_EUlS12_E0_NS1_11comp_targetILNS1_3genE2ELNS1_11target_archE906ELNS1_3gpuE6ELNS1_3repE0EEENS1_38merge_mergepath_config_static_selectorELNS0_4arch9wavefront6targetE1EEEvSO_
                                        ; -- End function
	.section	.AMDGPU.csdata,"",@progbits
; Kernel info:
; codeLenInByte = 0
; NumSgprs: 4
; NumVgprs: 0
; NumAgprs: 0
; TotalNumVgprs: 0
; ScratchSize: 0
; MemoryBound: 0
; FloatMode: 240
; IeeeMode: 1
; LDSByteSize: 0 bytes/workgroup (compile time only)
; SGPRBlocks: 0
; VGPRBlocks: 0
; NumSGPRsForWavesPerEU: 4
; NumVGPRsForWavesPerEU: 1
; AccumOffset: 4
; Occupancy: 8
; WaveLimiterHint : 0
; COMPUTE_PGM_RSRC2:SCRATCH_EN: 0
; COMPUTE_PGM_RSRC2:USER_SGPR: 6
; COMPUTE_PGM_RSRC2:TRAP_HANDLER: 0
; COMPUTE_PGM_RSRC2:TGID_X_EN: 1
; COMPUTE_PGM_RSRC2:TGID_Y_EN: 0
; COMPUTE_PGM_RSRC2:TGID_Z_EN: 0
; COMPUTE_PGM_RSRC2:TIDIG_COMP_CNT: 0
; COMPUTE_PGM_RSRC3_GFX90A:ACCUM_OFFSET: 0
; COMPUTE_PGM_RSRC3_GFX90A:TG_SPLIT: 0
	.section	.text._ZN7rocprim17ROCPRIM_400000_NS6detail17trampoline_kernelINS0_14default_configENS1_38merge_sort_block_merge_config_selectorIjN6thrust23THRUST_200600_302600_NS5tupleIffNS6_9null_typeES8_S8_S8_S8_S8_S8_S8_EEEEZZNS1_27merge_sort_block_merge_implIS3_NS6_6detail15normal_iteratorINS6_10device_ptrIjEEEENSD_INSE_IS9_EEEEjNS1_19radix_merge_compareILb0ELb1EjNS0_19identity_decomposerEEEEE10hipError_tT0_T1_T2_jT3_P12ihipStream_tbPNSt15iterator_traitsISN_E10value_typeEPNST_ISO_E10value_typeEPSP_NS1_7vsmem_tEENKUlT_SN_SO_SP_E_clIPjSG_PS9_SI_EESM_S12_SN_SO_SP_EUlS12_E0_NS1_11comp_targetILNS1_3genE9ELNS1_11target_archE1100ELNS1_3gpuE3ELNS1_3repE0EEENS1_38merge_mergepath_config_static_selectorELNS0_4arch9wavefront6targetE1EEEvSO_,"axG",@progbits,_ZN7rocprim17ROCPRIM_400000_NS6detail17trampoline_kernelINS0_14default_configENS1_38merge_sort_block_merge_config_selectorIjN6thrust23THRUST_200600_302600_NS5tupleIffNS6_9null_typeES8_S8_S8_S8_S8_S8_S8_EEEEZZNS1_27merge_sort_block_merge_implIS3_NS6_6detail15normal_iteratorINS6_10device_ptrIjEEEENSD_INSE_IS9_EEEEjNS1_19radix_merge_compareILb0ELb1EjNS0_19identity_decomposerEEEEE10hipError_tT0_T1_T2_jT3_P12ihipStream_tbPNSt15iterator_traitsISN_E10value_typeEPNST_ISO_E10value_typeEPSP_NS1_7vsmem_tEENKUlT_SN_SO_SP_E_clIPjSG_PS9_SI_EESM_S12_SN_SO_SP_EUlS12_E0_NS1_11comp_targetILNS1_3genE9ELNS1_11target_archE1100ELNS1_3gpuE3ELNS1_3repE0EEENS1_38merge_mergepath_config_static_selectorELNS0_4arch9wavefront6targetE1EEEvSO_,comdat
	.protected	_ZN7rocprim17ROCPRIM_400000_NS6detail17trampoline_kernelINS0_14default_configENS1_38merge_sort_block_merge_config_selectorIjN6thrust23THRUST_200600_302600_NS5tupleIffNS6_9null_typeES8_S8_S8_S8_S8_S8_S8_EEEEZZNS1_27merge_sort_block_merge_implIS3_NS6_6detail15normal_iteratorINS6_10device_ptrIjEEEENSD_INSE_IS9_EEEEjNS1_19radix_merge_compareILb0ELb1EjNS0_19identity_decomposerEEEEE10hipError_tT0_T1_T2_jT3_P12ihipStream_tbPNSt15iterator_traitsISN_E10value_typeEPNST_ISO_E10value_typeEPSP_NS1_7vsmem_tEENKUlT_SN_SO_SP_E_clIPjSG_PS9_SI_EESM_S12_SN_SO_SP_EUlS12_E0_NS1_11comp_targetILNS1_3genE9ELNS1_11target_archE1100ELNS1_3gpuE3ELNS1_3repE0EEENS1_38merge_mergepath_config_static_selectorELNS0_4arch9wavefront6targetE1EEEvSO_ ; -- Begin function _ZN7rocprim17ROCPRIM_400000_NS6detail17trampoline_kernelINS0_14default_configENS1_38merge_sort_block_merge_config_selectorIjN6thrust23THRUST_200600_302600_NS5tupleIffNS6_9null_typeES8_S8_S8_S8_S8_S8_S8_EEEEZZNS1_27merge_sort_block_merge_implIS3_NS6_6detail15normal_iteratorINS6_10device_ptrIjEEEENSD_INSE_IS9_EEEEjNS1_19radix_merge_compareILb0ELb1EjNS0_19identity_decomposerEEEEE10hipError_tT0_T1_T2_jT3_P12ihipStream_tbPNSt15iterator_traitsISN_E10value_typeEPNST_ISO_E10value_typeEPSP_NS1_7vsmem_tEENKUlT_SN_SO_SP_E_clIPjSG_PS9_SI_EESM_S12_SN_SO_SP_EUlS12_E0_NS1_11comp_targetILNS1_3genE9ELNS1_11target_archE1100ELNS1_3gpuE3ELNS1_3repE0EEENS1_38merge_mergepath_config_static_selectorELNS0_4arch9wavefront6targetE1EEEvSO_
	.globl	_ZN7rocprim17ROCPRIM_400000_NS6detail17trampoline_kernelINS0_14default_configENS1_38merge_sort_block_merge_config_selectorIjN6thrust23THRUST_200600_302600_NS5tupleIffNS6_9null_typeES8_S8_S8_S8_S8_S8_S8_EEEEZZNS1_27merge_sort_block_merge_implIS3_NS6_6detail15normal_iteratorINS6_10device_ptrIjEEEENSD_INSE_IS9_EEEEjNS1_19radix_merge_compareILb0ELb1EjNS0_19identity_decomposerEEEEE10hipError_tT0_T1_T2_jT3_P12ihipStream_tbPNSt15iterator_traitsISN_E10value_typeEPNST_ISO_E10value_typeEPSP_NS1_7vsmem_tEENKUlT_SN_SO_SP_E_clIPjSG_PS9_SI_EESM_S12_SN_SO_SP_EUlS12_E0_NS1_11comp_targetILNS1_3genE9ELNS1_11target_archE1100ELNS1_3gpuE3ELNS1_3repE0EEENS1_38merge_mergepath_config_static_selectorELNS0_4arch9wavefront6targetE1EEEvSO_
	.p2align	8
	.type	_ZN7rocprim17ROCPRIM_400000_NS6detail17trampoline_kernelINS0_14default_configENS1_38merge_sort_block_merge_config_selectorIjN6thrust23THRUST_200600_302600_NS5tupleIffNS6_9null_typeES8_S8_S8_S8_S8_S8_S8_EEEEZZNS1_27merge_sort_block_merge_implIS3_NS6_6detail15normal_iteratorINS6_10device_ptrIjEEEENSD_INSE_IS9_EEEEjNS1_19radix_merge_compareILb0ELb1EjNS0_19identity_decomposerEEEEE10hipError_tT0_T1_T2_jT3_P12ihipStream_tbPNSt15iterator_traitsISN_E10value_typeEPNST_ISO_E10value_typeEPSP_NS1_7vsmem_tEENKUlT_SN_SO_SP_E_clIPjSG_PS9_SI_EESM_S12_SN_SO_SP_EUlS12_E0_NS1_11comp_targetILNS1_3genE9ELNS1_11target_archE1100ELNS1_3gpuE3ELNS1_3repE0EEENS1_38merge_mergepath_config_static_selectorELNS0_4arch9wavefront6targetE1EEEvSO_,@function
_ZN7rocprim17ROCPRIM_400000_NS6detail17trampoline_kernelINS0_14default_configENS1_38merge_sort_block_merge_config_selectorIjN6thrust23THRUST_200600_302600_NS5tupleIffNS6_9null_typeES8_S8_S8_S8_S8_S8_S8_EEEEZZNS1_27merge_sort_block_merge_implIS3_NS6_6detail15normal_iteratorINS6_10device_ptrIjEEEENSD_INSE_IS9_EEEEjNS1_19radix_merge_compareILb0ELb1EjNS0_19identity_decomposerEEEEE10hipError_tT0_T1_T2_jT3_P12ihipStream_tbPNSt15iterator_traitsISN_E10value_typeEPNST_ISO_E10value_typeEPSP_NS1_7vsmem_tEENKUlT_SN_SO_SP_E_clIPjSG_PS9_SI_EESM_S12_SN_SO_SP_EUlS12_E0_NS1_11comp_targetILNS1_3genE9ELNS1_11target_archE1100ELNS1_3gpuE3ELNS1_3repE0EEENS1_38merge_mergepath_config_static_selectorELNS0_4arch9wavefront6targetE1EEEvSO_: ; @_ZN7rocprim17ROCPRIM_400000_NS6detail17trampoline_kernelINS0_14default_configENS1_38merge_sort_block_merge_config_selectorIjN6thrust23THRUST_200600_302600_NS5tupleIffNS6_9null_typeES8_S8_S8_S8_S8_S8_S8_EEEEZZNS1_27merge_sort_block_merge_implIS3_NS6_6detail15normal_iteratorINS6_10device_ptrIjEEEENSD_INSE_IS9_EEEEjNS1_19radix_merge_compareILb0ELb1EjNS0_19identity_decomposerEEEEE10hipError_tT0_T1_T2_jT3_P12ihipStream_tbPNSt15iterator_traitsISN_E10value_typeEPNST_ISO_E10value_typeEPSP_NS1_7vsmem_tEENKUlT_SN_SO_SP_E_clIPjSG_PS9_SI_EESM_S12_SN_SO_SP_EUlS12_E0_NS1_11comp_targetILNS1_3genE9ELNS1_11target_archE1100ELNS1_3gpuE3ELNS1_3repE0EEENS1_38merge_mergepath_config_static_selectorELNS0_4arch9wavefront6targetE1EEEvSO_
; %bb.0:
	.section	.rodata,"a",@progbits
	.p2align	6, 0x0
	.amdhsa_kernel _ZN7rocprim17ROCPRIM_400000_NS6detail17trampoline_kernelINS0_14default_configENS1_38merge_sort_block_merge_config_selectorIjN6thrust23THRUST_200600_302600_NS5tupleIffNS6_9null_typeES8_S8_S8_S8_S8_S8_S8_EEEEZZNS1_27merge_sort_block_merge_implIS3_NS6_6detail15normal_iteratorINS6_10device_ptrIjEEEENSD_INSE_IS9_EEEEjNS1_19radix_merge_compareILb0ELb1EjNS0_19identity_decomposerEEEEE10hipError_tT0_T1_T2_jT3_P12ihipStream_tbPNSt15iterator_traitsISN_E10value_typeEPNST_ISO_E10value_typeEPSP_NS1_7vsmem_tEENKUlT_SN_SO_SP_E_clIPjSG_PS9_SI_EESM_S12_SN_SO_SP_EUlS12_E0_NS1_11comp_targetILNS1_3genE9ELNS1_11target_archE1100ELNS1_3gpuE3ELNS1_3repE0EEENS1_38merge_mergepath_config_static_selectorELNS0_4arch9wavefront6targetE1EEEvSO_
		.amdhsa_group_segment_fixed_size 0
		.amdhsa_private_segment_fixed_size 0
		.amdhsa_kernarg_size 64
		.amdhsa_user_sgpr_count 6
		.amdhsa_user_sgpr_private_segment_buffer 1
		.amdhsa_user_sgpr_dispatch_ptr 0
		.amdhsa_user_sgpr_queue_ptr 0
		.amdhsa_user_sgpr_kernarg_segment_ptr 1
		.amdhsa_user_sgpr_dispatch_id 0
		.amdhsa_user_sgpr_flat_scratch_init 0
		.amdhsa_user_sgpr_kernarg_preload_length 0
		.amdhsa_user_sgpr_kernarg_preload_offset 0
		.amdhsa_user_sgpr_private_segment_size 0
		.amdhsa_uses_dynamic_stack 0
		.amdhsa_system_sgpr_private_segment_wavefront_offset 0
		.amdhsa_system_sgpr_workgroup_id_x 1
		.amdhsa_system_sgpr_workgroup_id_y 0
		.amdhsa_system_sgpr_workgroup_id_z 0
		.amdhsa_system_sgpr_workgroup_info 0
		.amdhsa_system_vgpr_workitem_id 0
		.amdhsa_next_free_vgpr 1
		.amdhsa_next_free_sgpr 0
		.amdhsa_accum_offset 4
		.amdhsa_reserve_vcc 0
		.amdhsa_reserve_flat_scratch 0
		.amdhsa_float_round_mode_32 0
		.amdhsa_float_round_mode_16_64 0
		.amdhsa_float_denorm_mode_32 3
		.amdhsa_float_denorm_mode_16_64 3
		.amdhsa_dx10_clamp 1
		.amdhsa_ieee_mode 1
		.amdhsa_fp16_overflow 0
		.amdhsa_tg_split 0
		.amdhsa_exception_fp_ieee_invalid_op 0
		.amdhsa_exception_fp_denorm_src 0
		.amdhsa_exception_fp_ieee_div_zero 0
		.amdhsa_exception_fp_ieee_overflow 0
		.amdhsa_exception_fp_ieee_underflow 0
		.amdhsa_exception_fp_ieee_inexact 0
		.amdhsa_exception_int_div_zero 0
	.end_amdhsa_kernel
	.section	.text._ZN7rocprim17ROCPRIM_400000_NS6detail17trampoline_kernelINS0_14default_configENS1_38merge_sort_block_merge_config_selectorIjN6thrust23THRUST_200600_302600_NS5tupleIffNS6_9null_typeES8_S8_S8_S8_S8_S8_S8_EEEEZZNS1_27merge_sort_block_merge_implIS3_NS6_6detail15normal_iteratorINS6_10device_ptrIjEEEENSD_INSE_IS9_EEEEjNS1_19radix_merge_compareILb0ELb1EjNS0_19identity_decomposerEEEEE10hipError_tT0_T1_T2_jT3_P12ihipStream_tbPNSt15iterator_traitsISN_E10value_typeEPNST_ISO_E10value_typeEPSP_NS1_7vsmem_tEENKUlT_SN_SO_SP_E_clIPjSG_PS9_SI_EESM_S12_SN_SO_SP_EUlS12_E0_NS1_11comp_targetILNS1_3genE9ELNS1_11target_archE1100ELNS1_3gpuE3ELNS1_3repE0EEENS1_38merge_mergepath_config_static_selectorELNS0_4arch9wavefront6targetE1EEEvSO_,"axG",@progbits,_ZN7rocprim17ROCPRIM_400000_NS6detail17trampoline_kernelINS0_14default_configENS1_38merge_sort_block_merge_config_selectorIjN6thrust23THRUST_200600_302600_NS5tupleIffNS6_9null_typeES8_S8_S8_S8_S8_S8_S8_EEEEZZNS1_27merge_sort_block_merge_implIS3_NS6_6detail15normal_iteratorINS6_10device_ptrIjEEEENSD_INSE_IS9_EEEEjNS1_19radix_merge_compareILb0ELb1EjNS0_19identity_decomposerEEEEE10hipError_tT0_T1_T2_jT3_P12ihipStream_tbPNSt15iterator_traitsISN_E10value_typeEPNST_ISO_E10value_typeEPSP_NS1_7vsmem_tEENKUlT_SN_SO_SP_E_clIPjSG_PS9_SI_EESM_S12_SN_SO_SP_EUlS12_E0_NS1_11comp_targetILNS1_3genE9ELNS1_11target_archE1100ELNS1_3gpuE3ELNS1_3repE0EEENS1_38merge_mergepath_config_static_selectorELNS0_4arch9wavefront6targetE1EEEvSO_,comdat
.Lfunc_end105:
	.size	_ZN7rocprim17ROCPRIM_400000_NS6detail17trampoline_kernelINS0_14default_configENS1_38merge_sort_block_merge_config_selectorIjN6thrust23THRUST_200600_302600_NS5tupleIffNS6_9null_typeES8_S8_S8_S8_S8_S8_S8_EEEEZZNS1_27merge_sort_block_merge_implIS3_NS6_6detail15normal_iteratorINS6_10device_ptrIjEEEENSD_INSE_IS9_EEEEjNS1_19radix_merge_compareILb0ELb1EjNS0_19identity_decomposerEEEEE10hipError_tT0_T1_T2_jT3_P12ihipStream_tbPNSt15iterator_traitsISN_E10value_typeEPNST_ISO_E10value_typeEPSP_NS1_7vsmem_tEENKUlT_SN_SO_SP_E_clIPjSG_PS9_SI_EESM_S12_SN_SO_SP_EUlS12_E0_NS1_11comp_targetILNS1_3genE9ELNS1_11target_archE1100ELNS1_3gpuE3ELNS1_3repE0EEENS1_38merge_mergepath_config_static_selectorELNS0_4arch9wavefront6targetE1EEEvSO_, .Lfunc_end105-_ZN7rocprim17ROCPRIM_400000_NS6detail17trampoline_kernelINS0_14default_configENS1_38merge_sort_block_merge_config_selectorIjN6thrust23THRUST_200600_302600_NS5tupleIffNS6_9null_typeES8_S8_S8_S8_S8_S8_S8_EEEEZZNS1_27merge_sort_block_merge_implIS3_NS6_6detail15normal_iteratorINS6_10device_ptrIjEEEENSD_INSE_IS9_EEEEjNS1_19radix_merge_compareILb0ELb1EjNS0_19identity_decomposerEEEEE10hipError_tT0_T1_T2_jT3_P12ihipStream_tbPNSt15iterator_traitsISN_E10value_typeEPNST_ISO_E10value_typeEPSP_NS1_7vsmem_tEENKUlT_SN_SO_SP_E_clIPjSG_PS9_SI_EESM_S12_SN_SO_SP_EUlS12_E0_NS1_11comp_targetILNS1_3genE9ELNS1_11target_archE1100ELNS1_3gpuE3ELNS1_3repE0EEENS1_38merge_mergepath_config_static_selectorELNS0_4arch9wavefront6targetE1EEEvSO_
                                        ; -- End function
	.section	.AMDGPU.csdata,"",@progbits
; Kernel info:
; codeLenInByte = 0
; NumSgprs: 4
; NumVgprs: 0
; NumAgprs: 0
; TotalNumVgprs: 0
; ScratchSize: 0
; MemoryBound: 0
; FloatMode: 240
; IeeeMode: 1
; LDSByteSize: 0 bytes/workgroup (compile time only)
; SGPRBlocks: 0
; VGPRBlocks: 0
; NumSGPRsForWavesPerEU: 4
; NumVGPRsForWavesPerEU: 1
; AccumOffset: 4
; Occupancy: 8
; WaveLimiterHint : 0
; COMPUTE_PGM_RSRC2:SCRATCH_EN: 0
; COMPUTE_PGM_RSRC2:USER_SGPR: 6
; COMPUTE_PGM_RSRC2:TRAP_HANDLER: 0
; COMPUTE_PGM_RSRC2:TGID_X_EN: 1
; COMPUTE_PGM_RSRC2:TGID_Y_EN: 0
; COMPUTE_PGM_RSRC2:TGID_Z_EN: 0
; COMPUTE_PGM_RSRC2:TIDIG_COMP_CNT: 0
; COMPUTE_PGM_RSRC3_GFX90A:ACCUM_OFFSET: 0
; COMPUTE_PGM_RSRC3_GFX90A:TG_SPLIT: 0
	.section	.text._ZN7rocprim17ROCPRIM_400000_NS6detail17trampoline_kernelINS0_14default_configENS1_38merge_sort_block_merge_config_selectorIjN6thrust23THRUST_200600_302600_NS5tupleIffNS6_9null_typeES8_S8_S8_S8_S8_S8_S8_EEEEZZNS1_27merge_sort_block_merge_implIS3_NS6_6detail15normal_iteratorINS6_10device_ptrIjEEEENSD_INSE_IS9_EEEEjNS1_19radix_merge_compareILb0ELb1EjNS0_19identity_decomposerEEEEE10hipError_tT0_T1_T2_jT3_P12ihipStream_tbPNSt15iterator_traitsISN_E10value_typeEPNST_ISO_E10value_typeEPSP_NS1_7vsmem_tEENKUlT_SN_SO_SP_E_clIPjSG_PS9_SI_EESM_S12_SN_SO_SP_EUlS12_E0_NS1_11comp_targetILNS1_3genE8ELNS1_11target_archE1030ELNS1_3gpuE2ELNS1_3repE0EEENS1_38merge_mergepath_config_static_selectorELNS0_4arch9wavefront6targetE1EEEvSO_,"axG",@progbits,_ZN7rocprim17ROCPRIM_400000_NS6detail17trampoline_kernelINS0_14default_configENS1_38merge_sort_block_merge_config_selectorIjN6thrust23THRUST_200600_302600_NS5tupleIffNS6_9null_typeES8_S8_S8_S8_S8_S8_S8_EEEEZZNS1_27merge_sort_block_merge_implIS3_NS6_6detail15normal_iteratorINS6_10device_ptrIjEEEENSD_INSE_IS9_EEEEjNS1_19radix_merge_compareILb0ELb1EjNS0_19identity_decomposerEEEEE10hipError_tT0_T1_T2_jT3_P12ihipStream_tbPNSt15iterator_traitsISN_E10value_typeEPNST_ISO_E10value_typeEPSP_NS1_7vsmem_tEENKUlT_SN_SO_SP_E_clIPjSG_PS9_SI_EESM_S12_SN_SO_SP_EUlS12_E0_NS1_11comp_targetILNS1_3genE8ELNS1_11target_archE1030ELNS1_3gpuE2ELNS1_3repE0EEENS1_38merge_mergepath_config_static_selectorELNS0_4arch9wavefront6targetE1EEEvSO_,comdat
	.protected	_ZN7rocprim17ROCPRIM_400000_NS6detail17trampoline_kernelINS0_14default_configENS1_38merge_sort_block_merge_config_selectorIjN6thrust23THRUST_200600_302600_NS5tupleIffNS6_9null_typeES8_S8_S8_S8_S8_S8_S8_EEEEZZNS1_27merge_sort_block_merge_implIS3_NS6_6detail15normal_iteratorINS6_10device_ptrIjEEEENSD_INSE_IS9_EEEEjNS1_19radix_merge_compareILb0ELb1EjNS0_19identity_decomposerEEEEE10hipError_tT0_T1_T2_jT3_P12ihipStream_tbPNSt15iterator_traitsISN_E10value_typeEPNST_ISO_E10value_typeEPSP_NS1_7vsmem_tEENKUlT_SN_SO_SP_E_clIPjSG_PS9_SI_EESM_S12_SN_SO_SP_EUlS12_E0_NS1_11comp_targetILNS1_3genE8ELNS1_11target_archE1030ELNS1_3gpuE2ELNS1_3repE0EEENS1_38merge_mergepath_config_static_selectorELNS0_4arch9wavefront6targetE1EEEvSO_ ; -- Begin function _ZN7rocprim17ROCPRIM_400000_NS6detail17trampoline_kernelINS0_14default_configENS1_38merge_sort_block_merge_config_selectorIjN6thrust23THRUST_200600_302600_NS5tupleIffNS6_9null_typeES8_S8_S8_S8_S8_S8_S8_EEEEZZNS1_27merge_sort_block_merge_implIS3_NS6_6detail15normal_iteratorINS6_10device_ptrIjEEEENSD_INSE_IS9_EEEEjNS1_19radix_merge_compareILb0ELb1EjNS0_19identity_decomposerEEEEE10hipError_tT0_T1_T2_jT3_P12ihipStream_tbPNSt15iterator_traitsISN_E10value_typeEPNST_ISO_E10value_typeEPSP_NS1_7vsmem_tEENKUlT_SN_SO_SP_E_clIPjSG_PS9_SI_EESM_S12_SN_SO_SP_EUlS12_E0_NS1_11comp_targetILNS1_3genE8ELNS1_11target_archE1030ELNS1_3gpuE2ELNS1_3repE0EEENS1_38merge_mergepath_config_static_selectorELNS0_4arch9wavefront6targetE1EEEvSO_
	.globl	_ZN7rocprim17ROCPRIM_400000_NS6detail17trampoline_kernelINS0_14default_configENS1_38merge_sort_block_merge_config_selectorIjN6thrust23THRUST_200600_302600_NS5tupleIffNS6_9null_typeES8_S8_S8_S8_S8_S8_S8_EEEEZZNS1_27merge_sort_block_merge_implIS3_NS6_6detail15normal_iteratorINS6_10device_ptrIjEEEENSD_INSE_IS9_EEEEjNS1_19radix_merge_compareILb0ELb1EjNS0_19identity_decomposerEEEEE10hipError_tT0_T1_T2_jT3_P12ihipStream_tbPNSt15iterator_traitsISN_E10value_typeEPNST_ISO_E10value_typeEPSP_NS1_7vsmem_tEENKUlT_SN_SO_SP_E_clIPjSG_PS9_SI_EESM_S12_SN_SO_SP_EUlS12_E0_NS1_11comp_targetILNS1_3genE8ELNS1_11target_archE1030ELNS1_3gpuE2ELNS1_3repE0EEENS1_38merge_mergepath_config_static_selectorELNS0_4arch9wavefront6targetE1EEEvSO_
	.p2align	8
	.type	_ZN7rocprim17ROCPRIM_400000_NS6detail17trampoline_kernelINS0_14default_configENS1_38merge_sort_block_merge_config_selectorIjN6thrust23THRUST_200600_302600_NS5tupleIffNS6_9null_typeES8_S8_S8_S8_S8_S8_S8_EEEEZZNS1_27merge_sort_block_merge_implIS3_NS6_6detail15normal_iteratorINS6_10device_ptrIjEEEENSD_INSE_IS9_EEEEjNS1_19radix_merge_compareILb0ELb1EjNS0_19identity_decomposerEEEEE10hipError_tT0_T1_T2_jT3_P12ihipStream_tbPNSt15iterator_traitsISN_E10value_typeEPNST_ISO_E10value_typeEPSP_NS1_7vsmem_tEENKUlT_SN_SO_SP_E_clIPjSG_PS9_SI_EESM_S12_SN_SO_SP_EUlS12_E0_NS1_11comp_targetILNS1_3genE8ELNS1_11target_archE1030ELNS1_3gpuE2ELNS1_3repE0EEENS1_38merge_mergepath_config_static_selectorELNS0_4arch9wavefront6targetE1EEEvSO_,@function
_ZN7rocprim17ROCPRIM_400000_NS6detail17trampoline_kernelINS0_14default_configENS1_38merge_sort_block_merge_config_selectorIjN6thrust23THRUST_200600_302600_NS5tupleIffNS6_9null_typeES8_S8_S8_S8_S8_S8_S8_EEEEZZNS1_27merge_sort_block_merge_implIS3_NS6_6detail15normal_iteratorINS6_10device_ptrIjEEEENSD_INSE_IS9_EEEEjNS1_19radix_merge_compareILb0ELb1EjNS0_19identity_decomposerEEEEE10hipError_tT0_T1_T2_jT3_P12ihipStream_tbPNSt15iterator_traitsISN_E10value_typeEPNST_ISO_E10value_typeEPSP_NS1_7vsmem_tEENKUlT_SN_SO_SP_E_clIPjSG_PS9_SI_EESM_S12_SN_SO_SP_EUlS12_E0_NS1_11comp_targetILNS1_3genE8ELNS1_11target_archE1030ELNS1_3gpuE2ELNS1_3repE0EEENS1_38merge_mergepath_config_static_selectorELNS0_4arch9wavefront6targetE1EEEvSO_: ; @_ZN7rocprim17ROCPRIM_400000_NS6detail17trampoline_kernelINS0_14default_configENS1_38merge_sort_block_merge_config_selectorIjN6thrust23THRUST_200600_302600_NS5tupleIffNS6_9null_typeES8_S8_S8_S8_S8_S8_S8_EEEEZZNS1_27merge_sort_block_merge_implIS3_NS6_6detail15normal_iteratorINS6_10device_ptrIjEEEENSD_INSE_IS9_EEEEjNS1_19radix_merge_compareILb0ELb1EjNS0_19identity_decomposerEEEEE10hipError_tT0_T1_T2_jT3_P12ihipStream_tbPNSt15iterator_traitsISN_E10value_typeEPNST_ISO_E10value_typeEPSP_NS1_7vsmem_tEENKUlT_SN_SO_SP_E_clIPjSG_PS9_SI_EESM_S12_SN_SO_SP_EUlS12_E0_NS1_11comp_targetILNS1_3genE8ELNS1_11target_archE1030ELNS1_3gpuE2ELNS1_3repE0EEENS1_38merge_mergepath_config_static_selectorELNS0_4arch9wavefront6targetE1EEEvSO_
; %bb.0:
	.section	.rodata,"a",@progbits
	.p2align	6, 0x0
	.amdhsa_kernel _ZN7rocprim17ROCPRIM_400000_NS6detail17trampoline_kernelINS0_14default_configENS1_38merge_sort_block_merge_config_selectorIjN6thrust23THRUST_200600_302600_NS5tupleIffNS6_9null_typeES8_S8_S8_S8_S8_S8_S8_EEEEZZNS1_27merge_sort_block_merge_implIS3_NS6_6detail15normal_iteratorINS6_10device_ptrIjEEEENSD_INSE_IS9_EEEEjNS1_19radix_merge_compareILb0ELb1EjNS0_19identity_decomposerEEEEE10hipError_tT0_T1_T2_jT3_P12ihipStream_tbPNSt15iterator_traitsISN_E10value_typeEPNST_ISO_E10value_typeEPSP_NS1_7vsmem_tEENKUlT_SN_SO_SP_E_clIPjSG_PS9_SI_EESM_S12_SN_SO_SP_EUlS12_E0_NS1_11comp_targetILNS1_3genE8ELNS1_11target_archE1030ELNS1_3gpuE2ELNS1_3repE0EEENS1_38merge_mergepath_config_static_selectorELNS0_4arch9wavefront6targetE1EEEvSO_
		.amdhsa_group_segment_fixed_size 0
		.amdhsa_private_segment_fixed_size 0
		.amdhsa_kernarg_size 64
		.amdhsa_user_sgpr_count 6
		.amdhsa_user_sgpr_private_segment_buffer 1
		.amdhsa_user_sgpr_dispatch_ptr 0
		.amdhsa_user_sgpr_queue_ptr 0
		.amdhsa_user_sgpr_kernarg_segment_ptr 1
		.amdhsa_user_sgpr_dispatch_id 0
		.amdhsa_user_sgpr_flat_scratch_init 0
		.amdhsa_user_sgpr_kernarg_preload_length 0
		.amdhsa_user_sgpr_kernarg_preload_offset 0
		.amdhsa_user_sgpr_private_segment_size 0
		.amdhsa_uses_dynamic_stack 0
		.amdhsa_system_sgpr_private_segment_wavefront_offset 0
		.amdhsa_system_sgpr_workgroup_id_x 1
		.amdhsa_system_sgpr_workgroup_id_y 0
		.amdhsa_system_sgpr_workgroup_id_z 0
		.amdhsa_system_sgpr_workgroup_info 0
		.amdhsa_system_vgpr_workitem_id 0
		.amdhsa_next_free_vgpr 1
		.amdhsa_next_free_sgpr 0
		.amdhsa_accum_offset 4
		.amdhsa_reserve_vcc 0
		.amdhsa_reserve_flat_scratch 0
		.amdhsa_float_round_mode_32 0
		.amdhsa_float_round_mode_16_64 0
		.amdhsa_float_denorm_mode_32 3
		.amdhsa_float_denorm_mode_16_64 3
		.amdhsa_dx10_clamp 1
		.amdhsa_ieee_mode 1
		.amdhsa_fp16_overflow 0
		.amdhsa_tg_split 0
		.amdhsa_exception_fp_ieee_invalid_op 0
		.amdhsa_exception_fp_denorm_src 0
		.amdhsa_exception_fp_ieee_div_zero 0
		.amdhsa_exception_fp_ieee_overflow 0
		.amdhsa_exception_fp_ieee_underflow 0
		.amdhsa_exception_fp_ieee_inexact 0
		.amdhsa_exception_int_div_zero 0
	.end_amdhsa_kernel
	.section	.text._ZN7rocprim17ROCPRIM_400000_NS6detail17trampoline_kernelINS0_14default_configENS1_38merge_sort_block_merge_config_selectorIjN6thrust23THRUST_200600_302600_NS5tupleIffNS6_9null_typeES8_S8_S8_S8_S8_S8_S8_EEEEZZNS1_27merge_sort_block_merge_implIS3_NS6_6detail15normal_iteratorINS6_10device_ptrIjEEEENSD_INSE_IS9_EEEEjNS1_19radix_merge_compareILb0ELb1EjNS0_19identity_decomposerEEEEE10hipError_tT0_T1_T2_jT3_P12ihipStream_tbPNSt15iterator_traitsISN_E10value_typeEPNST_ISO_E10value_typeEPSP_NS1_7vsmem_tEENKUlT_SN_SO_SP_E_clIPjSG_PS9_SI_EESM_S12_SN_SO_SP_EUlS12_E0_NS1_11comp_targetILNS1_3genE8ELNS1_11target_archE1030ELNS1_3gpuE2ELNS1_3repE0EEENS1_38merge_mergepath_config_static_selectorELNS0_4arch9wavefront6targetE1EEEvSO_,"axG",@progbits,_ZN7rocprim17ROCPRIM_400000_NS6detail17trampoline_kernelINS0_14default_configENS1_38merge_sort_block_merge_config_selectorIjN6thrust23THRUST_200600_302600_NS5tupleIffNS6_9null_typeES8_S8_S8_S8_S8_S8_S8_EEEEZZNS1_27merge_sort_block_merge_implIS3_NS6_6detail15normal_iteratorINS6_10device_ptrIjEEEENSD_INSE_IS9_EEEEjNS1_19radix_merge_compareILb0ELb1EjNS0_19identity_decomposerEEEEE10hipError_tT0_T1_T2_jT3_P12ihipStream_tbPNSt15iterator_traitsISN_E10value_typeEPNST_ISO_E10value_typeEPSP_NS1_7vsmem_tEENKUlT_SN_SO_SP_E_clIPjSG_PS9_SI_EESM_S12_SN_SO_SP_EUlS12_E0_NS1_11comp_targetILNS1_3genE8ELNS1_11target_archE1030ELNS1_3gpuE2ELNS1_3repE0EEENS1_38merge_mergepath_config_static_selectorELNS0_4arch9wavefront6targetE1EEEvSO_,comdat
.Lfunc_end106:
	.size	_ZN7rocprim17ROCPRIM_400000_NS6detail17trampoline_kernelINS0_14default_configENS1_38merge_sort_block_merge_config_selectorIjN6thrust23THRUST_200600_302600_NS5tupleIffNS6_9null_typeES8_S8_S8_S8_S8_S8_S8_EEEEZZNS1_27merge_sort_block_merge_implIS3_NS6_6detail15normal_iteratorINS6_10device_ptrIjEEEENSD_INSE_IS9_EEEEjNS1_19radix_merge_compareILb0ELb1EjNS0_19identity_decomposerEEEEE10hipError_tT0_T1_T2_jT3_P12ihipStream_tbPNSt15iterator_traitsISN_E10value_typeEPNST_ISO_E10value_typeEPSP_NS1_7vsmem_tEENKUlT_SN_SO_SP_E_clIPjSG_PS9_SI_EESM_S12_SN_SO_SP_EUlS12_E0_NS1_11comp_targetILNS1_3genE8ELNS1_11target_archE1030ELNS1_3gpuE2ELNS1_3repE0EEENS1_38merge_mergepath_config_static_selectorELNS0_4arch9wavefront6targetE1EEEvSO_, .Lfunc_end106-_ZN7rocprim17ROCPRIM_400000_NS6detail17trampoline_kernelINS0_14default_configENS1_38merge_sort_block_merge_config_selectorIjN6thrust23THRUST_200600_302600_NS5tupleIffNS6_9null_typeES8_S8_S8_S8_S8_S8_S8_EEEEZZNS1_27merge_sort_block_merge_implIS3_NS6_6detail15normal_iteratorINS6_10device_ptrIjEEEENSD_INSE_IS9_EEEEjNS1_19radix_merge_compareILb0ELb1EjNS0_19identity_decomposerEEEEE10hipError_tT0_T1_T2_jT3_P12ihipStream_tbPNSt15iterator_traitsISN_E10value_typeEPNST_ISO_E10value_typeEPSP_NS1_7vsmem_tEENKUlT_SN_SO_SP_E_clIPjSG_PS9_SI_EESM_S12_SN_SO_SP_EUlS12_E0_NS1_11comp_targetILNS1_3genE8ELNS1_11target_archE1030ELNS1_3gpuE2ELNS1_3repE0EEENS1_38merge_mergepath_config_static_selectorELNS0_4arch9wavefront6targetE1EEEvSO_
                                        ; -- End function
	.section	.AMDGPU.csdata,"",@progbits
; Kernel info:
; codeLenInByte = 0
; NumSgprs: 4
; NumVgprs: 0
; NumAgprs: 0
; TotalNumVgprs: 0
; ScratchSize: 0
; MemoryBound: 0
; FloatMode: 240
; IeeeMode: 1
; LDSByteSize: 0 bytes/workgroup (compile time only)
; SGPRBlocks: 0
; VGPRBlocks: 0
; NumSGPRsForWavesPerEU: 4
; NumVGPRsForWavesPerEU: 1
; AccumOffset: 4
; Occupancy: 8
; WaveLimiterHint : 0
; COMPUTE_PGM_RSRC2:SCRATCH_EN: 0
; COMPUTE_PGM_RSRC2:USER_SGPR: 6
; COMPUTE_PGM_RSRC2:TRAP_HANDLER: 0
; COMPUTE_PGM_RSRC2:TGID_X_EN: 1
; COMPUTE_PGM_RSRC2:TGID_Y_EN: 0
; COMPUTE_PGM_RSRC2:TGID_Z_EN: 0
; COMPUTE_PGM_RSRC2:TIDIG_COMP_CNT: 0
; COMPUTE_PGM_RSRC3_GFX90A:ACCUM_OFFSET: 0
; COMPUTE_PGM_RSRC3_GFX90A:TG_SPLIT: 0
	.section	.text._ZN7rocprim17ROCPRIM_400000_NS6detail17trampoline_kernelINS0_14default_configENS1_38merge_sort_block_merge_config_selectorIjN6thrust23THRUST_200600_302600_NS5tupleIffNS6_9null_typeES8_S8_S8_S8_S8_S8_S8_EEEEZZNS1_27merge_sort_block_merge_implIS3_NS6_6detail15normal_iteratorINS6_10device_ptrIjEEEENSD_INSE_IS9_EEEEjNS1_19radix_merge_compareILb0ELb1EjNS0_19identity_decomposerEEEEE10hipError_tT0_T1_T2_jT3_P12ihipStream_tbPNSt15iterator_traitsISN_E10value_typeEPNST_ISO_E10value_typeEPSP_NS1_7vsmem_tEENKUlT_SN_SO_SP_E_clIPjSG_PS9_SI_EESM_S12_SN_SO_SP_EUlS12_E1_NS1_11comp_targetILNS1_3genE0ELNS1_11target_archE4294967295ELNS1_3gpuE0ELNS1_3repE0EEENS1_36merge_oddeven_config_static_selectorELNS0_4arch9wavefront6targetE1EEEvSO_,"axG",@progbits,_ZN7rocprim17ROCPRIM_400000_NS6detail17trampoline_kernelINS0_14default_configENS1_38merge_sort_block_merge_config_selectorIjN6thrust23THRUST_200600_302600_NS5tupleIffNS6_9null_typeES8_S8_S8_S8_S8_S8_S8_EEEEZZNS1_27merge_sort_block_merge_implIS3_NS6_6detail15normal_iteratorINS6_10device_ptrIjEEEENSD_INSE_IS9_EEEEjNS1_19radix_merge_compareILb0ELb1EjNS0_19identity_decomposerEEEEE10hipError_tT0_T1_T2_jT3_P12ihipStream_tbPNSt15iterator_traitsISN_E10value_typeEPNST_ISO_E10value_typeEPSP_NS1_7vsmem_tEENKUlT_SN_SO_SP_E_clIPjSG_PS9_SI_EESM_S12_SN_SO_SP_EUlS12_E1_NS1_11comp_targetILNS1_3genE0ELNS1_11target_archE4294967295ELNS1_3gpuE0ELNS1_3repE0EEENS1_36merge_oddeven_config_static_selectorELNS0_4arch9wavefront6targetE1EEEvSO_,comdat
	.protected	_ZN7rocprim17ROCPRIM_400000_NS6detail17trampoline_kernelINS0_14default_configENS1_38merge_sort_block_merge_config_selectorIjN6thrust23THRUST_200600_302600_NS5tupleIffNS6_9null_typeES8_S8_S8_S8_S8_S8_S8_EEEEZZNS1_27merge_sort_block_merge_implIS3_NS6_6detail15normal_iteratorINS6_10device_ptrIjEEEENSD_INSE_IS9_EEEEjNS1_19radix_merge_compareILb0ELb1EjNS0_19identity_decomposerEEEEE10hipError_tT0_T1_T2_jT3_P12ihipStream_tbPNSt15iterator_traitsISN_E10value_typeEPNST_ISO_E10value_typeEPSP_NS1_7vsmem_tEENKUlT_SN_SO_SP_E_clIPjSG_PS9_SI_EESM_S12_SN_SO_SP_EUlS12_E1_NS1_11comp_targetILNS1_3genE0ELNS1_11target_archE4294967295ELNS1_3gpuE0ELNS1_3repE0EEENS1_36merge_oddeven_config_static_selectorELNS0_4arch9wavefront6targetE1EEEvSO_ ; -- Begin function _ZN7rocprim17ROCPRIM_400000_NS6detail17trampoline_kernelINS0_14default_configENS1_38merge_sort_block_merge_config_selectorIjN6thrust23THRUST_200600_302600_NS5tupleIffNS6_9null_typeES8_S8_S8_S8_S8_S8_S8_EEEEZZNS1_27merge_sort_block_merge_implIS3_NS6_6detail15normal_iteratorINS6_10device_ptrIjEEEENSD_INSE_IS9_EEEEjNS1_19radix_merge_compareILb0ELb1EjNS0_19identity_decomposerEEEEE10hipError_tT0_T1_T2_jT3_P12ihipStream_tbPNSt15iterator_traitsISN_E10value_typeEPNST_ISO_E10value_typeEPSP_NS1_7vsmem_tEENKUlT_SN_SO_SP_E_clIPjSG_PS9_SI_EESM_S12_SN_SO_SP_EUlS12_E1_NS1_11comp_targetILNS1_3genE0ELNS1_11target_archE4294967295ELNS1_3gpuE0ELNS1_3repE0EEENS1_36merge_oddeven_config_static_selectorELNS0_4arch9wavefront6targetE1EEEvSO_
	.globl	_ZN7rocprim17ROCPRIM_400000_NS6detail17trampoline_kernelINS0_14default_configENS1_38merge_sort_block_merge_config_selectorIjN6thrust23THRUST_200600_302600_NS5tupleIffNS6_9null_typeES8_S8_S8_S8_S8_S8_S8_EEEEZZNS1_27merge_sort_block_merge_implIS3_NS6_6detail15normal_iteratorINS6_10device_ptrIjEEEENSD_INSE_IS9_EEEEjNS1_19radix_merge_compareILb0ELb1EjNS0_19identity_decomposerEEEEE10hipError_tT0_T1_T2_jT3_P12ihipStream_tbPNSt15iterator_traitsISN_E10value_typeEPNST_ISO_E10value_typeEPSP_NS1_7vsmem_tEENKUlT_SN_SO_SP_E_clIPjSG_PS9_SI_EESM_S12_SN_SO_SP_EUlS12_E1_NS1_11comp_targetILNS1_3genE0ELNS1_11target_archE4294967295ELNS1_3gpuE0ELNS1_3repE0EEENS1_36merge_oddeven_config_static_selectorELNS0_4arch9wavefront6targetE1EEEvSO_
	.p2align	8
	.type	_ZN7rocprim17ROCPRIM_400000_NS6detail17trampoline_kernelINS0_14default_configENS1_38merge_sort_block_merge_config_selectorIjN6thrust23THRUST_200600_302600_NS5tupleIffNS6_9null_typeES8_S8_S8_S8_S8_S8_S8_EEEEZZNS1_27merge_sort_block_merge_implIS3_NS6_6detail15normal_iteratorINS6_10device_ptrIjEEEENSD_INSE_IS9_EEEEjNS1_19radix_merge_compareILb0ELb1EjNS0_19identity_decomposerEEEEE10hipError_tT0_T1_T2_jT3_P12ihipStream_tbPNSt15iterator_traitsISN_E10value_typeEPNST_ISO_E10value_typeEPSP_NS1_7vsmem_tEENKUlT_SN_SO_SP_E_clIPjSG_PS9_SI_EESM_S12_SN_SO_SP_EUlS12_E1_NS1_11comp_targetILNS1_3genE0ELNS1_11target_archE4294967295ELNS1_3gpuE0ELNS1_3repE0EEENS1_36merge_oddeven_config_static_selectorELNS0_4arch9wavefront6targetE1EEEvSO_,@function
_ZN7rocprim17ROCPRIM_400000_NS6detail17trampoline_kernelINS0_14default_configENS1_38merge_sort_block_merge_config_selectorIjN6thrust23THRUST_200600_302600_NS5tupleIffNS6_9null_typeES8_S8_S8_S8_S8_S8_S8_EEEEZZNS1_27merge_sort_block_merge_implIS3_NS6_6detail15normal_iteratorINS6_10device_ptrIjEEEENSD_INSE_IS9_EEEEjNS1_19radix_merge_compareILb0ELb1EjNS0_19identity_decomposerEEEEE10hipError_tT0_T1_T2_jT3_P12ihipStream_tbPNSt15iterator_traitsISN_E10value_typeEPNST_ISO_E10value_typeEPSP_NS1_7vsmem_tEENKUlT_SN_SO_SP_E_clIPjSG_PS9_SI_EESM_S12_SN_SO_SP_EUlS12_E1_NS1_11comp_targetILNS1_3genE0ELNS1_11target_archE4294967295ELNS1_3gpuE0ELNS1_3repE0EEENS1_36merge_oddeven_config_static_selectorELNS0_4arch9wavefront6targetE1EEEvSO_: ; @_ZN7rocprim17ROCPRIM_400000_NS6detail17trampoline_kernelINS0_14default_configENS1_38merge_sort_block_merge_config_selectorIjN6thrust23THRUST_200600_302600_NS5tupleIffNS6_9null_typeES8_S8_S8_S8_S8_S8_S8_EEEEZZNS1_27merge_sort_block_merge_implIS3_NS6_6detail15normal_iteratorINS6_10device_ptrIjEEEENSD_INSE_IS9_EEEEjNS1_19radix_merge_compareILb0ELb1EjNS0_19identity_decomposerEEEEE10hipError_tT0_T1_T2_jT3_P12ihipStream_tbPNSt15iterator_traitsISN_E10value_typeEPNST_ISO_E10value_typeEPSP_NS1_7vsmem_tEENKUlT_SN_SO_SP_E_clIPjSG_PS9_SI_EESM_S12_SN_SO_SP_EUlS12_E1_NS1_11comp_targetILNS1_3genE0ELNS1_11target_archE4294967295ELNS1_3gpuE0ELNS1_3repE0EEENS1_36merge_oddeven_config_static_selectorELNS0_4arch9wavefront6targetE1EEEvSO_
; %bb.0:
	.section	.rodata,"a",@progbits
	.p2align	6, 0x0
	.amdhsa_kernel _ZN7rocprim17ROCPRIM_400000_NS6detail17trampoline_kernelINS0_14default_configENS1_38merge_sort_block_merge_config_selectorIjN6thrust23THRUST_200600_302600_NS5tupleIffNS6_9null_typeES8_S8_S8_S8_S8_S8_S8_EEEEZZNS1_27merge_sort_block_merge_implIS3_NS6_6detail15normal_iteratorINS6_10device_ptrIjEEEENSD_INSE_IS9_EEEEjNS1_19radix_merge_compareILb0ELb1EjNS0_19identity_decomposerEEEEE10hipError_tT0_T1_T2_jT3_P12ihipStream_tbPNSt15iterator_traitsISN_E10value_typeEPNST_ISO_E10value_typeEPSP_NS1_7vsmem_tEENKUlT_SN_SO_SP_E_clIPjSG_PS9_SI_EESM_S12_SN_SO_SP_EUlS12_E1_NS1_11comp_targetILNS1_3genE0ELNS1_11target_archE4294967295ELNS1_3gpuE0ELNS1_3repE0EEENS1_36merge_oddeven_config_static_selectorELNS0_4arch9wavefront6targetE1EEEvSO_
		.amdhsa_group_segment_fixed_size 0
		.amdhsa_private_segment_fixed_size 0
		.amdhsa_kernarg_size 48
		.amdhsa_user_sgpr_count 6
		.amdhsa_user_sgpr_private_segment_buffer 1
		.amdhsa_user_sgpr_dispatch_ptr 0
		.amdhsa_user_sgpr_queue_ptr 0
		.amdhsa_user_sgpr_kernarg_segment_ptr 1
		.amdhsa_user_sgpr_dispatch_id 0
		.amdhsa_user_sgpr_flat_scratch_init 0
		.amdhsa_user_sgpr_kernarg_preload_length 0
		.amdhsa_user_sgpr_kernarg_preload_offset 0
		.amdhsa_user_sgpr_private_segment_size 0
		.amdhsa_uses_dynamic_stack 0
		.amdhsa_system_sgpr_private_segment_wavefront_offset 0
		.amdhsa_system_sgpr_workgroup_id_x 1
		.amdhsa_system_sgpr_workgroup_id_y 0
		.amdhsa_system_sgpr_workgroup_id_z 0
		.amdhsa_system_sgpr_workgroup_info 0
		.amdhsa_system_vgpr_workitem_id 0
		.amdhsa_next_free_vgpr 1
		.amdhsa_next_free_sgpr 0
		.amdhsa_accum_offset 4
		.amdhsa_reserve_vcc 0
		.amdhsa_reserve_flat_scratch 0
		.amdhsa_float_round_mode_32 0
		.amdhsa_float_round_mode_16_64 0
		.amdhsa_float_denorm_mode_32 3
		.amdhsa_float_denorm_mode_16_64 3
		.amdhsa_dx10_clamp 1
		.amdhsa_ieee_mode 1
		.amdhsa_fp16_overflow 0
		.amdhsa_tg_split 0
		.amdhsa_exception_fp_ieee_invalid_op 0
		.amdhsa_exception_fp_denorm_src 0
		.amdhsa_exception_fp_ieee_div_zero 0
		.amdhsa_exception_fp_ieee_overflow 0
		.amdhsa_exception_fp_ieee_underflow 0
		.amdhsa_exception_fp_ieee_inexact 0
		.amdhsa_exception_int_div_zero 0
	.end_amdhsa_kernel
	.section	.text._ZN7rocprim17ROCPRIM_400000_NS6detail17trampoline_kernelINS0_14default_configENS1_38merge_sort_block_merge_config_selectorIjN6thrust23THRUST_200600_302600_NS5tupleIffNS6_9null_typeES8_S8_S8_S8_S8_S8_S8_EEEEZZNS1_27merge_sort_block_merge_implIS3_NS6_6detail15normal_iteratorINS6_10device_ptrIjEEEENSD_INSE_IS9_EEEEjNS1_19radix_merge_compareILb0ELb1EjNS0_19identity_decomposerEEEEE10hipError_tT0_T1_T2_jT3_P12ihipStream_tbPNSt15iterator_traitsISN_E10value_typeEPNST_ISO_E10value_typeEPSP_NS1_7vsmem_tEENKUlT_SN_SO_SP_E_clIPjSG_PS9_SI_EESM_S12_SN_SO_SP_EUlS12_E1_NS1_11comp_targetILNS1_3genE0ELNS1_11target_archE4294967295ELNS1_3gpuE0ELNS1_3repE0EEENS1_36merge_oddeven_config_static_selectorELNS0_4arch9wavefront6targetE1EEEvSO_,"axG",@progbits,_ZN7rocprim17ROCPRIM_400000_NS6detail17trampoline_kernelINS0_14default_configENS1_38merge_sort_block_merge_config_selectorIjN6thrust23THRUST_200600_302600_NS5tupleIffNS6_9null_typeES8_S8_S8_S8_S8_S8_S8_EEEEZZNS1_27merge_sort_block_merge_implIS3_NS6_6detail15normal_iteratorINS6_10device_ptrIjEEEENSD_INSE_IS9_EEEEjNS1_19radix_merge_compareILb0ELb1EjNS0_19identity_decomposerEEEEE10hipError_tT0_T1_T2_jT3_P12ihipStream_tbPNSt15iterator_traitsISN_E10value_typeEPNST_ISO_E10value_typeEPSP_NS1_7vsmem_tEENKUlT_SN_SO_SP_E_clIPjSG_PS9_SI_EESM_S12_SN_SO_SP_EUlS12_E1_NS1_11comp_targetILNS1_3genE0ELNS1_11target_archE4294967295ELNS1_3gpuE0ELNS1_3repE0EEENS1_36merge_oddeven_config_static_selectorELNS0_4arch9wavefront6targetE1EEEvSO_,comdat
.Lfunc_end107:
	.size	_ZN7rocprim17ROCPRIM_400000_NS6detail17trampoline_kernelINS0_14default_configENS1_38merge_sort_block_merge_config_selectorIjN6thrust23THRUST_200600_302600_NS5tupleIffNS6_9null_typeES8_S8_S8_S8_S8_S8_S8_EEEEZZNS1_27merge_sort_block_merge_implIS3_NS6_6detail15normal_iteratorINS6_10device_ptrIjEEEENSD_INSE_IS9_EEEEjNS1_19radix_merge_compareILb0ELb1EjNS0_19identity_decomposerEEEEE10hipError_tT0_T1_T2_jT3_P12ihipStream_tbPNSt15iterator_traitsISN_E10value_typeEPNST_ISO_E10value_typeEPSP_NS1_7vsmem_tEENKUlT_SN_SO_SP_E_clIPjSG_PS9_SI_EESM_S12_SN_SO_SP_EUlS12_E1_NS1_11comp_targetILNS1_3genE0ELNS1_11target_archE4294967295ELNS1_3gpuE0ELNS1_3repE0EEENS1_36merge_oddeven_config_static_selectorELNS0_4arch9wavefront6targetE1EEEvSO_, .Lfunc_end107-_ZN7rocprim17ROCPRIM_400000_NS6detail17trampoline_kernelINS0_14default_configENS1_38merge_sort_block_merge_config_selectorIjN6thrust23THRUST_200600_302600_NS5tupleIffNS6_9null_typeES8_S8_S8_S8_S8_S8_S8_EEEEZZNS1_27merge_sort_block_merge_implIS3_NS6_6detail15normal_iteratorINS6_10device_ptrIjEEEENSD_INSE_IS9_EEEEjNS1_19radix_merge_compareILb0ELb1EjNS0_19identity_decomposerEEEEE10hipError_tT0_T1_T2_jT3_P12ihipStream_tbPNSt15iterator_traitsISN_E10value_typeEPNST_ISO_E10value_typeEPSP_NS1_7vsmem_tEENKUlT_SN_SO_SP_E_clIPjSG_PS9_SI_EESM_S12_SN_SO_SP_EUlS12_E1_NS1_11comp_targetILNS1_3genE0ELNS1_11target_archE4294967295ELNS1_3gpuE0ELNS1_3repE0EEENS1_36merge_oddeven_config_static_selectorELNS0_4arch9wavefront6targetE1EEEvSO_
                                        ; -- End function
	.section	.AMDGPU.csdata,"",@progbits
; Kernel info:
; codeLenInByte = 0
; NumSgprs: 4
; NumVgprs: 0
; NumAgprs: 0
; TotalNumVgprs: 0
; ScratchSize: 0
; MemoryBound: 0
; FloatMode: 240
; IeeeMode: 1
; LDSByteSize: 0 bytes/workgroup (compile time only)
; SGPRBlocks: 0
; VGPRBlocks: 0
; NumSGPRsForWavesPerEU: 4
; NumVGPRsForWavesPerEU: 1
; AccumOffset: 4
; Occupancy: 8
; WaveLimiterHint : 0
; COMPUTE_PGM_RSRC2:SCRATCH_EN: 0
; COMPUTE_PGM_RSRC2:USER_SGPR: 6
; COMPUTE_PGM_RSRC2:TRAP_HANDLER: 0
; COMPUTE_PGM_RSRC2:TGID_X_EN: 1
; COMPUTE_PGM_RSRC2:TGID_Y_EN: 0
; COMPUTE_PGM_RSRC2:TGID_Z_EN: 0
; COMPUTE_PGM_RSRC2:TIDIG_COMP_CNT: 0
; COMPUTE_PGM_RSRC3_GFX90A:ACCUM_OFFSET: 0
; COMPUTE_PGM_RSRC3_GFX90A:TG_SPLIT: 0
	.section	.text._ZN7rocprim17ROCPRIM_400000_NS6detail17trampoline_kernelINS0_14default_configENS1_38merge_sort_block_merge_config_selectorIjN6thrust23THRUST_200600_302600_NS5tupleIffNS6_9null_typeES8_S8_S8_S8_S8_S8_S8_EEEEZZNS1_27merge_sort_block_merge_implIS3_NS6_6detail15normal_iteratorINS6_10device_ptrIjEEEENSD_INSE_IS9_EEEEjNS1_19radix_merge_compareILb0ELb1EjNS0_19identity_decomposerEEEEE10hipError_tT0_T1_T2_jT3_P12ihipStream_tbPNSt15iterator_traitsISN_E10value_typeEPNST_ISO_E10value_typeEPSP_NS1_7vsmem_tEENKUlT_SN_SO_SP_E_clIPjSG_PS9_SI_EESM_S12_SN_SO_SP_EUlS12_E1_NS1_11comp_targetILNS1_3genE10ELNS1_11target_archE1201ELNS1_3gpuE5ELNS1_3repE0EEENS1_36merge_oddeven_config_static_selectorELNS0_4arch9wavefront6targetE1EEEvSO_,"axG",@progbits,_ZN7rocprim17ROCPRIM_400000_NS6detail17trampoline_kernelINS0_14default_configENS1_38merge_sort_block_merge_config_selectorIjN6thrust23THRUST_200600_302600_NS5tupleIffNS6_9null_typeES8_S8_S8_S8_S8_S8_S8_EEEEZZNS1_27merge_sort_block_merge_implIS3_NS6_6detail15normal_iteratorINS6_10device_ptrIjEEEENSD_INSE_IS9_EEEEjNS1_19radix_merge_compareILb0ELb1EjNS0_19identity_decomposerEEEEE10hipError_tT0_T1_T2_jT3_P12ihipStream_tbPNSt15iterator_traitsISN_E10value_typeEPNST_ISO_E10value_typeEPSP_NS1_7vsmem_tEENKUlT_SN_SO_SP_E_clIPjSG_PS9_SI_EESM_S12_SN_SO_SP_EUlS12_E1_NS1_11comp_targetILNS1_3genE10ELNS1_11target_archE1201ELNS1_3gpuE5ELNS1_3repE0EEENS1_36merge_oddeven_config_static_selectorELNS0_4arch9wavefront6targetE1EEEvSO_,comdat
	.protected	_ZN7rocprim17ROCPRIM_400000_NS6detail17trampoline_kernelINS0_14default_configENS1_38merge_sort_block_merge_config_selectorIjN6thrust23THRUST_200600_302600_NS5tupleIffNS6_9null_typeES8_S8_S8_S8_S8_S8_S8_EEEEZZNS1_27merge_sort_block_merge_implIS3_NS6_6detail15normal_iteratorINS6_10device_ptrIjEEEENSD_INSE_IS9_EEEEjNS1_19radix_merge_compareILb0ELb1EjNS0_19identity_decomposerEEEEE10hipError_tT0_T1_T2_jT3_P12ihipStream_tbPNSt15iterator_traitsISN_E10value_typeEPNST_ISO_E10value_typeEPSP_NS1_7vsmem_tEENKUlT_SN_SO_SP_E_clIPjSG_PS9_SI_EESM_S12_SN_SO_SP_EUlS12_E1_NS1_11comp_targetILNS1_3genE10ELNS1_11target_archE1201ELNS1_3gpuE5ELNS1_3repE0EEENS1_36merge_oddeven_config_static_selectorELNS0_4arch9wavefront6targetE1EEEvSO_ ; -- Begin function _ZN7rocprim17ROCPRIM_400000_NS6detail17trampoline_kernelINS0_14default_configENS1_38merge_sort_block_merge_config_selectorIjN6thrust23THRUST_200600_302600_NS5tupleIffNS6_9null_typeES8_S8_S8_S8_S8_S8_S8_EEEEZZNS1_27merge_sort_block_merge_implIS3_NS6_6detail15normal_iteratorINS6_10device_ptrIjEEEENSD_INSE_IS9_EEEEjNS1_19radix_merge_compareILb0ELb1EjNS0_19identity_decomposerEEEEE10hipError_tT0_T1_T2_jT3_P12ihipStream_tbPNSt15iterator_traitsISN_E10value_typeEPNST_ISO_E10value_typeEPSP_NS1_7vsmem_tEENKUlT_SN_SO_SP_E_clIPjSG_PS9_SI_EESM_S12_SN_SO_SP_EUlS12_E1_NS1_11comp_targetILNS1_3genE10ELNS1_11target_archE1201ELNS1_3gpuE5ELNS1_3repE0EEENS1_36merge_oddeven_config_static_selectorELNS0_4arch9wavefront6targetE1EEEvSO_
	.globl	_ZN7rocprim17ROCPRIM_400000_NS6detail17trampoline_kernelINS0_14default_configENS1_38merge_sort_block_merge_config_selectorIjN6thrust23THRUST_200600_302600_NS5tupleIffNS6_9null_typeES8_S8_S8_S8_S8_S8_S8_EEEEZZNS1_27merge_sort_block_merge_implIS3_NS6_6detail15normal_iteratorINS6_10device_ptrIjEEEENSD_INSE_IS9_EEEEjNS1_19radix_merge_compareILb0ELb1EjNS0_19identity_decomposerEEEEE10hipError_tT0_T1_T2_jT3_P12ihipStream_tbPNSt15iterator_traitsISN_E10value_typeEPNST_ISO_E10value_typeEPSP_NS1_7vsmem_tEENKUlT_SN_SO_SP_E_clIPjSG_PS9_SI_EESM_S12_SN_SO_SP_EUlS12_E1_NS1_11comp_targetILNS1_3genE10ELNS1_11target_archE1201ELNS1_3gpuE5ELNS1_3repE0EEENS1_36merge_oddeven_config_static_selectorELNS0_4arch9wavefront6targetE1EEEvSO_
	.p2align	8
	.type	_ZN7rocprim17ROCPRIM_400000_NS6detail17trampoline_kernelINS0_14default_configENS1_38merge_sort_block_merge_config_selectorIjN6thrust23THRUST_200600_302600_NS5tupleIffNS6_9null_typeES8_S8_S8_S8_S8_S8_S8_EEEEZZNS1_27merge_sort_block_merge_implIS3_NS6_6detail15normal_iteratorINS6_10device_ptrIjEEEENSD_INSE_IS9_EEEEjNS1_19radix_merge_compareILb0ELb1EjNS0_19identity_decomposerEEEEE10hipError_tT0_T1_T2_jT3_P12ihipStream_tbPNSt15iterator_traitsISN_E10value_typeEPNST_ISO_E10value_typeEPSP_NS1_7vsmem_tEENKUlT_SN_SO_SP_E_clIPjSG_PS9_SI_EESM_S12_SN_SO_SP_EUlS12_E1_NS1_11comp_targetILNS1_3genE10ELNS1_11target_archE1201ELNS1_3gpuE5ELNS1_3repE0EEENS1_36merge_oddeven_config_static_selectorELNS0_4arch9wavefront6targetE1EEEvSO_,@function
_ZN7rocprim17ROCPRIM_400000_NS6detail17trampoline_kernelINS0_14default_configENS1_38merge_sort_block_merge_config_selectorIjN6thrust23THRUST_200600_302600_NS5tupleIffNS6_9null_typeES8_S8_S8_S8_S8_S8_S8_EEEEZZNS1_27merge_sort_block_merge_implIS3_NS6_6detail15normal_iteratorINS6_10device_ptrIjEEEENSD_INSE_IS9_EEEEjNS1_19radix_merge_compareILb0ELb1EjNS0_19identity_decomposerEEEEE10hipError_tT0_T1_T2_jT3_P12ihipStream_tbPNSt15iterator_traitsISN_E10value_typeEPNST_ISO_E10value_typeEPSP_NS1_7vsmem_tEENKUlT_SN_SO_SP_E_clIPjSG_PS9_SI_EESM_S12_SN_SO_SP_EUlS12_E1_NS1_11comp_targetILNS1_3genE10ELNS1_11target_archE1201ELNS1_3gpuE5ELNS1_3repE0EEENS1_36merge_oddeven_config_static_selectorELNS0_4arch9wavefront6targetE1EEEvSO_: ; @_ZN7rocprim17ROCPRIM_400000_NS6detail17trampoline_kernelINS0_14default_configENS1_38merge_sort_block_merge_config_selectorIjN6thrust23THRUST_200600_302600_NS5tupleIffNS6_9null_typeES8_S8_S8_S8_S8_S8_S8_EEEEZZNS1_27merge_sort_block_merge_implIS3_NS6_6detail15normal_iteratorINS6_10device_ptrIjEEEENSD_INSE_IS9_EEEEjNS1_19radix_merge_compareILb0ELb1EjNS0_19identity_decomposerEEEEE10hipError_tT0_T1_T2_jT3_P12ihipStream_tbPNSt15iterator_traitsISN_E10value_typeEPNST_ISO_E10value_typeEPSP_NS1_7vsmem_tEENKUlT_SN_SO_SP_E_clIPjSG_PS9_SI_EESM_S12_SN_SO_SP_EUlS12_E1_NS1_11comp_targetILNS1_3genE10ELNS1_11target_archE1201ELNS1_3gpuE5ELNS1_3repE0EEENS1_36merge_oddeven_config_static_selectorELNS0_4arch9wavefront6targetE1EEEvSO_
; %bb.0:
	.section	.rodata,"a",@progbits
	.p2align	6, 0x0
	.amdhsa_kernel _ZN7rocprim17ROCPRIM_400000_NS6detail17trampoline_kernelINS0_14default_configENS1_38merge_sort_block_merge_config_selectorIjN6thrust23THRUST_200600_302600_NS5tupleIffNS6_9null_typeES8_S8_S8_S8_S8_S8_S8_EEEEZZNS1_27merge_sort_block_merge_implIS3_NS6_6detail15normal_iteratorINS6_10device_ptrIjEEEENSD_INSE_IS9_EEEEjNS1_19radix_merge_compareILb0ELb1EjNS0_19identity_decomposerEEEEE10hipError_tT0_T1_T2_jT3_P12ihipStream_tbPNSt15iterator_traitsISN_E10value_typeEPNST_ISO_E10value_typeEPSP_NS1_7vsmem_tEENKUlT_SN_SO_SP_E_clIPjSG_PS9_SI_EESM_S12_SN_SO_SP_EUlS12_E1_NS1_11comp_targetILNS1_3genE10ELNS1_11target_archE1201ELNS1_3gpuE5ELNS1_3repE0EEENS1_36merge_oddeven_config_static_selectorELNS0_4arch9wavefront6targetE1EEEvSO_
		.amdhsa_group_segment_fixed_size 0
		.amdhsa_private_segment_fixed_size 0
		.amdhsa_kernarg_size 48
		.amdhsa_user_sgpr_count 6
		.amdhsa_user_sgpr_private_segment_buffer 1
		.amdhsa_user_sgpr_dispatch_ptr 0
		.amdhsa_user_sgpr_queue_ptr 0
		.amdhsa_user_sgpr_kernarg_segment_ptr 1
		.amdhsa_user_sgpr_dispatch_id 0
		.amdhsa_user_sgpr_flat_scratch_init 0
		.amdhsa_user_sgpr_kernarg_preload_length 0
		.amdhsa_user_sgpr_kernarg_preload_offset 0
		.amdhsa_user_sgpr_private_segment_size 0
		.amdhsa_uses_dynamic_stack 0
		.amdhsa_system_sgpr_private_segment_wavefront_offset 0
		.amdhsa_system_sgpr_workgroup_id_x 1
		.amdhsa_system_sgpr_workgroup_id_y 0
		.amdhsa_system_sgpr_workgroup_id_z 0
		.amdhsa_system_sgpr_workgroup_info 0
		.amdhsa_system_vgpr_workitem_id 0
		.amdhsa_next_free_vgpr 1
		.amdhsa_next_free_sgpr 0
		.amdhsa_accum_offset 4
		.amdhsa_reserve_vcc 0
		.amdhsa_reserve_flat_scratch 0
		.amdhsa_float_round_mode_32 0
		.amdhsa_float_round_mode_16_64 0
		.amdhsa_float_denorm_mode_32 3
		.amdhsa_float_denorm_mode_16_64 3
		.amdhsa_dx10_clamp 1
		.amdhsa_ieee_mode 1
		.amdhsa_fp16_overflow 0
		.amdhsa_tg_split 0
		.amdhsa_exception_fp_ieee_invalid_op 0
		.amdhsa_exception_fp_denorm_src 0
		.amdhsa_exception_fp_ieee_div_zero 0
		.amdhsa_exception_fp_ieee_overflow 0
		.amdhsa_exception_fp_ieee_underflow 0
		.amdhsa_exception_fp_ieee_inexact 0
		.amdhsa_exception_int_div_zero 0
	.end_amdhsa_kernel
	.section	.text._ZN7rocprim17ROCPRIM_400000_NS6detail17trampoline_kernelINS0_14default_configENS1_38merge_sort_block_merge_config_selectorIjN6thrust23THRUST_200600_302600_NS5tupleIffNS6_9null_typeES8_S8_S8_S8_S8_S8_S8_EEEEZZNS1_27merge_sort_block_merge_implIS3_NS6_6detail15normal_iteratorINS6_10device_ptrIjEEEENSD_INSE_IS9_EEEEjNS1_19radix_merge_compareILb0ELb1EjNS0_19identity_decomposerEEEEE10hipError_tT0_T1_T2_jT3_P12ihipStream_tbPNSt15iterator_traitsISN_E10value_typeEPNST_ISO_E10value_typeEPSP_NS1_7vsmem_tEENKUlT_SN_SO_SP_E_clIPjSG_PS9_SI_EESM_S12_SN_SO_SP_EUlS12_E1_NS1_11comp_targetILNS1_3genE10ELNS1_11target_archE1201ELNS1_3gpuE5ELNS1_3repE0EEENS1_36merge_oddeven_config_static_selectorELNS0_4arch9wavefront6targetE1EEEvSO_,"axG",@progbits,_ZN7rocprim17ROCPRIM_400000_NS6detail17trampoline_kernelINS0_14default_configENS1_38merge_sort_block_merge_config_selectorIjN6thrust23THRUST_200600_302600_NS5tupleIffNS6_9null_typeES8_S8_S8_S8_S8_S8_S8_EEEEZZNS1_27merge_sort_block_merge_implIS3_NS6_6detail15normal_iteratorINS6_10device_ptrIjEEEENSD_INSE_IS9_EEEEjNS1_19radix_merge_compareILb0ELb1EjNS0_19identity_decomposerEEEEE10hipError_tT0_T1_T2_jT3_P12ihipStream_tbPNSt15iterator_traitsISN_E10value_typeEPNST_ISO_E10value_typeEPSP_NS1_7vsmem_tEENKUlT_SN_SO_SP_E_clIPjSG_PS9_SI_EESM_S12_SN_SO_SP_EUlS12_E1_NS1_11comp_targetILNS1_3genE10ELNS1_11target_archE1201ELNS1_3gpuE5ELNS1_3repE0EEENS1_36merge_oddeven_config_static_selectorELNS0_4arch9wavefront6targetE1EEEvSO_,comdat
.Lfunc_end108:
	.size	_ZN7rocprim17ROCPRIM_400000_NS6detail17trampoline_kernelINS0_14default_configENS1_38merge_sort_block_merge_config_selectorIjN6thrust23THRUST_200600_302600_NS5tupleIffNS6_9null_typeES8_S8_S8_S8_S8_S8_S8_EEEEZZNS1_27merge_sort_block_merge_implIS3_NS6_6detail15normal_iteratorINS6_10device_ptrIjEEEENSD_INSE_IS9_EEEEjNS1_19radix_merge_compareILb0ELb1EjNS0_19identity_decomposerEEEEE10hipError_tT0_T1_T2_jT3_P12ihipStream_tbPNSt15iterator_traitsISN_E10value_typeEPNST_ISO_E10value_typeEPSP_NS1_7vsmem_tEENKUlT_SN_SO_SP_E_clIPjSG_PS9_SI_EESM_S12_SN_SO_SP_EUlS12_E1_NS1_11comp_targetILNS1_3genE10ELNS1_11target_archE1201ELNS1_3gpuE5ELNS1_3repE0EEENS1_36merge_oddeven_config_static_selectorELNS0_4arch9wavefront6targetE1EEEvSO_, .Lfunc_end108-_ZN7rocprim17ROCPRIM_400000_NS6detail17trampoline_kernelINS0_14default_configENS1_38merge_sort_block_merge_config_selectorIjN6thrust23THRUST_200600_302600_NS5tupleIffNS6_9null_typeES8_S8_S8_S8_S8_S8_S8_EEEEZZNS1_27merge_sort_block_merge_implIS3_NS6_6detail15normal_iteratorINS6_10device_ptrIjEEEENSD_INSE_IS9_EEEEjNS1_19radix_merge_compareILb0ELb1EjNS0_19identity_decomposerEEEEE10hipError_tT0_T1_T2_jT3_P12ihipStream_tbPNSt15iterator_traitsISN_E10value_typeEPNST_ISO_E10value_typeEPSP_NS1_7vsmem_tEENKUlT_SN_SO_SP_E_clIPjSG_PS9_SI_EESM_S12_SN_SO_SP_EUlS12_E1_NS1_11comp_targetILNS1_3genE10ELNS1_11target_archE1201ELNS1_3gpuE5ELNS1_3repE0EEENS1_36merge_oddeven_config_static_selectorELNS0_4arch9wavefront6targetE1EEEvSO_
                                        ; -- End function
	.section	.AMDGPU.csdata,"",@progbits
; Kernel info:
; codeLenInByte = 0
; NumSgprs: 4
; NumVgprs: 0
; NumAgprs: 0
; TotalNumVgprs: 0
; ScratchSize: 0
; MemoryBound: 0
; FloatMode: 240
; IeeeMode: 1
; LDSByteSize: 0 bytes/workgroup (compile time only)
; SGPRBlocks: 0
; VGPRBlocks: 0
; NumSGPRsForWavesPerEU: 4
; NumVGPRsForWavesPerEU: 1
; AccumOffset: 4
; Occupancy: 8
; WaveLimiterHint : 0
; COMPUTE_PGM_RSRC2:SCRATCH_EN: 0
; COMPUTE_PGM_RSRC2:USER_SGPR: 6
; COMPUTE_PGM_RSRC2:TRAP_HANDLER: 0
; COMPUTE_PGM_RSRC2:TGID_X_EN: 1
; COMPUTE_PGM_RSRC2:TGID_Y_EN: 0
; COMPUTE_PGM_RSRC2:TGID_Z_EN: 0
; COMPUTE_PGM_RSRC2:TIDIG_COMP_CNT: 0
; COMPUTE_PGM_RSRC3_GFX90A:ACCUM_OFFSET: 0
; COMPUTE_PGM_RSRC3_GFX90A:TG_SPLIT: 0
	.section	.text._ZN7rocprim17ROCPRIM_400000_NS6detail17trampoline_kernelINS0_14default_configENS1_38merge_sort_block_merge_config_selectorIjN6thrust23THRUST_200600_302600_NS5tupleIffNS6_9null_typeES8_S8_S8_S8_S8_S8_S8_EEEEZZNS1_27merge_sort_block_merge_implIS3_NS6_6detail15normal_iteratorINS6_10device_ptrIjEEEENSD_INSE_IS9_EEEEjNS1_19radix_merge_compareILb0ELb1EjNS0_19identity_decomposerEEEEE10hipError_tT0_T1_T2_jT3_P12ihipStream_tbPNSt15iterator_traitsISN_E10value_typeEPNST_ISO_E10value_typeEPSP_NS1_7vsmem_tEENKUlT_SN_SO_SP_E_clIPjSG_PS9_SI_EESM_S12_SN_SO_SP_EUlS12_E1_NS1_11comp_targetILNS1_3genE5ELNS1_11target_archE942ELNS1_3gpuE9ELNS1_3repE0EEENS1_36merge_oddeven_config_static_selectorELNS0_4arch9wavefront6targetE1EEEvSO_,"axG",@progbits,_ZN7rocprim17ROCPRIM_400000_NS6detail17trampoline_kernelINS0_14default_configENS1_38merge_sort_block_merge_config_selectorIjN6thrust23THRUST_200600_302600_NS5tupleIffNS6_9null_typeES8_S8_S8_S8_S8_S8_S8_EEEEZZNS1_27merge_sort_block_merge_implIS3_NS6_6detail15normal_iteratorINS6_10device_ptrIjEEEENSD_INSE_IS9_EEEEjNS1_19radix_merge_compareILb0ELb1EjNS0_19identity_decomposerEEEEE10hipError_tT0_T1_T2_jT3_P12ihipStream_tbPNSt15iterator_traitsISN_E10value_typeEPNST_ISO_E10value_typeEPSP_NS1_7vsmem_tEENKUlT_SN_SO_SP_E_clIPjSG_PS9_SI_EESM_S12_SN_SO_SP_EUlS12_E1_NS1_11comp_targetILNS1_3genE5ELNS1_11target_archE942ELNS1_3gpuE9ELNS1_3repE0EEENS1_36merge_oddeven_config_static_selectorELNS0_4arch9wavefront6targetE1EEEvSO_,comdat
	.protected	_ZN7rocprim17ROCPRIM_400000_NS6detail17trampoline_kernelINS0_14default_configENS1_38merge_sort_block_merge_config_selectorIjN6thrust23THRUST_200600_302600_NS5tupleIffNS6_9null_typeES8_S8_S8_S8_S8_S8_S8_EEEEZZNS1_27merge_sort_block_merge_implIS3_NS6_6detail15normal_iteratorINS6_10device_ptrIjEEEENSD_INSE_IS9_EEEEjNS1_19radix_merge_compareILb0ELb1EjNS0_19identity_decomposerEEEEE10hipError_tT0_T1_T2_jT3_P12ihipStream_tbPNSt15iterator_traitsISN_E10value_typeEPNST_ISO_E10value_typeEPSP_NS1_7vsmem_tEENKUlT_SN_SO_SP_E_clIPjSG_PS9_SI_EESM_S12_SN_SO_SP_EUlS12_E1_NS1_11comp_targetILNS1_3genE5ELNS1_11target_archE942ELNS1_3gpuE9ELNS1_3repE0EEENS1_36merge_oddeven_config_static_selectorELNS0_4arch9wavefront6targetE1EEEvSO_ ; -- Begin function _ZN7rocprim17ROCPRIM_400000_NS6detail17trampoline_kernelINS0_14default_configENS1_38merge_sort_block_merge_config_selectorIjN6thrust23THRUST_200600_302600_NS5tupleIffNS6_9null_typeES8_S8_S8_S8_S8_S8_S8_EEEEZZNS1_27merge_sort_block_merge_implIS3_NS6_6detail15normal_iteratorINS6_10device_ptrIjEEEENSD_INSE_IS9_EEEEjNS1_19radix_merge_compareILb0ELb1EjNS0_19identity_decomposerEEEEE10hipError_tT0_T1_T2_jT3_P12ihipStream_tbPNSt15iterator_traitsISN_E10value_typeEPNST_ISO_E10value_typeEPSP_NS1_7vsmem_tEENKUlT_SN_SO_SP_E_clIPjSG_PS9_SI_EESM_S12_SN_SO_SP_EUlS12_E1_NS1_11comp_targetILNS1_3genE5ELNS1_11target_archE942ELNS1_3gpuE9ELNS1_3repE0EEENS1_36merge_oddeven_config_static_selectorELNS0_4arch9wavefront6targetE1EEEvSO_
	.globl	_ZN7rocprim17ROCPRIM_400000_NS6detail17trampoline_kernelINS0_14default_configENS1_38merge_sort_block_merge_config_selectorIjN6thrust23THRUST_200600_302600_NS5tupleIffNS6_9null_typeES8_S8_S8_S8_S8_S8_S8_EEEEZZNS1_27merge_sort_block_merge_implIS3_NS6_6detail15normal_iteratorINS6_10device_ptrIjEEEENSD_INSE_IS9_EEEEjNS1_19radix_merge_compareILb0ELb1EjNS0_19identity_decomposerEEEEE10hipError_tT0_T1_T2_jT3_P12ihipStream_tbPNSt15iterator_traitsISN_E10value_typeEPNST_ISO_E10value_typeEPSP_NS1_7vsmem_tEENKUlT_SN_SO_SP_E_clIPjSG_PS9_SI_EESM_S12_SN_SO_SP_EUlS12_E1_NS1_11comp_targetILNS1_3genE5ELNS1_11target_archE942ELNS1_3gpuE9ELNS1_3repE0EEENS1_36merge_oddeven_config_static_selectorELNS0_4arch9wavefront6targetE1EEEvSO_
	.p2align	8
	.type	_ZN7rocprim17ROCPRIM_400000_NS6detail17trampoline_kernelINS0_14default_configENS1_38merge_sort_block_merge_config_selectorIjN6thrust23THRUST_200600_302600_NS5tupleIffNS6_9null_typeES8_S8_S8_S8_S8_S8_S8_EEEEZZNS1_27merge_sort_block_merge_implIS3_NS6_6detail15normal_iteratorINS6_10device_ptrIjEEEENSD_INSE_IS9_EEEEjNS1_19radix_merge_compareILb0ELb1EjNS0_19identity_decomposerEEEEE10hipError_tT0_T1_T2_jT3_P12ihipStream_tbPNSt15iterator_traitsISN_E10value_typeEPNST_ISO_E10value_typeEPSP_NS1_7vsmem_tEENKUlT_SN_SO_SP_E_clIPjSG_PS9_SI_EESM_S12_SN_SO_SP_EUlS12_E1_NS1_11comp_targetILNS1_3genE5ELNS1_11target_archE942ELNS1_3gpuE9ELNS1_3repE0EEENS1_36merge_oddeven_config_static_selectorELNS0_4arch9wavefront6targetE1EEEvSO_,@function
_ZN7rocprim17ROCPRIM_400000_NS6detail17trampoline_kernelINS0_14default_configENS1_38merge_sort_block_merge_config_selectorIjN6thrust23THRUST_200600_302600_NS5tupleIffNS6_9null_typeES8_S8_S8_S8_S8_S8_S8_EEEEZZNS1_27merge_sort_block_merge_implIS3_NS6_6detail15normal_iteratorINS6_10device_ptrIjEEEENSD_INSE_IS9_EEEEjNS1_19radix_merge_compareILb0ELb1EjNS0_19identity_decomposerEEEEE10hipError_tT0_T1_T2_jT3_P12ihipStream_tbPNSt15iterator_traitsISN_E10value_typeEPNST_ISO_E10value_typeEPSP_NS1_7vsmem_tEENKUlT_SN_SO_SP_E_clIPjSG_PS9_SI_EESM_S12_SN_SO_SP_EUlS12_E1_NS1_11comp_targetILNS1_3genE5ELNS1_11target_archE942ELNS1_3gpuE9ELNS1_3repE0EEENS1_36merge_oddeven_config_static_selectorELNS0_4arch9wavefront6targetE1EEEvSO_: ; @_ZN7rocprim17ROCPRIM_400000_NS6detail17trampoline_kernelINS0_14default_configENS1_38merge_sort_block_merge_config_selectorIjN6thrust23THRUST_200600_302600_NS5tupleIffNS6_9null_typeES8_S8_S8_S8_S8_S8_S8_EEEEZZNS1_27merge_sort_block_merge_implIS3_NS6_6detail15normal_iteratorINS6_10device_ptrIjEEEENSD_INSE_IS9_EEEEjNS1_19radix_merge_compareILb0ELb1EjNS0_19identity_decomposerEEEEE10hipError_tT0_T1_T2_jT3_P12ihipStream_tbPNSt15iterator_traitsISN_E10value_typeEPNST_ISO_E10value_typeEPSP_NS1_7vsmem_tEENKUlT_SN_SO_SP_E_clIPjSG_PS9_SI_EESM_S12_SN_SO_SP_EUlS12_E1_NS1_11comp_targetILNS1_3genE5ELNS1_11target_archE942ELNS1_3gpuE9ELNS1_3repE0EEENS1_36merge_oddeven_config_static_selectorELNS0_4arch9wavefront6targetE1EEEvSO_
; %bb.0:
	.section	.rodata,"a",@progbits
	.p2align	6, 0x0
	.amdhsa_kernel _ZN7rocprim17ROCPRIM_400000_NS6detail17trampoline_kernelINS0_14default_configENS1_38merge_sort_block_merge_config_selectorIjN6thrust23THRUST_200600_302600_NS5tupleIffNS6_9null_typeES8_S8_S8_S8_S8_S8_S8_EEEEZZNS1_27merge_sort_block_merge_implIS3_NS6_6detail15normal_iteratorINS6_10device_ptrIjEEEENSD_INSE_IS9_EEEEjNS1_19radix_merge_compareILb0ELb1EjNS0_19identity_decomposerEEEEE10hipError_tT0_T1_T2_jT3_P12ihipStream_tbPNSt15iterator_traitsISN_E10value_typeEPNST_ISO_E10value_typeEPSP_NS1_7vsmem_tEENKUlT_SN_SO_SP_E_clIPjSG_PS9_SI_EESM_S12_SN_SO_SP_EUlS12_E1_NS1_11comp_targetILNS1_3genE5ELNS1_11target_archE942ELNS1_3gpuE9ELNS1_3repE0EEENS1_36merge_oddeven_config_static_selectorELNS0_4arch9wavefront6targetE1EEEvSO_
		.amdhsa_group_segment_fixed_size 0
		.amdhsa_private_segment_fixed_size 0
		.amdhsa_kernarg_size 48
		.amdhsa_user_sgpr_count 6
		.amdhsa_user_sgpr_private_segment_buffer 1
		.amdhsa_user_sgpr_dispatch_ptr 0
		.amdhsa_user_sgpr_queue_ptr 0
		.amdhsa_user_sgpr_kernarg_segment_ptr 1
		.amdhsa_user_sgpr_dispatch_id 0
		.amdhsa_user_sgpr_flat_scratch_init 0
		.amdhsa_user_sgpr_kernarg_preload_length 0
		.amdhsa_user_sgpr_kernarg_preload_offset 0
		.amdhsa_user_sgpr_private_segment_size 0
		.amdhsa_uses_dynamic_stack 0
		.amdhsa_system_sgpr_private_segment_wavefront_offset 0
		.amdhsa_system_sgpr_workgroup_id_x 1
		.amdhsa_system_sgpr_workgroup_id_y 0
		.amdhsa_system_sgpr_workgroup_id_z 0
		.amdhsa_system_sgpr_workgroup_info 0
		.amdhsa_system_vgpr_workitem_id 0
		.amdhsa_next_free_vgpr 1
		.amdhsa_next_free_sgpr 0
		.amdhsa_accum_offset 4
		.amdhsa_reserve_vcc 0
		.amdhsa_reserve_flat_scratch 0
		.amdhsa_float_round_mode_32 0
		.amdhsa_float_round_mode_16_64 0
		.amdhsa_float_denorm_mode_32 3
		.amdhsa_float_denorm_mode_16_64 3
		.amdhsa_dx10_clamp 1
		.amdhsa_ieee_mode 1
		.amdhsa_fp16_overflow 0
		.amdhsa_tg_split 0
		.amdhsa_exception_fp_ieee_invalid_op 0
		.amdhsa_exception_fp_denorm_src 0
		.amdhsa_exception_fp_ieee_div_zero 0
		.amdhsa_exception_fp_ieee_overflow 0
		.amdhsa_exception_fp_ieee_underflow 0
		.amdhsa_exception_fp_ieee_inexact 0
		.amdhsa_exception_int_div_zero 0
	.end_amdhsa_kernel
	.section	.text._ZN7rocprim17ROCPRIM_400000_NS6detail17trampoline_kernelINS0_14default_configENS1_38merge_sort_block_merge_config_selectorIjN6thrust23THRUST_200600_302600_NS5tupleIffNS6_9null_typeES8_S8_S8_S8_S8_S8_S8_EEEEZZNS1_27merge_sort_block_merge_implIS3_NS6_6detail15normal_iteratorINS6_10device_ptrIjEEEENSD_INSE_IS9_EEEEjNS1_19radix_merge_compareILb0ELb1EjNS0_19identity_decomposerEEEEE10hipError_tT0_T1_T2_jT3_P12ihipStream_tbPNSt15iterator_traitsISN_E10value_typeEPNST_ISO_E10value_typeEPSP_NS1_7vsmem_tEENKUlT_SN_SO_SP_E_clIPjSG_PS9_SI_EESM_S12_SN_SO_SP_EUlS12_E1_NS1_11comp_targetILNS1_3genE5ELNS1_11target_archE942ELNS1_3gpuE9ELNS1_3repE0EEENS1_36merge_oddeven_config_static_selectorELNS0_4arch9wavefront6targetE1EEEvSO_,"axG",@progbits,_ZN7rocprim17ROCPRIM_400000_NS6detail17trampoline_kernelINS0_14default_configENS1_38merge_sort_block_merge_config_selectorIjN6thrust23THRUST_200600_302600_NS5tupleIffNS6_9null_typeES8_S8_S8_S8_S8_S8_S8_EEEEZZNS1_27merge_sort_block_merge_implIS3_NS6_6detail15normal_iteratorINS6_10device_ptrIjEEEENSD_INSE_IS9_EEEEjNS1_19radix_merge_compareILb0ELb1EjNS0_19identity_decomposerEEEEE10hipError_tT0_T1_T2_jT3_P12ihipStream_tbPNSt15iterator_traitsISN_E10value_typeEPNST_ISO_E10value_typeEPSP_NS1_7vsmem_tEENKUlT_SN_SO_SP_E_clIPjSG_PS9_SI_EESM_S12_SN_SO_SP_EUlS12_E1_NS1_11comp_targetILNS1_3genE5ELNS1_11target_archE942ELNS1_3gpuE9ELNS1_3repE0EEENS1_36merge_oddeven_config_static_selectorELNS0_4arch9wavefront6targetE1EEEvSO_,comdat
.Lfunc_end109:
	.size	_ZN7rocprim17ROCPRIM_400000_NS6detail17trampoline_kernelINS0_14default_configENS1_38merge_sort_block_merge_config_selectorIjN6thrust23THRUST_200600_302600_NS5tupleIffNS6_9null_typeES8_S8_S8_S8_S8_S8_S8_EEEEZZNS1_27merge_sort_block_merge_implIS3_NS6_6detail15normal_iteratorINS6_10device_ptrIjEEEENSD_INSE_IS9_EEEEjNS1_19radix_merge_compareILb0ELb1EjNS0_19identity_decomposerEEEEE10hipError_tT0_T1_T2_jT3_P12ihipStream_tbPNSt15iterator_traitsISN_E10value_typeEPNST_ISO_E10value_typeEPSP_NS1_7vsmem_tEENKUlT_SN_SO_SP_E_clIPjSG_PS9_SI_EESM_S12_SN_SO_SP_EUlS12_E1_NS1_11comp_targetILNS1_3genE5ELNS1_11target_archE942ELNS1_3gpuE9ELNS1_3repE0EEENS1_36merge_oddeven_config_static_selectorELNS0_4arch9wavefront6targetE1EEEvSO_, .Lfunc_end109-_ZN7rocprim17ROCPRIM_400000_NS6detail17trampoline_kernelINS0_14default_configENS1_38merge_sort_block_merge_config_selectorIjN6thrust23THRUST_200600_302600_NS5tupleIffNS6_9null_typeES8_S8_S8_S8_S8_S8_S8_EEEEZZNS1_27merge_sort_block_merge_implIS3_NS6_6detail15normal_iteratorINS6_10device_ptrIjEEEENSD_INSE_IS9_EEEEjNS1_19radix_merge_compareILb0ELb1EjNS0_19identity_decomposerEEEEE10hipError_tT0_T1_T2_jT3_P12ihipStream_tbPNSt15iterator_traitsISN_E10value_typeEPNST_ISO_E10value_typeEPSP_NS1_7vsmem_tEENKUlT_SN_SO_SP_E_clIPjSG_PS9_SI_EESM_S12_SN_SO_SP_EUlS12_E1_NS1_11comp_targetILNS1_3genE5ELNS1_11target_archE942ELNS1_3gpuE9ELNS1_3repE0EEENS1_36merge_oddeven_config_static_selectorELNS0_4arch9wavefront6targetE1EEEvSO_
                                        ; -- End function
	.section	.AMDGPU.csdata,"",@progbits
; Kernel info:
; codeLenInByte = 0
; NumSgprs: 4
; NumVgprs: 0
; NumAgprs: 0
; TotalNumVgprs: 0
; ScratchSize: 0
; MemoryBound: 0
; FloatMode: 240
; IeeeMode: 1
; LDSByteSize: 0 bytes/workgroup (compile time only)
; SGPRBlocks: 0
; VGPRBlocks: 0
; NumSGPRsForWavesPerEU: 4
; NumVGPRsForWavesPerEU: 1
; AccumOffset: 4
; Occupancy: 8
; WaveLimiterHint : 0
; COMPUTE_PGM_RSRC2:SCRATCH_EN: 0
; COMPUTE_PGM_RSRC2:USER_SGPR: 6
; COMPUTE_PGM_RSRC2:TRAP_HANDLER: 0
; COMPUTE_PGM_RSRC2:TGID_X_EN: 1
; COMPUTE_PGM_RSRC2:TGID_Y_EN: 0
; COMPUTE_PGM_RSRC2:TGID_Z_EN: 0
; COMPUTE_PGM_RSRC2:TIDIG_COMP_CNT: 0
; COMPUTE_PGM_RSRC3_GFX90A:ACCUM_OFFSET: 0
; COMPUTE_PGM_RSRC3_GFX90A:TG_SPLIT: 0
	.section	.text._ZN7rocprim17ROCPRIM_400000_NS6detail17trampoline_kernelINS0_14default_configENS1_38merge_sort_block_merge_config_selectorIjN6thrust23THRUST_200600_302600_NS5tupleIffNS6_9null_typeES8_S8_S8_S8_S8_S8_S8_EEEEZZNS1_27merge_sort_block_merge_implIS3_NS6_6detail15normal_iteratorINS6_10device_ptrIjEEEENSD_INSE_IS9_EEEEjNS1_19radix_merge_compareILb0ELb1EjNS0_19identity_decomposerEEEEE10hipError_tT0_T1_T2_jT3_P12ihipStream_tbPNSt15iterator_traitsISN_E10value_typeEPNST_ISO_E10value_typeEPSP_NS1_7vsmem_tEENKUlT_SN_SO_SP_E_clIPjSG_PS9_SI_EESM_S12_SN_SO_SP_EUlS12_E1_NS1_11comp_targetILNS1_3genE4ELNS1_11target_archE910ELNS1_3gpuE8ELNS1_3repE0EEENS1_36merge_oddeven_config_static_selectorELNS0_4arch9wavefront6targetE1EEEvSO_,"axG",@progbits,_ZN7rocprim17ROCPRIM_400000_NS6detail17trampoline_kernelINS0_14default_configENS1_38merge_sort_block_merge_config_selectorIjN6thrust23THRUST_200600_302600_NS5tupleIffNS6_9null_typeES8_S8_S8_S8_S8_S8_S8_EEEEZZNS1_27merge_sort_block_merge_implIS3_NS6_6detail15normal_iteratorINS6_10device_ptrIjEEEENSD_INSE_IS9_EEEEjNS1_19radix_merge_compareILb0ELb1EjNS0_19identity_decomposerEEEEE10hipError_tT0_T1_T2_jT3_P12ihipStream_tbPNSt15iterator_traitsISN_E10value_typeEPNST_ISO_E10value_typeEPSP_NS1_7vsmem_tEENKUlT_SN_SO_SP_E_clIPjSG_PS9_SI_EESM_S12_SN_SO_SP_EUlS12_E1_NS1_11comp_targetILNS1_3genE4ELNS1_11target_archE910ELNS1_3gpuE8ELNS1_3repE0EEENS1_36merge_oddeven_config_static_selectorELNS0_4arch9wavefront6targetE1EEEvSO_,comdat
	.protected	_ZN7rocprim17ROCPRIM_400000_NS6detail17trampoline_kernelINS0_14default_configENS1_38merge_sort_block_merge_config_selectorIjN6thrust23THRUST_200600_302600_NS5tupleIffNS6_9null_typeES8_S8_S8_S8_S8_S8_S8_EEEEZZNS1_27merge_sort_block_merge_implIS3_NS6_6detail15normal_iteratorINS6_10device_ptrIjEEEENSD_INSE_IS9_EEEEjNS1_19radix_merge_compareILb0ELb1EjNS0_19identity_decomposerEEEEE10hipError_tT0_T1_T2_jT3_P12ihipStream_tbPNSt15iterator_traitsISN_E10value_typeEPNST_ISO_E10value_typeEPSP_NS1_7vsmem_tEENKUlT_SN_SO_SP_E_clIPjSG_PS9_SI_EESM_S12_SN_SO_SP_EUlS12_E1_NS1_11comp_targetILNS1_3genE4ELNS1_11target_archE910ELNS1_3gpuE8ELNS1_3repE0EEENS1_36merge_oddeven_config_static_selectorELNS0_4arch9wavefront6targetE1EEEvSO_ ; -- Begin function _ZN7rocprim17ROCPRIM_400000_NS6detail17trampoline_kernelINS0_14default_configENS1_38merge_sort_block_merge_config_selectorIjN6thrust23THRUST_200600_302600_NS5tupleIffNS6_9null_typeES8_S8_S8_S8_S8_S8_S8_EEEEZZNS1_27merge_sort_block_merge_implIS3_NS6_6detail15normal_iteratorINS6_10device_ptrIjEEEENSD_INSE_IS9_EEEEjNS1_19radix_merge_compareILb0ELb1EjNS0_19identity_decomposerEEEEE10hipError_tT0_T1_T2_jT3_P12ihipStream_tbPNSt15iterator_traitsISN_E10value_typeEPNST_ISO_E10value_typeEPSP_NS1_7vsmem_tEENKUlT_SN_SO_SP_E_clIPjSG_PS9_SI_EESM_S12_SN_SO_SP_EUlS12_E1_NS1_11comp_targetILNS1_3genE4ELNS1_11target_archE910ELNS1_3gpuE8ELNS1_3repE0EEENS1_36merge_oddeven_config_static_selectorELNS0_4arch9wavefront6targetE1EEEvSO_
	.globl	_ZN7rocprim17ROCPRIM_400000_NS6detail17trampoline_kernelINS0_14default_configENS1_38merge_sort_block_merge_config_selectorIjN6thrust23THRUST_200600_302600_NS5tupleIffNS6_9null_typeES8_S8_S8_S8_S8_S8_S8_EEEEZZNS1_27merge_sort_block_merge_implIS3_NS6_6detail15normal_iteratorINS6_10device_ptrIjEEEENSD_INSE_IS9_EEEEjNS1_19radix_merge_compareILb0ELb1EjNS0_19identity_decomposerEEEEE10hipError_tT0_T1_T2_jT3_P12ihipStream_tbPNSt15iterator_traitsISN_E10value_typeEPNST_ISO_E10value_typeEPSP_NS1_7vsmem_tEENKUlT_SN_SO_SP_E_clIPjSG_PS9_SI_EESM_S12_SN_SO_SP_EUlS12_E1_NS1_11comp_targetILNS1_3genE4ELNS1_11target_archE910ELNS1_3gpuE8ELNS1_3repE0EEENS1_36merge_oddeven_config_static_selectorELNS0_4arch9wavefront6targetE1EEEvSO_
	.p2align	8
	.type	_ZN7rocprim17ROCPRIM_400000_NS6detail17trampoline_kernelINS0_14default_configENS1_38merge_sort_block_merge_config_selectorIjN6thrust23THRUST_200600_302600_NS5tupleIffNS6_9null_typeES8_S8_S8_S8_S8_S8_S8_EEEEZZNS1_27merge_sort_block_merge_implIS3_NS6_6detail15normal_iteratorINS6_10device_ptrIjEEEENSD_INSE_IS9_EEEEjNS1_19radix_merge_compareILb0ELb1EjNS0_19identity_decomposerEEEEE10hipError_tT0_T1_T2_jT3_P12ihipStream_tbPNSt15iterator_traitsISN_E10value_typeEPNST_ISO_E10value_typeEPSP_NS1_7vsmem_tEENKUlT_SN_SO_SP_E_clIPjSG_PS9_SI_EESM_S12_SN_SO_SP_EUlS12_E1_NS1_11comp_targetILNS1_3genE4ELNS1_11target_archE910ELNS1_3gpuE8ELNS1_3repE0EEENS1_36merge_oddeven_config_static_selectorELNS0_4arch9wavefront6targetE1EEEvSO_,@function
_ZN7rocprim17ROCPRIM_400000_NS6detail17trampoline_kernelINS0_14default_configENS1_38merge_sort_block_merge_config_selectorIjN6thrust23THRUST_200600_302600_NS5tupleIffNS6_9null_typeES8_S8_S8_S8_S8_S8_S8_EEEEZZNS1_27merge_sort_block_merge_implIS3_NS6_6detail15normal_iteratorINS6_10device_ptrIjEEEENSD_INSE_IS9_EEEEjNS1_19radix_merge_compareILb0ELb1EjNS0_19identity_decomposerEEEEE10hipError_tT0_T1_T2_jT3_P12ihipStream_tbPNSt15iterator_traitsISN_E10value_typeEPNST_ISO_E10value_typeEPSP_NS1_7vsmem_tEENKUlT_SN_SO_SP_E_clIPjSG_PS9_SI_EESM_S12_SN_SO_SP_EUlS12_E1_NS1_11comp_targetILNS1_3genE4ELNS1_11target_archE910ELNS1_3gpuE8ELNS1_3repE0EEENS1_36merge_oddeven_config_static_selectorELNS0_4arch9wavefront6targetE1EEEvSO_: ; @_ZN7rocprim17ROCPRIM_400000_NS6detail17trampoline_kernelINS0_14default_configENS1_38merge_sort_block_merge_config_selectorIjN6thrust23THRUST_200600_302600_NS5tupleIffNS6_9null_typeES8_S8_S8_S8_S8_S8_S8_EEEEZZNS1_27merge_sort_block_merge_implIS3_NS6_6detail15normal_iteratorINS6_10device_ptrIjEEEENSD_INSE_IS9_EEEEjNS1_19radix_merge_compareILb0ELb1EjNS0_19identity_decomposerEEEEE10hipError_tT0_T1_T2_jT3_P12ihipStream_tbPNSt15iterator_traitsISN_E10value_typeEPNST_ISO_E10value_typeEPSP_NS1_7vsmem_tEENKUlT_SN_SO_SP_E_clIPjSG_PS9_SI_EESM_S12_SN_SO_SP_EUlS12_E1_NS1_11comp_targetILNS1_3genE4ELNS1_11target_archE910ELNS1_3gpuE8ELNS1_3repE0EEENS1_36merge_oddeven_config_static_selectorELNS0_4arch9wavefront6targetE1EEEvSO_
; %bb.0:
	s_load_dword s18, s[4:5], 0x20
	s_lshl_b32 s16, s6, 8
	s_waitcnt lgkmcnt(0)
	s_lshr_b32 s0, s18, 8
	s_cmp_lg_u32 s6, s0
	s_cselect_b64 s[14:15], -1, 0
	s_cmp_eq_u32 s6, s0
	s_cselect_b64 s[12:13], -1, 0
	s_sub_i32 s0, s18, s16
	v_cmp_gt_u32_e64 s[2:3], s0, v0
	s_or_b64 s[0:1], s[14:15], s[2:3]
	s_and_saveexec_b64 s[8:9], s[0:1]
	s_cbranch_execz .LBB110_20
; %bb.1:
	s_load_dwordx4 s[8:11], s[4:5], 0x0
	s_load_dwordx2 s[0:1], s[4:5], 0x10
	s_mov_b32 s17, 0
	s_lshl_b64 s[20:21], s[16:17], 2
	v_lshlrev_b32_e32 v1, 2, v0
	s_waitcnt lgkmcnt(0)
	s_add_u32 s20, s8, s20
	s_addc_u32 s21, s9, s21
	s_lshl_b64 s[22:23], s[16:17], 3
	s_add_u32 s0, s0, s22
	s_addc_u32 s1, s1, s23
	v_lshlrev_b32_e32 v5, 3, v0
	global_load_dword v4, v1, s[20:21]
	global_load_dwordx2 v[2:3], v5, s[0:1]
	s_load_dword s19, s[4:5], 0x24
	v_add_u32_e32 v0, s16, v0
	s_waitcnt lgkmcnt(0)
	s_lshr_b32 s0, s19, 8
	s_sub_i32 s1, 0, s0
	s_and_b32 s1, s6, s1
	s_and_b32 s0, s1, s0
	s_lshl_b32 s20, s1, 8
	s_sub_i32 s17, 0, s19
	s_cmp_eq_u32 s0, 0
	s_cselect_b64 s[0:1], -1, 0
	s_and_b64 s[6:7], s[0:1], exec
	s_cselect_b32 s17, s19, s17
	s_add_i32 s17, s17, s20
	s_cmp_lt_u32 s17, s18
	s_cbranch_scc1 .LBB110_3
; %bb.2:
	v_cmp_gt_u32_e32 vcc, s18, v0
	s_or_b64 s[6:7], vcc, s[14:15]
	s_and_b64 s[6:7], s[6:7], exec
	s_cbranch_execz .LBB110_4
	s_branch .LBB110_18
.LBB110_3:
	s_mov_b64 s[6:7], 0
.LBB110_4:
	s_load_dword s14, s[4:5], 0x28
	s_min_u32 s15, s17, s18
	s_add_i32 s16, s15, s19
	s_min_u32 s16, s16, s18
	s_min_u32 s18, s20, s15
	s_add_i32 s20, s20, s15
	v_subrev_u32_e32 v0, s20, v0
	v_add_u32_e32 v5, s18, v0
	s_and_b64 vcc, exec, s[12:13]
	s_cbranch_vccz .LBB110_12
; %bb.5:
                                        ; implicit-def: $vgpr0
	s_and_saveexec_b64 s[12:13], s[2:3]
	s_cbranch_execz .LBB110_11
; %bb.6:
	s_cmp_ge_u32 s17, s16
	v_mov_b32_e32 v6, s15
	s_cbranch_scc1 .LBB110_10
; %bb.7:
	s_waitcnt vmcnt(1) lgkmcnt(0)
	v_and_b32_e32 v7, s14, v4
	s_mov_b64 s[2:3], 0
	v_mov_b32_e32 v8, s16
	v_mov_b32_e32 v6, s15
	;; [unrolled: 1-line block ×4, first 2 shown]
.LBB110_8:                              ; =>This Inner Loop Header: Depth=1
	v_add_u32_e32 v0, v6, v8
	v_lshrrev_b32_e32 v0, 1, v0
	v_lshlrev_b64 v[10:11], 2, v[0:1]
	v_add_co_u32_e32 v10, vcc, s8, v10
	v_addc_co_u32_e32 v11, vcc, v9, v11, vcc
	global_load_dword v10, v[10:11], off
	v_add_u32_e32 v11, 1, v0
	s_waitcnt vmcnt(0)
	v_and_b32_e32 v10, s14, v10
	v_cmp_gt_u32_e32 vcc, v7, v10
	v_cndmask_b32_e64 v12, 0, 1, vcc
	v_cmp_le_u32_e32 vcc, v10, v7
	v_cndmask_b32_e64 v10, 0, 1, vcc
	v_cndmask_b32_e64 v10, v10, v12, s[0:1]
	v_and_b32_e32 v10, 1, v10
	v_cmp_eq_u32_e32 vcc, 1, v10
	v_cndmask_b32_e32 v8, v0, v8, vcc
	v_cndmask_b32_e32 v6, v6, v11, vcc
	v_cmp_ge_u32_e32 vcc, v6, v8
	s_or_b64 s[2:3], vcc, s[2:3]
	s_andn2_b64 exec, exec, s[2:3]
	s_cbranch_execnz .LBB110_8
; %bb.9:
	s_or_b64 exec, exec, s[2:3]
.LBB110_10:
	v_add_u32_e32 v0, v6, v5
	s_or_b64 s[6:7], s[6:7], exec
.LBB110_11:
	s_or_b64 exec, exec, s[12:13]
	s_branch .LBB110_18
.LBB110_12:
                                        ; implicit-def: $vgpr0
	s_cbranch_execz .LBB110_18
; %bb.13:
	s_cmp_ge_u32 s17, s16
	v_mov_b32_e32 v6, s15
	s_cbranch_scc1 .LBB110_17
; %bb.14:
	s_waitcnt vmcnt(1) lgkmcnt(0)
	v_and_b32_e32 v7, s14, v4
	s_mov_b64 s[2:3], 0
	v_mov_b32_e32 v8, s16
	v_mov_b32_e32 v6, s15
	;; [unrolled: 1-line block ×4, first 2 shown]
.LBB110_15:                             ; =>This Inner Loop Header: Depth=1
	v_add_u32_e32 v0, v6, v8
	v_lshrrev_b32_e32 v0, 1, v0
	v_lshlrev_b64 v[10:11], 2, v[0:1]
	v_add_co_u32_e32 v10, vcc, s8, v10
	v_addc_co_u32_e32 v11, vcc, v9, v11, vcc
	global_load_dword v10, v[10:11], off
	v_add_u32_e32 v11, 1, v0
	s_waitcnt vmcnt(0)
	v_and_b32_e32 v10, s14, v10
	v_cmp_gt_u32_e32 vcc, v7, v10
	v_cndmask_b32_e64 v12, 0, 1, vcc
	v_cmp_le_u32_e32 vcc, v10, v7
	v_cndmask_b32_e64 v10, 0, 1, vcc
	v_cndmask_b32_e64 v10, v10, v12, s[0:1]
	v_and_b32_e32 v10, 1, v10
	v_cmp_eq_u32_e32 vcc, 1, v10
	v_cndmask_b32_e32 v8, v0, v8, vcc
	v_cndmask_b32_e32 v6, v6, v11, vcc
	v_cmp_ge_u32_e32 vcc, v6, v8
	s_or_b64 s[2:3], vcc, s[2:3]
	s_andn2_b64 exec, exec, s[2:3]
	s_cbranch_execnz .LBB110_15
; %bb.16:
	s_or_b64 exec, exec, s[2:3]
.LBB110_17:
	v_add_u32_e32 v0, v6, v5
	s_mov_b64 s[6:7], -1
.LBB110_18:
	s_and_b64 exec, exec, s[6:7]
	s_cbranch_execz .LBB110_20
; %bb.19:
	s_load_dwordx2 s[0:1], s[4:5], 0x18
	v_mov_b32_e32 v1, 0
	v_lshlrev_b64 v[6:7], 2, v[0:1]
	v_mov_b32_e32 v5, s11
	v_add_co_u32_e32 v6, vcc, s10, v6
	v_addc_co_u32_e32 v7, vcc, v5, v7, vcc
	v_lshlrev_b64 v[0:1], 3, v[0:1]
	s_waitcnt vmcnt(1)
	global_store_dword v[6:7], v4, off
	s_waitcnt lgkmcnt(0)
	v_mov_b32_e32 v4, s1
	v_add_co_u32_e32 v0, vcc, s0, v0
	v_addc_co_u32_e32 v1, vcc, v4, v1, vcc
	s_waitcnt vmcnt(1)
	global_store_dwordx2 v[0:1], v[2:3], off
.LBB110_20:
	s_endpgm
	.section	.rodata,"a",@progbits
	.p2align	6, 0x0
	.amdhsa_kernel _ZN7rocprim17ROCPRIM_400000_NS6detail17trampoline_kernelINS0_14default_configENS1_38merge_sort_block_merge_config_selectorIjN6thrust23THRUST_200600_302600_NS5tupleIffNS6_9null_typeES8_S8_S8_S8_S8_S8_S8_EEEEZZNS1_27merge_sort_block_merge_implIS3_NS6_6detail15normal_iteratorINS6_10device_ptrIjEEEENSD_INSE_IS9_EEEEjNS1_19radix_merge_compareILb0ELb1EjNS0_19identity_decomposerEEEEE10hipError_tT0_T1_T2_jT3_P12ihipStream_tbPNSt15iterator_traitsISN_E10value_typeEPNST_ISO_E10value_typeEPSP_NS1_7vsmem_tEENKUlT_SN_SO_SP_E_clIPjSG_PS9_SI_EESM_S12_SN_SO_SP_EUlS12_E1_NS1_11comp_targetILNS1_3genE4ELNS1_11target_archE910ELNS1_3gpuE8ELNS1_3repE0EEENS1_36merge_oddeven_config_static_selectorELNS0_4arch9wavefront6targetE1EEEvSO_
		.amdhsa_group_segment_fixed_size 0
		.amdhsa_private_segment_fixed_size 0
		.amdhsa_kernarg_size 48
		.amdhsa_user_sgpr_count 6
		.amdhsa_user_sgpr_private_segment_buffer 1
		.amdhsa_user_sgpr_dispatch_ptr 0
		.amdhsa_user_sgpr_queue_ptr 0
		.amdhsa_user_sgpr_kernarg_segment_ptr 1
		.amdhsa_user_sgpr_dispatch_id 0
		.amdhsa_user_sgpr_flat_scratch_init 0
		.amdhsa_user_sgpr_kernarg_preload_length 0
		.amdhsa_user_sgpr_kernarg_preload_offset 0
		.amdhsa_user_sgpr_private_segment_size 0
		.amdhsa_uses_dynamic_stack 0
		.amdhsa_system_sgpr_private_segment_wavefront_offset 0
		.amdhsa_system_sgpr_workgroup_id_x 1
		.amdhsa_system_sgpr_workgroup_id_y 0
		.amdhsa_system_sgpr_workgroup_id_z 0
		.amdhsa_system_sgpr_workgroup_info 0
		.amdhsa_system_vgpr_workitem_id 0
		.amdhsa_next_free_vgpr 13
		.amdhsa_next_free_sgpr 24
		.amdhsa_accum_offset 16
		.amdhsa_reserve_vcc 1
		.amdhsa_reserve_flat_scratch 0
		.amdhsa_float_round_mode_32 0
		.amdhsa_float_round_mode_16_64 0
		.amdhsa_float_denorm_mode_32 3
		.amdhsa_float_denorm_mode_16_64 3
		.amdhsa_dx10_clamp 1
		.amdhsa_ieee_mode 1
		.amdhsa_fp16_overflow 0
		.amdhsa_tg_split 0
		.amdhsa_exception_fp_ieee_invalid_op 0
		.amdhsa_exception_fp_denorm_src 0
		.amdhsa_exception_fp_ieee_div_zero 0
		.amdhsa_exception_fp_ieee_overflow 0
		.amdhsa_exception_fp_ieee_underflow 0
		.amdhsa_exception_fp_ieee_inexact 0
		.amdhsa_exception_int_div_zero 0
	.end_amdhsa_kernel
	.section	.text._ZN7rocprim17ROCPRIM_400000_NS6detail17trampoline_kernelINS0_14default_configENS1_38merge_sort_block_merge_config_selectorIjN6thrust23THRUST_200600_302600_NS5tupleIffNS6_9null_typeES8_S8_S8_S8_S8_S8_S8_EEEEZZNS1_27merge_sort_block_merge_implIS3_NS6_6detail15normal_iteratorINS6_10device_ptrIjEEEENSD_INSE_IS9_EEEEjNS1_19radix_merge_compareILb0ELb1EjNS0_19identity_decomposerEEEEE10hipError_tT0_T1_T2_jT3_P12ihipStream_tbPNSt15iterator_traitsISN_E10value_typeEPNST_ISO_E10value_typeEPSP_NS1_7vsmem_tEENKUlT_SN_SO_SP_E_clIPjSG_PS9_SI_EESM_S12_SN_SO_SP_EUlS12_E1_NS1_11comp_targetILNS1_3genE4ELNS1_11target_archE910ELNS1_3gpuE8ELNS1_3repE0EEENS1_36merge_oddeven_config_static_selectorELNS0_4arch9wavefront6targetE1EEEvSO_,"axG",@progbits,_ZN7rocprim17ROCPRIM_400000_NS6detail17trampoline_kernelINS0_14default_configENS1_38merge_sort_block_merge_config_selectorIjN6thrust23THRUST_200600_302600_NS5tupleIffNS6_9null_typeES8_S8_S8_S8_S8_S8_S8_EEEEZZNS1_27merge_sort_block_merge_implIS3_NS6_6detail15normal_iteratorINS6_10device_ptrIjEEEENSD_INSE_IS9_EEEEjNS1_19radix_merge_compareILb0ELb1EjNS0_19identity_decomposerEEEEE10hipError_tT0_T1_T2_jT3_P12ihipStream_tbPNSt15iterator_traitsISN_E10value_typeEPNST_ISO_E10value_typeEPSP_NS1_7vsmem_tEENKUlT_SN_SO_SP_E_clIPjSG_PS9_SI_EESM_S12_SN_SO_SP_EUlS12_E1_NS1_11comp_targetILNS1_3genE4ELNS1_11target_archE910ELNS1_3gpuE8ELNS1_3repE0EEENS1_36merge_oddeven_config_static_selectorELNS0_4arch9wavefront6targetE1EEEvSO_,comdat
.Lfunc_end110:
	.size	_ZN7rocprim17ROCPRIM_400000_NS6detail17trampoline_kernelINS0_14default_configENS1_38merge_sort_block_merge_config_selectorIjN6thrust23THRUST_200600_302600_NS5tupleIffNS6_9null_typeES8_S8_S8_S8_S8_S8_S8_EEEEZZNS1_27merge_sort_block_merge_implIS3_NS6_6detail15normal_iteratorINS6_10device_ptrIjEEEENSD_INSE_IS9_EEEEjNS1_19radix_merge_compareILb0ELb1EjNS0_19identity_decomposerEEEEE10hipError_tT0_T1_T2_jT3_P12ihipStream_tbPNSt15iterator_traitsISN_E10value_typeEPNST_ISO_E10value_typeEPSP_NS1_7vsmem_tEENKUlT_SN_SO_SP_E_clIPjSG_PS9_SI_EESM_S12_SN_SO_SP_EUlS12_E1_NS1_11comp_targetILNS1_3genE4ELNS1_11target_archE910ELNS1_3gpuE8ELNS1_3repE0EEENS1_36merge_oddeven_config_static_selectorELNS0_4arch9wavefront6targetE1EEEvSO_, .Lfunc_end110-_ZN7rocprim17ROCPRIM_400000_NS6detail17trampoline_kernelINS0_14default_configENS1_38merge_sort_block_merge_config_selectorIjN6thrust23THRUST_200600_302600_NS5tupleIffNS6_9null_typeES8_S8_S8_S8_S8_S8_S8_EEEEZZNS1_27merge_sort_block_merge_implIS3_NS6_6detail15normal_iteratorINS6_10device_ptrIjEEEENSD_INSE_IS9_EEEEjNS1_19radix_merge_compareILb0ELb1EjNS0_19identity_decomposerEEEEE10hipError_tT0_T1_T2_jT3_P12ihipStream_tbPNSt15iterator_traitsISN_E10value_typeEPNST_ISO_E10value_typeEPSP_NS1_7vsmem_tEENKUlT_SN_SO_SP_E_clIPjSG_PS9_SI_EESM_S12_SN_SO_SP_EUlS12_E1_NS1_11comp_targetILNS1_3genE4ELNS1_11target_archE910ELNS1_3gpuE8ELNS1_3repE0EEENS1_36merge_oddeven_config_static_selectorELNS0_4arch9wavefront6targetE1EEEvSO_
                                        ; -- End function
	.section	.AMDGPU.csdata,"",@progbits
; Kernel info:
; codeLenInByte = 700
; NumSgprs: 28
; NumVgprs: 13
; NumAgprs: 0
; TotalNumVgprs: 13
; ScratchSize: 0
; MemoryBound: 0
; FloatMode: 240
; IeeeMode: 1
; LDSByteSize: 0 bytes/workgroup (compile time only)
; SGPRBlocks: 3
; VGPRBlocks: 1
; NumSGPRsForWavesPerEU: 28
; NumVGPRsForWavesPerEU: 13
; AccumOffset: 16
; Occupancy: 8
; WaveLimiterHint : 0
; COMPUTE_PGM_RSRC2:SCRATCH_EN: 0
; COMPUTE_PGM_RSRC2:USER_SGPR: 6
; COMPUTE_PGM_RSRC2:TRAP_HANDLER: 0
; COMPUTE_PGM_RSRC2:TGID_X_EN: 1
; COMPUTE_PGM_RSRC2:TGID_Y_EN: 0
; COMPUTE_PGM_RSRC2:TGID_Z_EN: 0
; COMPUTE_PGM_RSRC2:TIDIG_COMP_CNT: 0
; COMPUTE_PGM_RSRC3_GFX90A:ACCUM_OFFSET: 3
; COMPUTE_PGM_RSRC3_GFX90A:TG_SPLIT: 0
	.section	.text._ZN7rocprim17ROCPRIM_400000_NS6detail17trampoline_kernelINS0_14default_configENS1_38merge_sort_block_merge_config_selectorIjN6thrust23THRUST_200600_302600_NS5tupleIffNS6_9null_typeES8_S8_S8_S8_S8_S8_S8_EEEEZZNS1_27merge_sort_block_merge_implIS3_NS6_6detail15normal_iteratorINS6_10device_ptrIjEEEENSD_INSE_IS9_EEEEjNS1_19radix_merge_compareILb0ELb1EjNS0_19identity_decomposerEEEEE10hipError_tT0_T1_T2_jT3_P12ihipStream_tbPNSt15iterator_traitsISN_E10value_typeEPNST_ISO_E10value_typeEPSP_NS1_7vsmem_tEENKUlT_SN_SO_SP_E_clIPjSG_PS9_SI_EESM_S12_SN_SO_SP_EUlS12_E1_NS1_11comp_targetILNS1_3genE3ELNS1_11target_archE908ELNS1_3gpuE7ELNS1_3repE0EEENS1_36merge_oddeven_config_static_selectorELNS0_4arch9wavefront6targetE1EEEvSO_,"axG",@progbits,_ZN7rocprim17ROCPRIM_400000_NS6detail17trampoline_kernelINS0_14default_configENS1_38merge_sort_block_merge_config_selectorIjN6thrust23THRUST_200600_302600_NS5tupleIffNS6_9null_typeES8_S8_S8_S8_S8_S8_S8_EEEEZZNS1_27merge_sort_block_merge_implIS3_NS6_6detail15normal_iteratorINS6_10device_ptrIjEEEENSD_INSE_IS9_EEEEjNS1_19radix_merge_compareILb0ELb1EjNS0_19identity_decomposerEEEEE10hipError_tT0_T1_T2_jT3_P12ihipStream_tbPNSt15iterator_traitsISN_E10value_typeEPNST_ISO_E10value_typeEPSP_NS1_7vsmem_tEENKUlT_SN_SO_SP_E_clIPjSG_PS9_SI_EESM_S12_SN_SO_SP_EUlS12_E1_NS1_11comp_targetILNS1_3genE3ELNS1_11target_archE908ELNS1_3gpuE7ELNS1_3repE0EEENS1_36merge_oddeven_config_static_selectorELNS0_4arch9wavefront6targetE1EEEvSO_,comdat
	.protected	_ZN7rocprim17ROCPRIM_400000_NS6detail17trampoline_kernelINS0_14default_configENS1_38merge_sort_block_merge_config_selectorIjN6thrust23THRUST_200600_302600_NS5tupleIffNS6_9null_typeES8_S8_S8_S8_S8_S8_S8_EEEEZZNS1_27merge_sort_block_merge_implIS3_NS6_6detail15normal_iteratorINS6_10device_ptrIjEEEENSD_INSE_IS9_EEEEjNS1_19radix_merge_compareILb0ELb1EjNS0_19identity_decomposerEEEEE10hipError_tT0_T1_T2_jT3_P12ihipStream_tbPNSt15iterator_traitsISN_E10value_typeEPNST_ISO_E10value_typeEPSP_NS1_7vsmem_tEENKUlT_SN_SO_SP_E_clIPjSG_PS9_SI_EESM_S12_SN_SO_SP_EUlS12_E1_NS1_11comp_targetILNS1_3genE3ELNS1_11target_archE908ELNS1_3gpuE7ELNS1_3repE0EEENS1_36merge_oddeven_config_static_selectorELNS0_4arch9wavefront6targetE1EEEvSO_ ; -- Begin function _ZN7rocprim17ROCPRIM_400000_NS6detail17trampoline_kernelINS0_14default_configENS1_38merge_sort_block_merge_config_selectorIjN6thrust23THRUST_200600_302600_NS5tupleIffNS6_9null_typeES8_S8_S8_S8_S8_S8_S8_EEEEZZNS1_27merge_sort_block_merge_implIS3_NS6_6detail15normal_iteratorINS6_10device_ptrIjEEEENSD_INSE_IS9_EEEEjNS1_19radix_merge_compareILb0ELb1EjNS0_19identity_decomposerEEEEE10hipError_tT0_T1_T2_jT3_P12ihipStream_tbPNSt15iterator_traitsISN_E10value_typeEPNST_ISO_E10value_typeEPSP_NS1_7vsmem_tEENKUlT_SN_SO_SP_E_clIPjSG_PS9_SI_EESM_S12_SN_SO_SP_EUlS12_E1_NS1_11comp_targetILNS1_3genE3ELNS1_11target_archE908ELNS1_3gpuE7ELNS1_3repE0EEENS1_36merge_oddeven_config_static_selectorELNS0_4arch9wavefront6targetE1EEEvSO_
	.globl	_ZN7rocprim17ROCPRIM_400000_NS6detail17trampoline_kernelINS0_14default_configENS1_38merge_sort_block_merge_config_selectorIjN6thrust23THRUST_200600_302600_NS5tupleIffNS6_9null_typeES8_S8_S8_S8_S8_S8_S8_EEEEZZNS1_27merge_sort_block_merge_implIS3_NS6_6detail15normal_iteratorINS6_10device_ptrIjEEEENSD_INSE_IS9_EEEEjNS1_19radix_merge_compareILb0ELb1EjNS0_19identity_decomposerEEEEE10hipError_tT0_T1_T2_jT3_P12ihipStream_tbPNSt15iterator_traitsISN_E10value_typeEPNST_ISO_E10value_typeEPSP_NS1_7vsmem_tEENKUlT_SN_SO_SP_E_clIPjSG_PS9_SI_EESM_S12_SN_SO_SP_EUlS12_E1_NS1_11comp_targetILNS1_3genE3ELNS1_11target_archE908ELNS1_3gpuE7ELNS1_3repE0EEENS1_36merge_oddeven_config_static_selectorELNS0_4arch9wavefront6targetE1EEEvSO_
	.p2align	8
	.type	_ZN7rocprim17ROCPRIM_400000_NS6detail17trampoline_kernelINS0_14default_configENS1_38merge_sort_block_merge_config_selectorIjN6thrust23THRUST_200600_302600_NS5tupleIffNS6_9null_typeES8_S8_S8_S8_S8_S8_S8_EEEEZZNS1_27merge_sort_block_merge_implIS3_NS6_6detail15normal_iteratorINS6_10device_ptrIjEEEENSD_INSE_IS9_EEEEjNS1_19radix_merge_compareILb0ELb1EjNS0_19identity_decomposerEEEEE10hipError_tT0_T1_T2_jT3_P12ihipStream_tbPNSt15iterator_traitsISN_E10value_typeEPNST_ISO_E10value_typeEPSP_NS1_7vsmem_tEENKUlT_SN_SO_SP_E_clIPjSG_PS9_SI_EESM_S12_SN_SO_SP_EUlS12_E1_NS1_11comp_targetILNS1_3genE3ELNS1_11target_archE908ELNS1_3gpuE7ELNS1_3repE0EEENS1_36merge_oddeven_config_static_selectorELNS0_4arch9wavefront6targetE1EEEvSO_,@function
_ZN7rocprim17ROCPRIM_400000_NS6detail17trampoline_kernelINS0_14default_configENS1_38merge_sort_block_merge_config_selectorIjN6thrust23THRUST_200600_302600_NS5tupleIffNS6_9null_typeES8_S8_S8_S8_S8_S8_S8_EEEEZZNS1_27merge_sort_block_merge_implIS3_NS6_6detail15normal_iteratorINS6_10device_ptrIjEEEENSD_INSE_IS9_EEEEjNS1_19radix_merge_compareILb0ELb1EjNS0_19identity_decomposerEEEEE10hipError_tT0_T1_T2_jT3_P12ihipStream_tbPNSt15iterator_traitsISN_E10value_typeEPNST_ISO_E10value_typeEPSP_NS1_7vsmem_tEENKUlT_SN_SO_SP_E_clIPjSG_PS9_SI_EESM_S12_SN_SO_SP_EUlS12_E1_NS1_11comp_targetILNS1_3genE3ELNS1_11target_archE908ELNS1_3gpuE7ELNS1_3repE0EEENS1_36merge_oddeven_config_static_selectorELNS0_4arch9wavefront6targetE1EEEvSO_: ; @_ZN7rocprim17ROCPRIM_400000_NS6detail17trampoline_kernelINS0_14default_configENS1_38merge_sort_block_merge_config_selectorIjN6thrust23THRUST_200600_302600_NS5tupleIffNS6_9null_typeES8_S8_S8_S8_S8_S8_S8_EEEEZZNS1_27merge_sort_block_merge_implIS3_NS6_6detail15normal_iteratorINS6_10device_ptrIjEEEENSD_INSE_IS9_EEEEjNS1_19radix_merge_compareILb0ELb1EjNS0_19identity_decomposerEEEEE10hipError_tT0_T1_T2_jT3_P12ihipStream_tbPNSt15iterator_traitsISN_E10value_typeEPNST_ISO_E10value_typeEPSP_NS1_7vsmem_tEENKUlT_SN_SO_SP_E_clIPjSG_PS9_SI_EESM_S12_SN_SO_SP_EUlS12_E1_NS1_11comp_targetILNS1_3genE3ELNS1_11target_archE908ELNS1_3gpuE7ELNS1_3repE0EEENS1_36merge_oddeven_config_static_selectorELNS0_4arch9wavefront6targetE1EEEvSO_
; %bb.0:
	.section	.rodata,"a",@progbits
	.p2align	6, 0x0
	.amdhsa_kernel _ZN7rocprim17ROCPRIM_400000_NS6detail17trampoline_kernelINS0_14default_configENS1_38merge_sort_block_merge_config_selectorIjN6thrust23THRUST_200600_302600_NS5tupleIffNS6_9null_typeES8_S8_S8_S8_S8_S8_S8_EEEEZZNS1_27merge_sort_block_merge_implIS3_NS6_6detail15normal_iteratorINS6_10device_ptrIjEEEENSD_INSE_IS9_EEEEjNS1_19radix_merge_compareILb0ELb1EjNS0_19identity_decomposerEEEEE10hipError_tT0_T1_T2_jT3_P12ihipStream_tbPNSt15iterator_traitsISN_E10value_typeEPNST_ISO_E10value_typeEPSP_NS1_7vsmem_tEENKUlT_SN_SO_SP_E_clIPjSG_PS9_SI_EESM_S12_SN_SO_SP_EUlS12_E1_NS1_11comp_targetILNS1_3genE3ELNS1_11target_archE908ELNS1_3gpuE7ELNS1_3repE0EEENS1_36merge_oddeven_config_static_selectorELNS0_4arch9wavefront6targetE1EEEvSO_
		.amdhsa_group_segment_fixed_size 0
		.amdhsa_private_segment_fixed_size 0
		.amdhsa_kernarg_size 48
		.amdhsa_user_sgpr_count 6
		.amdhsa_user_sgpr_private_segment_buffer 1
		.amdhsa_user_sgpr_dispatch_ptr 0
		.amdhsa_user_sgpr_queue_ptr 0
		.amdhsa_user_sgpr_kernarg_segment_ptr 1
		.amdhsa_user_sgpr_dispatch_id 0
		.amdhsa_user_sgpr_flat_scratch_init 0
		.amdhsa_user_sgpr_kernarg_preload_length 0
		.amdhsa_user_sgpr_kernarg_preload_offset 0
		.amdhsa_user_sgpr_private_segment_size 0
		.amdhsa_uses_dynamic_stack 0
		.amdhsa_system_sgpr_private_segment_wavefront_offset 0
		.amdhsa_system_sgpr_workgroup_id_x 1
		.amdhsa_system_sgpr_workgroup_id_y 0
		.amdhsa_system_sgpr_workgroup_id_z 0
		.amdhsa_system_sgpr_workgroup_info 0
		.amdhsa_system_vgpr_workitem_id 0
		.amdhsa_next_free_vgpr 1
		.amdhsa_next_free_sgpr 0
		.amdhsa_accum_offset 4
		.amdhsa_reserve_vcc 0
		.amdhsa_reserve_flat_scratch 0
		.amdhsa_float_round_mode_32 0
		.amdhsa_float_round_mode_16_64 0
		.amdhsa_float_denorm_mode_32 3
		.amdhsa_float_denorm_mode_16_64 3
		.amdhsa_dx10_clamp 1
		.amdhsa_ieee_mode 1
		.amdhsa_fp16_overflow 0
		.amdhsa_tg_split 0
		.amdhsa_exception_fp_ieee_invalid_op 0
		.amdhsa_exception_fp_denorm_src 0
		.amdhsa_exception_fp_ieee_div_zero 0
		.amdhsa_exception_fp_ieee_overflow 0
		.amdhsa_exception_fp_ieee_underflow 0
		.amdhsa_exception_fp_ieee_inexact 0
		.amdhsa_exception_int_div_zero 0
	.end_amdhsa_kernel
	.section	.text._ZN7rocprim17ROCPRIM_400000_NS6detail17trampoline_kernelINS0_14default_configENS1_38merge_sort_block_merge_config_selectorIjN6thrust23THRUST_200600_302600_NS5tupleIffNS6_9null_typeES8_S8_S8_S8_S8_S8_S8_EEEEZZNS1_27merge_sort_block_merge_implIS3_NS6_6detail15normal_iteratorINS6_10device_ptrIjEEEENSD_INSE_IS9_EEEEjNS1_19radix_merge_compareILb0ELb1EjNS0_19identity_decomposerEEEEE10hipError_tT0_T1_T2_jT3_P12ihipStream_tbPNSt15iterator_traitsISN_E10value_typeEPNST_ISO_E10value_typeEPSP_NS1_7vsmem_tEENKUlT_SN_SO_SP_E_clIPjSG_PS9_SI_EESM_S12_SN_SO_SP_EUlS12_E1_NS1_11comp_targetILNS1_3genE3ELNS1_11target_archE908ELNS1_3gpuE7ELNS1_3repE0EEENS1_36merge_oddeven_config_static_selectorELNS0_4arch9wavefront6targetE1EEEvSO_,"axG",@progbits,_ZN7rocprim17ROCPRIM_400000_NS6detail17trampoline_kernelINS0_14default_configENS1_38merge_sort_block_merge_config_selectorIjN6thrust23THRUST_200600_302600_NS5tupleIffNS6_9null_typeES8_S8_S8_S8_S8_S8_S8_EEEEZZNS1_27merge_sort_block_merge_implIS3_NS6_6detail15normal_iteratorINS6_10device_ptrIjEEEENSD_INSE_IS9_EEEEjNS1_19radix_merge_compareILb0ELb1EjNS0_19identity_decomposerEEEEE10hipError_tT0_T1_T2_jT3_P12ihipStream_tbPNSt15iterator_traitsISN_E10value_typeEPNST_ISO_E10value_typeEPSP_NS1_7vsmem_tEENKUlT_SN_SO_SP_E_clIPjSG_PS9_SI_EESM_S12_SN_SO_SP_EUlS12_E1_NS1_11comp_targetILNS1_3genE3ELNS1_11target_archE908ELNS1_3gpuE7ELNS1_3repE0EEENS1_36merge_oddeven_config_static_selectorELNS0_4arch9wavefront6targetE1EEEvSO_,comdat
.Lfunc_end111:
	.size	_ZN7rocprim17ROCPRIM_400000_NS6detail17trampoline_kernelINS0_14default_configENS1_38merge_sort_block_merge_config_selectorIjN6thrust23THRUST_200600_302600_NS5tupleIffNS6_9null_typeES8_S8_S8_S8_S8_S8_S8_EEEEZZNS1_27merge_sort_block_merge_implIS3_NS6_6detail15normal_iteratorINS6_10device_ptrIjEEEENSD_INSE_IS9_EEEEjNS1_19radix_merge_compareILb0ELb1EjNS0_19identity_decomposerEEEEE10hipError_tT0_T1_T2_jT3_P12ihipStream_tbPNSt15iterator_traitsISN_E10value_typeEPNST_ISO_E10value_typeEPSP_NS1_7vsmem_tEENKUlT_SN_SO_SP_E_clIPjSG_PS9_SI_EESM_S12_SN_SO_SP_EUlS12_E1_NS1_11comp_targetILNS1_3genE3ELNS1_11target_archE908ELNS1_3gpuE7ELNS1_3repE0EEENS1_36merge_oddeven_config_static_selectorELNS0_4arch9wavefront6targetE1EEEvSO_, .Lfunc_end111-_ZN7rocprim17ROCPRIM_400000_NS6detail17trampoline_kernelINS0_14default_configENS1_38merge_sort_block_merge_config_selectorIjN6thrust23THRUST_200600_302600_NS5tupleIffNS6_9null_typeES8_S8_S8_S8_S8_S8_S8_EEEEZZNS1_27merge_sort_block_merge_implIS3_NS6_6detail15normal_iteratorINS6_10device_ptrIjEEEENSD_INSE_IS9_EEEEjNS1_19radix_merge_compareILb0ELb1EjNS0_19identity_decomposerEEEEE10hipError_tT0_T1_T2_jT3_P12ihipStream_tbPNSt15iterator_traitsISN_E10value_typeEPNST_ISO_E10value_typeEPSP_NS1_7vsmem_tEENKUlT_SN_SO_SP_E_clIPjSG_PS9_SI_EESM_S12_SN_SO_SP_EUlS12_E1_NS1_11comp_targetILNS1_3genE3ELNS1_11target_archE908ELNS1_3gpuE7ELNS1_3repE0EEENS1_36merge_oddeven_config_static_selectorELNS0_4arch9wavefront6targetE1EEEvSO_
                                        ; -- End function
	.section	.AMDGPU.csdata,"",@progbits
; Kernel info:
; codeLenInByte = 0
; NumSgprs: 4
; NumVgprs: 0
; NumAgprs: 0
; TotalNumVgprs: 0
; ScratchSize: 0
; MemoryBound: 0
; FloatMode: 240
; IeeeMode: 1
; LDSByteSize: 0 bytes/workgroup (compile time only)
; SGPRBlocks: 0
; VGPRBlocks: 0
; NumSGPRsForWavesPerEU: 4
; NumVGPRsForWavesPerEU: 1
; AccumOffset: 4
; Occupancy: 8
; WaveLimiterHint : 0
; COMPUTE_PGM_RSRC2:SCRATCH_EN: 0
; COMPUTE_PGM_RSRC2:USER_SGPR: 6
; COMPUTE_PGM_RSRC2:TRAP_HANDLER: 0
; COMPUTE_PGM_RSRC2:TGID_X_EN: 1
; COMPUTE_PGM_RSRC2:TGID_Y_EN: 0
; COMPUTE_PGM_RSRC2:TGID_Z_EN: 0
; COMPUTE_PGM_RSRC2:TIDIG_COMP_CNT: 0
; COMPUTE_PGM_RSRC3_GFX90A:ACCUM_OFFSET: 0
; COMPUTE_PGM_RSRC3_GFX90A:TG_SPLIT: 0
	.section	.text._ZN7rocprim17ROCPRIM_400000_NS6detail17trampoline_kernelINS0_14default_configENS1_38merge_sort_block_merge_config_selectorIjN6thrust23THRUST_200600_302600_NS5tupleIffNS6_9null_typeES8_S8_S8_S8_S8_S8_S8_EEEEZZNS1_27merge_sort_block_merge_implIS3_NS6_6detail15normal_iteratorINS6_10device_ptrIjEEEENSD_INSE_IS9_EEEEjNS1_19radix_merge_compareILb0ELb1EjNS0_19identity_decomposerEEEEE10hipError_tT0_T1_T2_jT3_P12ihipStream_tbPNSt15iterator_traitsISN_E10value_typeEPNST_ISO_E10value_typeEPSP_NS1_7vsmem_tEENKUlT_SN_SO_SP_E_clIPjSG_PS9_SI_EESM_S12_SN_SO_SP_EUlS12_E1_NS1_11comp_targetILNS1_3genE2ELNS1_11target_archE906ELNS1_3gpuE6ELNS1_3repE0EEENS1_36merge_oddeven_config_static_selectorELNS0_4arch9wavefront6targetE1EEEvSO_,"axG",@progbits,_ZN7rocprim17ROCPRIM_400000_NS6detail17trampoline_kernelINS0_14default_configENS1_38merge_sort_block_merge_config_selectorIjN6thrust23THRUST_200600_302600_NS5tupleIffNS6_9null_typeES8_S8_S8_S8_S8_S8_S8_EEEEZZNS1_27merge_sort_block_merge_implIS3_NS6_6detail15normal_iteratorINS6_10device_ptrIjEEEENSD_INSE_IS9_EEEEjNS1_19radix_merge_compareILb0ELb1EjNS0_19identity_decomposerEEEEE10hipError_tT0_T1_T2_jT3_P12ihipStream_tbPNSt15iterator_traitsISN_E10value_typeEPNST_ISO_E10value_typeEPSP_NS1_7vsmem_tEENKUlT_SN_SO_SP_E_clIPjSG_PS9_SI_EESM_S12_SN_SO_SP_EUlS12_E1_NS1_11comp_targetILNS1_3genE2ELNS1_11target_archE906ELNS1_3gpuE6ELNS1_3repE0EEENS1_36merge_oddeven_config_static_selectorELNS0_4arch9wavefront6targetE1EEEvSO_,comdat
	.protected	_ZN7rocprim17ROCPRIM_400000_NS6detail17trampoline_kernelINS0_14default_configENS1_38merge_sort_block_merge_config_selectorIjN6thrust23THRUST_200600_302600_NS5tupleIffNS6_9null_typeES8_S8_S8_S8_S8_S8_S8_EEEEZZNS1_27merge_sort_block_merge_implIS3_NS6_6detail15normal_iteratorINS6_10device_ptrIjEEEENSD_INSE_IS9_EEEEjNS1_19radix_merge_compareILb0ELb1EjNS0_19identity_decomposerEEEEE10hipError_tT0_T1_T2_jT3_P12ihipStream_tbPNSt15iterator_traitsISN_E10value_typeEPNST_ISO_E10value_typeEPSP_NS1_7vsmem_tEENKUlT_SN_SO_SP_E_clIPjSG_PS9_SI_EESM_S12_SN_SO_SP_EUlS12_E1_NS1_11comp_targetILNS1_3genE2ELNS1_11target_archE906ELNS1_3gpuE6ELNS1_3repE0EEENS1_36merge_oddeven_config_static_selectorELNS0_4arch9wavefront6targetE1EEEvSO_ ; -- Begin function _ZN7rocprim17ROCPRIM_400000_NS6detail17trampoline_kernelINS0_14default_configENS1_38merge_sort_block_merge_config_selectorIjN6thrust23THRUST_200600_302600_NS5tupleIffNS6_9null_typeES8_S8_S8_S8_S8_S8_S8_EEEEZZNS1_27merge_sort_block_merge_implIS3_NS6_6detail15normal_iteratorINS6_10device_ptrIjEEEENSD_INSE_IS9_EEEEjNS1_19radix_merge_compareILb0ELb1EjNS0_19identity_decomposerEEEEE10hipError_tT0_T1_T2_jT3_P12ihipStream_tbPNSt15iterator_traitsISN_E10value_typeEPNST_ISO_E10value_typeEPSP_NS1_7vsmem_tEENKUlT_SN_SO_SP_E_clIPjSG_PS9_SI_EESM_S12_SN_SO_SP_EUlS12_E1_NS1_11comp_targetILNS1_3genE2ELNS1_11target_archE906ELNS1_3gpuE6ELNS1_3repE0EEENS1_36merge_oddeven_config_static_selectorELNS0_4arch9wavefront6targetE1EEEvSO_
	.globl	_ZN7rocprim17ROCPRIM_400000_NS6detail17trampoline_kernelINS0_14default_configENS1_38merge_sort_block_merge_config_selectorIjN6thrust23THRUST_200600_302600_NS5tupleIffNS6_9null_typeES8_S8_S8_S8_S8_S8_S8_EEEEZZNS1_27merge_sort_block_merge_implIS3_NS6_6detail15normal_iteratorINS6_10device_ptrIjEEEENSD_INSE_IS9_EEEEjNS1_19radix_merge_compareILb0ELb1EjNS0_19identity_decomposerEEEEE10hipError_tT0_T1_T2_jT3_P12ihipStream_tbPNSt15iterator_traitsISN_E10value_typeEPNST_ISO_E10value_typeEPSP_NS1_7vsmem_tEENKUlT_SN_SO_SP_E_clIPjSG_PS9_SI_EESM_S12_SN_SO_SP_EUlS12_E1_NS1_11comp_targetILNS1_3genE2ELNS1_11target_archE906ELNS1_3gpuE6ELNS1_3repE0EEENS1_36merge_oddeven_config_static_selectorELNS0_4arch9wavefront6targetE1EEEvSO_
	.p2align	8
	.type	_ZN7rocprim17ROCPRIM_400000_NS6detail17trampoline_kernelINS0_14default_configENS1_38merge_sort_block_merge_config_selectorIjN6thrust23THRUST_200600_302600_NS5tupleIffNS6_9null_typeES8_S8_S8_S8_S8_S8_S8_EEEEZZNS1_27merge_sort_block_merge_implIS3_NS6_6detail15normal_iteratorINS6_10device_ptrIjEEEENSD_INSE_IS9_EEEEjNS1_19radix_merge_compareILb0ELb1EjNS0_19identity_decomposerEEEEE10hipError_tT0_T1_T2_jT3_P12ihipStream_tbPNSt15iterator_traitsISN_E10value_typeEPNST_ISO_E10value_typeEPSP_NS1_7vsmem_tEENKUlT_SN_SO_SP_E_clIPjSG_PS9_SI_EESM_S12_SN_SO_SP_EUlS12_E1_NS1_11comp_targetILNS1_3genE2ELNS1_11target_archE906ELNS1_3gpuE6ELNS1_3repE0EEENS1_36merge_oddeven_config_static_selectorELNS0_4arch9wavefront6targetE1EEEvSO_,@function
_ZN7rocprim17ROCPRIM_400000_NS6detail17trampoline_kernelINS0_14default_configENS1_38merge_sort_block_merge_config_selectorIjN6thrust23THRUST_200600_302600_NS5tupleIffNS6_9null_typeES8_S8_S8_S8_S8_S8_S8_EEEEZZNS1_27merge_sort_block_merge_implIS3_NS6_6detail15normal_iteratorINS6_10device_ptrIjEEEENSD_INSE_IS9_EEEEjNS1_19radix_merge_compareILb0ELb1EjNS0_19identity_decomposerEEEEE10hipError_tT0_T1_T2_jT3_P12ihipStream_tbPNSt15iterator_traitsISN_E10value_typeEPNST_ISO_E10value_typeEPSP_NS1_7vsmem_tEENKUlT_SN_SO_SP_E_clIPjSG_PS9_SI_EESM_S12_SN_SO_SP_EUlS12_E1_NS1_11comp_targetILNS1_3genE2ELNS1_11target_archE906ELNS1_3gpuE6ELNS1_3repE0EEENS1_36merge_oddeven_config_static_selectorELNS0_4arch9wavefront6targetE1EEEvSO_: ; @_ZN7rocprim17ROCPRIM_400000_NS6detail17trampoline_kernelINS0_14default_configENS1_38merge_sort_block_merge_config_selectorIjN6thrust23THRUST_200600_302600_NS5tupleIffNS6_9null_typeES8_S8_S8_S8_S8_S8_S8_EEEEZZNS1_27merge_sort_block_merge_implIS3_NS6_6detail15normal_iteratorINS6_10device_ptrIjEEEENSD_INSE_IS9_EEEEjNS1_19radix_merge_compareILb0ELb1EjNS0_19identity_decomposerEEEEE10hipError_tT0_T1_T2_jT3_P12ihipStream_tbPNSt15iterator_traitsISN_E10value_typeEPNST_ISO_E10value_typeEPSP_NS1_7vsmem_tEENKUlT_SN_SO_SP_E_clIPjSG_PS9_SI_EESM_S12_SN_SO_SP_EUlS12_E1_NS1_11comp_targetILNS1_3genE2ELNS1_11target_archE906ELNS1_3gpuE6ELNS1_3repE0EEENS1_36merge_oddeven_config_static_selectorELNS0_4arch9wavefront6targetE1EEEvSO_
; %bb.0:
	.section	.rodata,"a",@progbits
	.p2align	6, 0x0
	.amdhsa_kernel _ZN7rocprim17ROCPRIM_400000_NS6detail17trampoline_kernelINS0_14default_configENS1_38merge_sort_block_merge_config_selectorIjN6thrust23THRUST_200600_302600_NS5tupleIffNS6_9null_typeES8_S8_S8_S8_S8_S8_S8_EEEEZZNS1_27merge_sort_block_merge_implIS3_NS6_6detail15normal_iteratorINS6_10device_ptrIjEEEENSD_INSE_IS9_EEEEjNS1_19radix_merge_compareILb0ELb1EjNS0_19identity_decomposerEEEEE10hipError_tT0_T1_T2_jT3_P12ihipStream_tbPNSt15iterator_traitsISN_E10value_typeEPNST_ISO_E10value_typeEPSP_NS1_7vsmem_tEENKUlT_SN_SO_SP_E_clIPjSG_PS9_SI_EESM_S12_SN_SO_SP_EUlS12_E1_NS1_11comp_targetILNS1_3genE2ELNS1_11target_archE906ELNS1_3gpuE6ELNS1_3repE0EEENS1_36merge_oddeven_config_static_selectorELNS0_4arch9wavefront6targetE1EEEvSO_
		.amdhsa_group_segment_fixed_size 0
		.amdhsa_private_segment_fixed_size 0
		.amdhsa_kernarg_size 48
		.amdhsa_user_sgpr_count 6
		.amdhsa_user_sgpr_private_segment_buffer 1
		.amdhsa_user_sgpr_dispatch_ptr 0
		.amdhsa_user_sgpr_queue_ptr 0
		.amdhsa_user_sgpr_kernarg_segment_ptr 1
		.amdhsa_user_sgpr_dispatch_id 0
		.amdhsa_user_sgpr_flat_scratch_init 0
		.amdhsa_user_sgpr_kernarg_preload_length 0
		.amdhsa_user_sgpr_kernarg_preload_offset 0
		.amdhsa_user_sgpr_private_segment_size 0
		.amdhsa_uses_dynamic_stack 0
		.amdhsa_system_sgpr_private_segment_wavefront_offset 0
		.amdhsa_system_sgpr_workgroup_id_x 1
		.amdhsa_system_sgpr_workgroup_id_y 0
		.amdhsa_system_sgpr_workgroup_id_z 0
		.amdhsa_system_sgpr_workgroup_info 0
		.amdhsa_system_vgpr_workitem_id 0
		.amdhsa_next_free_vgpr 1
		.amdhsa_next_free_sgpr 0
		.amdhsa_accum_offset 4
		.amdhsa_reserve_vcc 0
		.amdhsa_reserve_flat_scratch 0
		.amdhsa_float_round_mode_32 0
		.amdhsa_float_round_mode_16_64 0
		.amdhsa_float_denorm_mode_32 3
		.amdhsa_float_denorm_mode_16_64 3
		.amdhsa_dx10_clamp 1
		.amdhsa_ieee_mode 1
		.amdhsa_fp16_overflow 0
		.amdhsa_tg_split 0
		.amdhsa_exception_fp_ieee_invalid_op 0
		.amdhsa_exception_fp_denorm_src 0
		.amdhsa_exception_fp_ieee_div_zero 0
		.amdhsa_exception_fp_ieee_overflow 0
		.amdhsa_exception_fp_ieee_underflow 0
		.amdhsa_exception_fp_ieee_inexact 0
		.amdhsa_exception_int_div_zero 0
	.end_amdhsa_kernel
	.section	.text._ZN7rocprim17ROCPRIM_400000_NS6detail17trampoline_kernelINS0_14default_configENS1_38merge_sort_block_merge_config_selectorIjN6thrust23THRUST_200600_302600_NS5tupleIffNS6_9null_typeES8_S8_S8_S8_S8_S8_S8_EEEEZZNS1_27merge_sort_block_merge_implIS3_NS6_6detail15normal_iteratorINS6_10device_ptrIjEEEENSD_INSE_IS9_EEEEjNS1_19radix_merge_compareILb0ELb1EjNS0_19identity_decomposerEEEEE10hipError_tT0_T1_T2_jT3_P12ihipStream_tbPNSt15iterator_traitsISN_E10value_typeEPNST_ISO_E10value_typeEPSP_NS1_7vsmem_tEENKUlT_SN_SO_SP_E_clIPjSG_PS9_SI_EESM_S12_SN_SO_SP_EUlS12_E1_NS1_11comp_targetILNS1_3genE2ELNS1_11target_archE906ELNS1_3gpuE6ELNS1_3repE0EEENS1_36merge_oddeven_config_static_selectorELNS0_4arch9wavefront6targetE1EEEvSO_,"axG",@progbits,_ZN7rocprim17ROCPRIM_400000_NS6detail17trampoline_kernelINS0_14default_configENS1_38merge_sort_block_merge_config_selectorIjN6thrust23THRUST_200600_302600_NS5tupleIffNS6_9null_typeES8_S8_S8_S8_S8_S8_S8_EEEEZZNS1_27merge_sort_block_merge_implIS3_NS6_6detail15normal_iteratorINS6_10device_ptrIjEEEENSD_INSE_IS9_EEEEjNS1_19radix_merge_compareILb0ELb1EjNS0_19identity_decomposerEEEEE10hipError_tT0_T1_T2_jT3_P12ihipStream_tbPNSt15iterator_traitsISN_E10value_typeEPNST_ISO_E10value_typeEPSP_NS1_7vsmem_tEENKUlT_SN_SO_SP_E_clIPjSG_PS9_SI_EESM_S12_SN_SO_SP_EUlS12_E1_NS1_11comp_targetILNS1_3genE2ELNS1_11target_archE906ELNS1_3gpuE6ELNS1_3repE0EEENS1_36merge_oddeven_config_static_selectorELNS0_4arch9wavefront6targetE1EEEvSO_,comdat
.Lfunc_end112:
	.size	_ZN7rocprim17ROCPRIM_400000_NS6detail17trampoline_kernelINS0_14default_configENS1_38merge_sort_block_merge_config_selectorIjN6thrust23THRUST_200600_302600_NS5tupleIffNS6_9null_typeES8_S8_S8_S8_S8_S8_S8_EEEEZZNS1_27merge_sort_block_merge_implIS3_NS6_6detail15normal_iteratorINS6_10device_ptrIjEEEENSD_INSE_IS9_EEEEjNS1_19radix_merge_compareILb0ELb1EjNS0_19identity_decomposerEEEEE10hipError_tT0_T1_T2_jT3_P12ihipStream_tbPNSt15iterator_traitsISN_E10value_typeEPNST_ISO_E10value_typeEPSP_NS1_7vsmem_tEENKUlT_SN_SO_SP_E_clIPjSG_PS9_SI_EESM_S12_SN_SO_SP_EUlS12_E1_NS1_11comp_targetILNS1_3genE2ELNS1_11target_archE906ELNS1_3gpuE6ELNS1_3repE0EEENS1_36merge_oddeven_config_static_selectorELNS0_4arch9wavefront6targetE1EEEvSO_, .Lfunc_end112-_ZN7rocprim17ROCPRIM_400000_NS6detail17trampoline_kernelINS0_14default_configENS1_38merge_sort_block_merge_config_selectorIjN6thrust23THRUST_200600_302600_NS5tupleIffNS6_9null_typeES8_S8_S8_S8_S8_S8_S8_EEEEZZNS1_27merge_sort_block_merge_implIS3_NS6_6detail15normal_iteratorINS6_10device_ptrIjEEEENSD_INSE_IS9_EEEEjNS1_19radix_merge_compareILb0ELb1EjNS0_19identity_decomposerEEEEE10hipError_tT0_T1_T2_jT3_P12ihipStream_tbPNSt15iterator_traitsISN_E10value_typeEPNST_ISO_E10value_typeEPSP_NS1_7vsmem_tEENKUlT_SN_SO_SP_E_clIPjSG_PS9_SI_EESM_S12_SN_SO_SP_EUlS12_E1_NS1_11comp_targetILNS1_3genE2ELNS1_11target_archE906ELNS1_3gpuE6ELNS1_3repE0EEENS1_36merge_oddeven_config_static_selectorELNS0_4arch9wavefront6targetE1EEEvSO_
                                        ; -- End function
	.section	.AMDGPU.csdata,"",@progbits
; Kernel info:
; codeLenInByte = 0
; NumSgprs: 4
; NumVgprs: 0
; NumAgprs: 0
; TotalNumVgprs: 0
; ScratchSize: 0
; MemoryBound: 0
; FloatMode: 240
; IeeeMode: 1
; LDSByteSize: 0 bytes/workgroup (compile time only)
; SGPRBlocks: 0
; VGPRBlocks: 0
; NumSGPRsForWavesPerEU: 4
; NumVGPRsForWavesPerEU: 1
; AccumOffset: 4
; Occupancy: 8
; WaveLimiterHint : 0
; COMPUTE_PGM_RSRC2:SCRATCH_EN: 0
; COMPUTE_PGM_RSRC2:USER_SGPR: 6
; COMPUTE_PGM_RSRC2:TRAP_HANDLER: 0
; COMPUTE_PGM_RSRC2:TGID_X_EN: 1
; COMPUTE_PGM_RSRC2:TGID_Y_EN: 0
; COMPUTE_PGM_RSRC2:TGID_Z_EN: 0
; COMPUTE_PGM_RSRC2:TIDIG_COMP_CNT: 0
; COMPUTE_PGM_RSRC3_GFX90A:ACCUM_OFFSET: 0
; COMPUTE_PGM_RSRC3_GFX90A:TG_SPLIT: 0
	.section	.text._ZN7rocprim17ROCPRIM_400000_NS6detail17trampoline_kernelINS0_14default_configENS1_38merge_sort_block_merge_config_selectorIjN6thrust23THRUST_200600_302600_NS5tupleIffNS6_9null_typeES8_S8_S8_S8_S8_S8_S8_EEEEZZNS1_27merge_sort_block_merge_implIS3_NS6_6detail15normal_iteratorINS6_10device_ptrIjEEEENSD_INSE_IS9_EEEEjNS1_19radix_merge_compareILb0ELb1EjNS0_19identity_decomposerEEEEE10hipError_tT0_T1_T2_jT3_P12ihipStream_tbPNSt15iterator_traitsISN_E10value_typeEPNST_ISO_E10value_typeEPSP_NS1_7vsmem_tEENKUlT_SN_SO_SP_E_clIPjSG_PS9_SI_EESM_S12_SN_SO_SP_EUlS12_E1_NS1_11comp_targetILNS1_3genE9ELNS1_11target_archE1100ELNS1_3gpuE3ELNS1_3repE0EEENS1_36merge_oddeven_config_static_selectorELNS0_4arch9wavefront6targetE1EEEvSO_,"axG",@progbits,_ZN7rocprim17ROCPRIM_400000_NS6detail17trampoline_kernelINS0_14default_configENS1_38merge_sort_block_merge_config_selectorIjN6thrust23THRUST_200600_302600_NS5tupleIffNS6_9null_typeES8_S8_S8_S8_S8_S8_S8_EEEEZZNS1_27merge_sort_block_merge_implIS3_NS6_6detail15normal_iteratorINS6_10device_ptrIjEEEENSD_INSE_IS9_EEEEjNS1_19radix_merge_compareILb0ELb1EjNS0_19identity_decomposerEEEEE10hipError_tT0_T1_T2_jT3_P12ihipStream_tbPNSt15iterator_traitsISN_E10value_typeEPNST_ISO_E10value_typeEPSP_NS1_7vsmem_tEENKUlT_SN_SO_SP_E_clIPjSG_PS9_SI_EESM_S12_SN_SO_SP_EUlS12_E1_NS1_11comp_targetILNS1_3genE9ELNS1_11target_archE1100ELNS1_3gpuE3ELNS1_3repE0EEENS1_36merge_oddeven_config_static_selectorELNS0_4arch9wavefront6targetE1EEEvSO_,comdat
	.protected	_ZN7rocprim17ROCPRIM_400000_NS6detail17trampoline_kernelINS0_14default_configENS1_38merge_sort_block_merge_config_selectorIjN6thrust23THRUST_200600_302600_NS5tupleIffNS6_9null_typeES8_S8_S8_S8_S8_S8_S8_EEEEZZNS1_27merge_sort_block_merge_implIS3_NS6_6detail15normal_iteratorINS6_10device_ptrIjEEEENSD_INSE_IS9_EEEEjNS1_19radix_merge_compareILb0ELb1EjNS0_19identity_decomposerEEEEE10hipError_tT0_T1_T2_jT3_P12ihipStream_tbPNSt15iterator_traitsISN_E10value_typeEPNST_ISO_E10value_typeEPSP_NS1_7vsmem_tEENKUlT_SN_SO_SP_E_clIPjSG_PS9_SI_EESM_S12_SN_SO_SP_EUlS12_E1_NS1_11comp_targetILNS1_3genE9ELNS1_11target_archE1100ELNS1_3gpuE3ELNS1_3repE0EEENS1_36merge_oddeven_config_static_selectorELNS0_4arch9wavefront6targetE1EEEvSO_ ; -- Begin function _ZN7rocprim17ROCPRIM_400000_NS6detail17trampoline_kernelINS0_14default_configENS1_38merge_sort_block_merge_config_selectorIjN6thrust23THRUST_200600_302600_NS5tupleIffNS6_9null_typeES8_S8_S8_S8_S8_S8_S8_EEEEZZNS1_27merge_sort_block_merge_implIS3_NS6_6detail15normal_iteratorINS6_10device_ptrIjEEEENSD_INSE_IS9_EEEEjNS1_19radix_merge_compareILb0ELb1EjNS0_19identity_decomposerEEEEE10hipError_tT0_T1_T2_jT3_P12ihipStream_tbPNSt15iterator_traitsISN_E10value_typeEPNST_ISO_E10value_typeEPSP_NS1_7vsmem_tEENKUlT_SN_SO_SP_E_clIPjSG_PS9_SI_EESM_S12_SN_SO_SP_EUlS12_E1_NS1_11comp_targetILNS1_3genE9ELNS1_11target_archE1100ELNS1_3gpuE3ELNS1_3repE0EEENS1_36merge_oddeven_config_static_selectorELNS0_4arch9wavefront6targetE1EEEvSO_
	.globl	_ZN7rocprim17ROCPRIM_400000_NS6detail17trampoline_kernelINS0_14default_configENS1_38merge_sort_block_merge_config_selectorIjN6thrust23THRUST_200600_302600_NS5tupleIffNS6_9null_typeES8_S8_S8_S8_S8_S8_S8_EEEEZZNS1_27merge_sort_block_merge_implIS3_NS6_6detail15normal_iteratorINS6_10device_ptrIjEEEENSD_INSE_IS9_EEEEjNS1_19radix_merge_compareILb0ELb1EjNS0_19identity_decomposerEEEEE10hipError_tT0_T1_T2_jT3_P12ihipStream_tbPNSt15iterator_traitsISN_E10value_typeEPNST_ISO_E10value_typeEPSP_NS1_7vsmem_tEENKUlT_SN_SO_SP_E_clIPjSG_PS9_SI_EESM_S12_SN_SO_SP_EUlS12_E1_NS1_11comp_targetILNS1_3genE9ELNS1_11target_archE1100ELNS1_3gpuE3ELNS1_3repE0EEENS1_36merge_oddeven_config_static_selectorELNS0_4arch9wavefront6targetE1EEEvSO_
	.p2align	8
	.type	_ZN7rocprim17ROCPRIM_400000_NS6detail17trampoline_kernelINS0_14default_configENS1_38merge_sort_block_merge_config_selectorIjN6thrust23THRUST_200600_302600_NS5tupleIffNS6_9null_typeES8_S8_S8_S8_S8_S8_S8_EEEEZZNS1_27merge_sort_block_merge_implIS3_NS6_6detail15normal_iteratorINS6_10device_ptrIjEEEENSD_INSE_IS9_EEEEjNS1_19radix_merge_compareILb0ELb1EjNS0_19identity_decomposerEEEEE10hipError_tT0_T1_T2_jT3_P12ihipStream_tbPNSt15iterator_traitsISN_E10value_typeEPNST_ISO_E10value_typeEPSP_NS1_7vsmem_tEENKUlT_SN_SO_SP_E_clIPjSG_PS9_SI_EESM_S12_SN_SO_SP_EUlS12_E1_NS1_11comp_targetILNS1_3genE9ELNS1_11target_archE1100ELNS1_3gpuE3ELNS1_3repE0EEENS1_36merge_oddeven_config_static_selectorELNS0_4arch9wavefront6targetE1EEEvSO_,@function
_ZN7rocprim17ROCPRIM_400000_NS6detail17trampoline_kernelINS0_14default_configENS1_38merge_sort_block_merge_config_selectorIjN6thrust23THRUST_200600_302600_NS5tupleIffNS6_9null_typeES8_S8_S8_S8_S8_S8_S8_EEEEZZNS1_27merge_sort_block_merge_implIS3_NS6_6detail15normal_iteratorINS6_10device_ptrIjEEEENSD_INSE_IS9_EEEEjNS1_19radix_merge_compareILb0ELb1EjNS0_19identity_decomposerEEEEE10hipError_tT0_T1_T2_jT3_P12ihipStream_tbPNSt15iterator_traitsISN_E10value_typeEPNST_ISO_E10value_typeEPSP_NS1_7vsmem_tEENKUlT_SN_SO_SP_E_clIPjSG_PS9_SI_EESM_S12_SN_SO_SP_EUlS12_E1_NS1_11comp_targetILNS1_3genE9ELNS1_11target_archE1100ELNS1_3gpuE3ELNS1_3repE0EEENS1_36merge_oddeven_config_static_selectorELNS0_4arch9wavefront6targetE1EEEvSO_: ; @_ZN7rocprim17ROCPRIM_400000_NS6detail17trampoline_kernelINS0_14default_configENS1_38merge_sort_block_merge_config_selectorIjN6thrust23THRUST_200600_302600_NS5tupleIffNS6_9null_typeES8_S8_S8_S8_S8_S8_S8_EEEEZZNS1_27merge_sort_block_merge_implIS3_NS6_6detail15normal_iteratorINS6_10device_ptrIjEEEENSD_INSE_IS9_EEEEjNS1_19radix_merge_compareILb0ELb1EjNS0_19identity_decomposerEEEEE10hipError_tT0_T1_T2_jT3_P12ihipStream_tbPNSt15iterator_traitsISN_E10value_typeEPNST_ISO_E10value_typeEPSP_NS1_7vsmem_tEENKUlT_SN_SO_SP_E_clIPjSG_PS9_SI_EESM_S12_SN_SO_SP_EUlS12_E1_NS1_11comp_targetILNS1_3genE9ELNS1_11target_archE1100ELNS1_3gpuE3ELNS1_3repE0EEENS1_36merge_oddeven_config_static_selectorELNS0_4arch9wavefront6targetE1EEEvSO_
; %bb.0:
	.section	.rodata,"a",@progbits
	.p2align	6, 0x0
	.amdhsa_kernel _ZN7rocprim17ROCPRIM_400000_NS6detail17trampoline_kernelINS0_14default_configENS1_38merge_sort_block_merge_config_selectorIjN6thrust23THRUST_200600_302600_NS5tupleIffNS6_9null_typeES8_S8_S8_S8_S8_S8_S8_EEEEZZNS1_27merge_sort_block_merge_implIS3_NS6_6detail15normal_iteratorINS6_10device_ptrIjEEEENSD_INSE_IS9_EEEEjNS1_19radix_merge_compareILb0ELb1EjNS0_19identity_decomposerEEEEE10hipError_tT0_T1_T2_jT3_P12ihipStream_tbPNSt15iterator_traitsISN_E10value_typeEPNST_ISO_E10value_typeEPSP_NS1_7vsmem_tEENKUlT_SN_SO_SP_E_clIPjSG_PS9_SI_EESM_S12_SN_SO_SP_EUlS12_E1_NS1_11comp_targetILNS1_3genE9ELNS1_11target_archE1100ELNS1_3gpuE3ELNS1_3repE0EEENS1_36merge_oddeven_config_static_selectorELNS0_4arch9wavefront6targetE1EEEvSO_
		.amdhsa_group_segment_fixed_size 0
		.amdhsa_private_segment_fixed_size 0
		.amdhsa_kernarg_size 48
		.amdhsa_user_sgpr_count 6
		.amdhsa_user_sgpr_private_segment_buffer 1
		.amdhsa_user_sgpr_dispatch_ptr 0
		.amdhsa_user_sgpr_queue_ptr 0
		.amdhsa_user_sgpr_kernarg_segment_ptr 1
		.amdhsa_user_sgpr_dispatch_id 0
		.amdhsa_user_sgpr_flat_scratch_init 0
		.amdhsa_user_sgpr_kernarg_preload_length 0
		.amdhsa_user_sgpr_kernarg_preload_offset 0
		.amdhsa_user_sgpr_private_segment_size 0
		.amdhsa_uses_dynamic_stack 0
		.amdhsa_system_sgpr_private_segment_wavefront_offset 0
		.amdhsa_system_sgpr_workgroup_id_x 1
		.amdhsa_system_sgpr_workgroup_id_y 0
		.amdhsa_system_sgpr_workgroup_id_z 0
		.amdhsa_system_sgpr_workgroup_info 0
		.amdhsa_system_vgpr_workitem_id 0
		.amdhsa_next_free_vgpr 1
		.amdhsa_next_free_sgpr 0
		.amdhsa_accum_offset 4
		.amdhsa_reserve_vcc 0
		.amdhsa_reserve_flat_scratch 0
		.amdhsa_float_round_mode_32 0
		.amdhsa_float_round_mode_16_64 0
		.amdhsa_float_denorm_mode_32 3
		.amdhsa_float_denorm_mode_16_64 3
		.amdhsa_dx10_clamp 1
		.amdhsa_ieee_mode 1
		.amdhsa_fp16_overflow 0
		.amdhsa_tg_split 0
		.amdhsa_exception_fp_ieee_invalid_op 0
		.amdhsa_exception_fp_denorm_src 0
		.amdhsa_exception_fp_ieee_div_zero 0
		.amdhsa_exception_fp_ieee_overflow 0
		.amdhsa_exception_fp_ieee_underflow 0
		.amdhsa_exception_fp_ieee_inexact 0
		.amdhsa_exception_int_div_zero 0
	.end_amdhsa_kernel
	.section	.text._ZN7rocprim17ROCPRIM_400000_NS6detail17trampoline_kernelINS0_14default_configENS1_38merge_sort_block_merge_config_selectorIjN6thrust23THRUST_200600_302600_NS5tupleIffNS6_9null_typeES8_S8_S8_S8_S8_S8_S8_EEEEZZNS1_27merge_sort_block_merge_implIS3_NS6_6detail15normal_iteratorINS6_10device_ptrIjEEEENSD_INSE_IS9_EEEEjNS1_19radix_merge_compareILb0ELb1EjNS0_19identity_decomposerEEEEE10hipError_tT0_T1_T2_jT3_P12ihipStream_tbPNSt15iterator_traitsISN_E10value_typeEPNST_ISO_E10value_typeEPSP_NS1_7vsmem_tEENKUlT_SN_SO_SP_E_clIPjSG_PS9_SI_EESM_S12_SN_SO_SP_EUlS12_E1_NS1_11comp_targetILNS1_3genE9ELNS1_11target_archE1100ELNS1_3gpuE3ELNS1_3repE0EEENS1_36merge_oddeven_config_static_selectorELNS0_4arch9wavefront6targetE1EEEvSO_,"axG",@progbits,_ZN7rocprim17ROCPRIM_400000_NS6detail17trampoline_kernelINS0_14default_configENS1_38merge_sort_block_merge_config_selectorIjN6thrust23THRUST_200600_302600_NS5tupleIffNS6_9null_typeES8_S8_S8_S8_S8_S8_S8_EEEEZZNS1_27merge_sort_block_merge_implIS3_NS6_6detail15normal_iteratorINS6_10device_ptrIjEEEENSD_INSE_IS9_EEEEjNS1_19radix_merge_compareILb0ELb1EjNS0_19identity_decomposerEEEEE10hipError_tT0_T1_T2_jT3_P12ihipStream_tbPNSt15iterator_traitsISN_E10value_typeEPNST_ISO_E10value_typeEPSP_NS1_7vsmem_tEENKUlT_SN_SO_SP_E_clIPjSG_PS9_SI_EESM_S12_SN_SO_SP_EUlS12_E1_NS1_11comp_targetILNS1_3genE9ELNS1_11target_archE1100ELNS1_3gpuE3ELNS1_3repE0EEENS1_36merge_oddeven_config_static_selectorELNS0_4arch9wavefront6targetE1EEEvSO_,comdat
.Lfunc_end113:
	.size	_ZN7rocprim17ROCPRIM_400000_NS6detail17trampoline_kernelINS0_14default_configENS1_38merge_sort_block_merge_config_selectorIjN6thrust23THRUST_200600_302600_NS5tupleIffNS6_9null_typeES8_S8_S8_S8_S8_S8_S8_EEEEZZNS1_27merge_sort_block_merge_implIS3_NS6_6detail15normal_iteratorINS6_10device_ptrIjEEEENSD_INSE_IS9_EEEEjNS1_19radix_merge_compareILb0ELb1EjNS0_19identity_decomposerEEEEE10hipError_tT0_T1_T2_jT3_P12ihipStream_tbPNSt15iterator_traitsISN_E10value_typeEPNST_ISO_E10value_typeEPSP_NS1_7vsmem_tEENKUlT_SN_SO_SP_E_clIPjSG_PS9_SI_EESM_S12_SN_SO_SP_EUlS12_E1_NS1_11comp_targetILNS1_3genE9ELNS1_11target_archE1100ELNS1_3gpuE3ELNS1_3repE0EEENS1_36merge_oddeven_config_static_selectorELNS0_4arch9wavefront6targetE1EEEvSO_, .Lfunc_end113-_ZN7rocprim17ROCPRIM_400000_NS6detail17trampoline_kernelINS0_14default_configENS1_38merge_sort_block_merge_config_selectorIjN6thrust23THRUST_200600_302600_NS5tupleIffNS6_9null_typeES8_S8_S8_S8_S8_S8_S8_EEEEZZNS1_27merge_sort_block_merge_implIS3_NS6_6detail15normal_iteratorINS6_10device_ptrIjEEEENSD_INSE_IS9_EEEEjNS1_19radix_merge_compareILb0ELb1EjNS0_19identity_decomposerEEEEE10hipError_tT0_T1_T2_jT3_P12ihipStream_tbPNSt15iterator_traitsISN_E10value_typeEPNST_ISO_E10value_typeEPSP_NS1_7vsmem_tEENKUlT_SN_SO_SP_E_clIPjSG_PS9_SI_EESM_S12_SN_SO_SP_EUlS12_E1_NS1_11comp_targetILNS1_3genE9ELNS1_11target_archE1100ELNS1_3gpuE3ELNS1_3repE0EEENS1_36merge_oddeven_config_static_selectorELNS0_4arch9wavefront6targetE1EEEvSO_
                                        ; -- End function
	.section	.AMDGPU.csdata,"",@progbits
; Kernel info:
; codeLenInByte = 0
; NumSgprs: 4
; NumVgprs: 0
; NumAgprs: 0
; TotalNumVgprs: 0
; ScratchSize: 0
; MemoryBound: 0
; FloatMode: 240
; IeeeMode: 1
; LDSByteSize: 0 bytes/workgroup (compile time only)
; SGPRBlocks: 0
; VGPRBlocks: 0
; NumSGPRsForWavesPerEU: 4
; NumVGPRsForWavesPerEU: 1
; AccumOffset: 4
; Occupancy: 8
; WaveLimiterHint : 0
; COMPUTE_PGM_RSRC2:SCRATCH_EN: 0
; COMPUTE_PGM_RSRC2:USER_SGPR: 6
; COMPUTE_PGM_RSRC2:TRAP_HANDLER: 0
; COMPUTE_PGM_RSRC2:TGID_X_EN: 1
; COMPUTE_PGM_RSRC2:TGID_Y_EN: 0
; COMPUTE_PGM_RSRC2:TGID_Z_EN: 0
; COMPUTE_PGM_RSRC2:TIDIG_COMP_CNT: 0
; COMPUTE_PGM_RSRC3_GFX90A:ACCUM_OFFSET: 0
; COMPUTE_PGM_RSRC3_GFX90A:TG_SPLIT: 0
	.section	.text._ZN7rocprim17ROCPRIM_400000_NS6detail17trampoline_kernelINS0_14default_configENS1_38merge_sort_block_merge_config_selectorIjN6thrust23THRUST_200600_302600_NS5tupleIffNS6_9null_typeES8_S8_S8_S8_S8_S8_S8_EEEEZZNS1_27merge_sort_block_merge_implIS3_NS6_6detail15normal_iteratorINS6_10device_ptrIjEEEENSD_INSE_IS9_EEEEjNS1_19radix_merge_compareILb0ELb1EjNS0_19identity_decomposerEEEEE10hipError_tT0_T1_T2_jT3_P12ihipStream_tbPNSt15iterator_traitsISN_E10value_typeEPNST_ISO_E10value_typeEPSP_NS1_7vsmem_tEENKUlT_SN_SO_SP_E_clIPjSG_PS9_SI_EESM_S12_SN_SO_SP_EUlS12_E1_NS1_11comp_targetILNS1_3genE8ELNS1_11target_archE1030ELNS1_3gpuE2ELNS1_3repE0EEENS1_36merge_oddeven_config_static_selectorELNS0_4arch9wavefront6targetE1EEEvSO_,"axG",@progbits,_ZN7rocprim17ROCPRIM_400000_NS6detail17trampoline_kernelINS0_14default_configENS1_38merge_sort_block_merge_config_selectorIjN6thrust23THRUST_200600_302600_NS5tupleIffNS6_9null_typeES8_S8_S8_S8_S8_S8_S8_EEEEZZNS1_27merge_sort_block_merge_implIS3_NS6_6detail15normal_iteratorINS6_10device_ptrIjEEEENSD_INSE_IS9_EEEEjNS1_19radix_merge_compareILb0ELb1EjNS0_19identity_decomposerEEEEE10hipError_tT0_T1_T2_jT3_P12ihipStream_tbPNSt15iterator_traitsISN_E10value_typeEPNST_ISO_E10value_typeEPSP_NS1_7vsmem_tEENKUlT_SN_SO_SP_E_clIPjSG_PS9_SI_EESM_S12_SN_SO_SP_EUlS12_E1_NS1_11comp_targetILNS1_3genE8ELNS1_11target_archE1030ELNS1_3gpuE2ELNS1_3repE0EEENS1_36merge_oddeven_config_static_selectorELNS0_4arch9wavefront6targetE1EEEvSO_,comdat
	.protected	_ZN7rocprim17ROCPRIM_400000_NS6detail17trampoline_kernelINS0_14default_configENS1_38merge_sort_block_merge_config_selectorIjN6thrust23THRUST_200600_302600_NS5tupleIffNS6_9null_typeES8_S8_S8_S8_S8_S8_S8_EEEEZZNS1_27merge_sort_block_merge_implIS3_NS6_6detail15normal_iteratorINS6_10device_ptrIjEEEENSD_INSE_IS9_EEEEjNS1_19radix_merge_compareILb0ELb1EjNS0_19identity_decomposerEEEEE10hipError_tT0_T1_T2_jT3_P12ihipStream_tbPNSt15iterator_traitsISN_E10value_typeEPNST_ISO_E10value_typeEPSP_NS1_7vsmem_tEENKUlT_SN_SO_SP_E_clIPjSG_PS9_SI_EESM_S12_SN_SO_SP_EUlS12_E1_NS1_11comp_targetILNS1_3genE8ELNS1_11target_archE1030ELNS1_3gpuE2ELNS1_3repE0EEENS1_36merge_oddeven_config_static_selectorELNS0_4arch9wavefront6targetE1EEEvSO_ ; -- Begin function _ZN7rocprim17ROCPRIM_400000_NS6detail17trampoline_kernelINS0_14default_configENS1_38merge_sort_block_merge_config_selectorIjN6thrust23THRUST_200600_302600_NS5tupleIffNS6_9null_typeES8_S8_S8_S8_S8_S8_S8_EEEEZZNS1_27merge_sort_block_merge_implIS3_NS6_6detail15normal_iteratorINS6_10device_ptrIjEEEENSD_INSE_IS9_EEEEjNS1_19radix_merge_compareILb0ELb1EjNS0_19identity_decomposerEEEEE10hipError_tT0_T1_T2_jT3_P12ihipStream_tbPNSt15iterator_traitsISN_E10value_typeEPNST_ISO_E10value_typeEPSP_NS1_7vsmem_tEENKUlT_SN_SO_SP_E_clIPjSG_PS9_SI_EESM_S12_SN_SO_SP_EUlS12_E1_NS1_11comp_targetILNS1_3genE8ELNS1_11target_archE1030ELNS1_3gpuE2ELNS1_3repE0EEENS1_36merge_oddeven_config_static_selectorELNS0_4arch9wavefront6targetE1EEEvSO_
	.globl	_ZN7rocprim17ROCPRIM_400000_NS6detail17trampoline_kernelINS0_14default_configENS1_38merge_sort_block_merge_config_selectorIjN6thrust23THRUST_200600_302600_NS5tupleIffNS6_9null_typeES8_S8_S8_S8_S8_S8_S8_EEEEZZNS1_27merge_sort_block_merge_implIS3_NS6_6detail15normal_iteratorINS6_10device_ptrIjEEEENSD_INSE_IS9_EEEEjNS1_19radix_merge_compareILb0ELb1EjNS0_19identity_decomposerEEEEE10hipError_tT0_T1_T2_jT3_P12ihipStream_tbPNSt15iterator_traitsISN_E10value_typeEPNST_ISO_E10value_typeEPSP_NS1_7vsmem_tEENKUlT_SN_SO_SP_E_clIPjSG_PS9_SI_EESM_S12_SN_SO_SP_EUlS12_E1_NS1_11comp_targetILNS1_3genE8ELNS1_11target_archE1030ELNS1_3gpuE2ELNS1_3repE0EEENS1_36merge_oddeven_config_static_selectorELNS0_4arch9wavefront6targetE1EEEvSO_
	.p2align	8
	.type	_ZN7rocprim17ROCPRIM_400000_NS6detail17trampoline_kernelINS0_14default_configENS1_38merge_sort_block_merge_config_selectorIjN6thrust23THRUST_200600_302600_NS5tupleIffNS6_9null_typeES8_S8_S8_S8_S8_S8_S8_EEEEZZNS1_27merge_sort_block_merge_implIS3_NS6_6detail15normal_iteratorINS6_10device_ptrIjEEEENSD_INSE_IS9_EEEEjNS1_19radix_merge_compareILb0ELb1EjNS0_19identity_decomposerEEEEE10hipError_tT0_T1_T2_jT3_P12ihipStream_tbPNSt15iterator_traitsISN_E10value_typeEPNST_ISO_E10value_typeEPSP_NS1_7vsmem_tEENKUlT_SN_SO_SP_E_clIPjSG_PS9_SI_EESM_S12_SN_SO_SP_EUlS12_E1_NS1_11comp_targetILNS1_3genE8ELNS1_11target_archE1030ELNS1_3gpuE2ELNS1_3repE0EEENS1_36merge_oddeven_config_static_selectorELNS0_4arch9wavefront6targetE1EEEvSO_,@function
_ZN7rocprim17ROCPRIM_400000_NS6detail17trampoline_kernelINS0_14default_configENS1_38merge_sort_block_merge_config_selectorIjN6thrust23THRUST_200600_302600_NS5tupleIffNS6_9null_typeES8_S8_S8_S8_S8_S8_S8_EEEEZZNS1_27merge_sort_block_merge_implIS3_NS6_6detail15normal_iteratorINS6_10device_ptrIjEEEENSD_INSE_IS9_EEEEjNS1_19radix_merge_compareILb0ELb1EjNS0_19identity_decomposerEEEEE10hipError_tT0_T1_T2_jT3_P12ihipStream_tbPNSt15iterator_traitsISN_E10value_typeEPNST_ISO_E10value_typeEPSP_NS1_7vsmem_tEENKUlT_SN_SO_SP_E_clIPjSG_PS9_SI_EESM_S12_SN_SO_SP_EUlS12_E1_NS1_11comp_targetILNS1_3genE8ELNS1_11target_archE1030ELNS1_3gpuE2ELNS1_3repE0EEENS1_36merge_oddeven_config_static_selectorELNS0_4arch9wavefront6targetE1EEEvSO_: ; @_ZN7rocprim17ROCPRIM_400000_NS6detail17trampoline_kernelINS0_14default_configENS1_38merge_sort_block_merge_config_selectorIjN6thrust23THRUST_200600_302600_NS5tupleIffNS6_9null_typeES8_S8_S8_S8_S8_S8_S8_EEEEZZNS1_27merge_sort_block_merge_implIS3_NS6_6detail15normal_iteratorINS6_10device_ptrIjEEEENSD_INSE_IS9_EEEEjNS1_19radix_merge_compareILb0ELb1EjNS0_19identity_decomposerEEEEE10hipError_tT0_T1_T2_jT3_P12ihipStream_tbPNSt15iterator_traitsISN_E10value_typeEPNST_ISO_E10value_typeEPSP_NS1_7vsmem_tEENKUlT_SN_SO_SP_E_clIPjSG_PS9_SI_EESM_S12_SN_SO_SP_EUlS12_E1_NS1_11comp_targetILNS1_3genE8ELNS1_11target_archE1030ELNS1_3gpuE2ELNS1_3repE0EEENS1_36merge_oddeven_config_static_selectorELNS0_4arch9wavefront6targetE1EEEvSO_
; %bb.0:
	.section	.rodata,"a",@progbits
	.p2align	6, 0x0
	.amdhsa_kernel _ZN7rocprim17ROCPRIM_400000_NS6detail17trampoline_kernelINS0_14default_configENS1_38merge_sort_block_merge_config_selectorIjN6thrust23THRUST_200600_302600_NS5tupleIffNS6_9null_typeES8_S8_S8_S8_S8_S8_S8_EEEEZZNS1_27merge_sort_block_merge_implIS3_NS6_6detail15normal_iteratorINS6_10device_ptrIjEEEENSD_INSE_IS9_EEEEjNS1_19radix_merge_compareILb0ELb1EjNS0_19identity_decomposerEEEEE10hipError_tT0_T1_T2_jT3_P12ihipStream_tbPNSt15iterator_traitsISN_E10value_typeEPNST_ISO_E10value_typeEPSP_NS1_7vsmem_tEENKUlT_SN_SO_SP_E_clIPjSG_PS9_SI_EESM_S12_SN_SO_SP_EUlS12_E1_NS1_11comp_targetILNS1_3genE8ELNS1_11target_archE1030ELNS1_3gpuE2ELNS1_3repE0EEENS1_36merge_oddeven_config_static_selectorELNS0_4arch9wavefront6targetE1EEEvSO_
		.amdhsa_group_segment_fixed_size 0
		.amdhsa_private_segment_fixed_size 0
		.amdhsa_kernarg_size 48
		.amdhsa_user_sgpr_count 6
		.amdhsa_user_sgpr_private_segment_buffer 1
		.amdhsa_user_sgpr_dispatch_ptr 0
		.amdhsa_user_sgpr_queue_ptr 0
		.amdhsa_user_sgpr_kernarg_segment_ptr 1
		.amdhsa_user_sgpr_dispatch_id 0
		.amdhsa_user_sgpr_flat_scratch_init 0
		.amdhsa_user_sgpr_kernarg_preload_length 0
		.amdhsa_user_sgpr_kernarg_preload_offset 0
		.amdhsa_user_sgpr_private_segment_size 0
		.amdhsa_uses_dynamic_stack 0
		.amdhsa_system_sgpr_private_segment_wavefront_offset 0
		.amdhsa_system_sgpr_workgroup_id_x 1
		.amdhsa_system_sgpr_workgroup_id_y 0
		.amdhsa_system_sgpr_workgroup_id_z 0
		.amdhsa_system_sgpr_workgroup_info 0
		.amdhsa_system_vgpr_workitem_id 0
		.amdhsa_next_free_vgpr 1
		.amdhsa_next_free_sgpr 0
		.amdhsa_accum_offset 4
		.amdhsa_reserve_vcc 0
		.amdhsa_reserve_flat_scratch 0
		.amdhsa_float_round_mode_32 0
		.amdhsa_float_round_mode_16_64 0
		.amdhsa_float_denorm_mode_32 3
		.amdhsa_float_denorm_mode_16_64 3
		.amdhsa_dx10_clamp 1
		.amdhsa_ieee_mode 1
		.amdhsa_fp16_overflow 0
		.amdhsa_tg_split 0
		.amdhsa_exception_fp_ieee_invalid_op 0
		.amdhsa_exception_fp_denorm_src 0
		.amdhsa_exception_fp_ieee_div_zero 0
		.amdhsa_exception_fp_ieee_overflow 0
		.amdhsa_exception_fp_ieee_underflow 0
		.amdhsa_exception_fp_ieee_inexact 0
		.amdhsa_exception_int_div_zero 0
	.end_amdhsa_kernel
	.section	.text._ZN7rocprim17ROCPRIM_400000_NS6detail17trampoline_kernelINS0_14default_configENS1_38merge_sort_block_merge_config_selectorIjN6thrust23THRUST_200600_302600_NS5tupleIffNS6_9null_typeES8_S8_S8_S8_S8_S8_S8_EEEEZZNS1_27merge_sort_block_merge_implIS3_NS6_6detail15normal_iteratorINS6_10device_ptrIjEEEENSD_INSE_IS9_EEEEjNS1_19radix_merge_compareILb0ELb1EjNS0_19identity_decomposerEEEEE10hipError_tT0_T1_T2_jT3_P12ihipStream_tbPNSt15iterator_traitsISN_E10value_typeEPNST_ISO_E10value_typeEPSP_NS1_7vsmem_tEENKUlT_SN_SO_SP_E_clIPjSG_PS9_SI_EESM_S12_SN_SO_SP_EUlS12_E1_NS1_11comp_targetILNS1_3genE8ELNS1_11target_archE1030ELNS1_3gpuE2ELNS1_3repE0EEENS1_36merge_oddeven_config_static_selectorELNS0_4arch9wavefront6targetE1EEEvSO_,"axG",@progbits,_ZN7rocprim17ROCPRIM_400000_NS6detail17trampoline_kernelINS0_14default_configENS1_38merge_sort_block_merge_config_selectorIjN6thrust23THRUST_200600_302600_NS5tupleIffNS6_9null_typeES8_S8_S8_S8_S8_S8_S8_EEEEZZNS1_27merge_sort_block_merge_implIS3_NS6_6detail15normal_iteratorINS6_10device_ptrIjEEEENSD_INSE_IS9_EEEEjNS1_19radix_merge_compareILb0ELb1EjNS0_19identity_decomposerEEEEE10hipError_tT0_T1_T2_jT3_P12ihipStream_tbPNSt15iterator_traitsISN_E10value_typeEPNST_ISO_E10value_typeEPSP_NS1_7vsmem_tEENKUlT_SN_SO_SP_E_clIPjSG_PS9_SI_EESM_S12_SN_SO_SP_EUlS12_E1_NS1_11comp_targetILNS1_3genE8ELNS1_11target_archE1030ELNS1_3gpuE2ELNS1_3repE0EEENS1_36merge_oddeven_config_static_selectorELNS0_4arch9wavefront6targetE1EEEvSO_,comdat
.Lfunc_end114:
	.size	_ZN7rocprim17ROCPRIM_400000_NS6detail17trampoline_kernelINS0_14default_configENS1_38merge_sort_block_merge_config_selectorIjN6thrust23THRUST_200600_302600_NS5tupleIffNS6_9null_typeES8_S8_S8_S8_S8_S8_S8_EEEEZZNS1_27merge_sort_block_merge_implIS3_NS6_6detail15normal_iteratorINS6_10device_ptrIjEEEENSD_INSE_IS9_EEEEjNS1_19radix_merge_compareILb0ELb1EjNS0_19identity_decomposerEEEEE10hipError_tT0_T1_T2_jT3_P12ihipStream_tbPNSt15iterator_traitsISN_E10value_typeEPNST_ISO_E10value_typeEPSP_NS1_7vsmem_tEENKUlT_SN_SO_SP_E_clIPjSG_PS9_SI_EESM_S12_SN_SO_SP_EUlS12_E1_NS1_11comp_targetILNS1_3genE8ELNS1_11target_archE1030ELNS1_3gpuE2ELNS1_3repE0EEENS1_36merge_oddeven_config_static_selectorELNS0_4arch9wavefront6targetE1EEEvSO_, .Lfunc_end114-_ZN7rocprim17ROCPRIM_400000_NS6detail17trampoline_kernelINS0_14default_configENS1_38merge_sort_block_merge_config_selectorIjN6thrust23THRUST_200600_302600_NS5tupleIffNS6_9null_typeES8_S8_S8_S8_S8_S8_S8_EEEEZZNS1_27merge_sort_block_merge_implIS3_NS6_6detail15normal_iteratorINS6_10device_ptrIjEEEENSD_INSE_IS9_EEEEjNS1_19radix_merge_compareILb0ELb1EjNS0_19identity_decomposerEEEEE10hipError_tT0_T1_T2_jT3_P12ihipStream_tbPNSt15iterator_traitsISN_E10value_typeEPNST_ISO_E10value_typeEPSP_NS1_7vsmem_tEENKUlT_SN_SO_SP_E_clIPjSG_PS9_SI_EESM_S12_SN_SO_SP_EUlS12_E1_NS1_11comp_targetILNS1_3genE8ELNS1_11target_archE1030ELNS1_3gpuE2ELNS1_3repE0EEENS1_36merge_oddeven_config_static_selectorELNS0_4arch9wavefront6targetE1EEEvSO_
                                        ; -- End function
	.section	.AMDGPU.csdata,"",@progbits
; Kernel info:
; codeLenInByte = 0
; NumSgprs: 4
; NumVgprs: 0
; NumAgprs: 0
; TotalNumVgprs: 0
; ScratchSize: 0
; MemoryBound: 0
; FloatMode: 240
; IeeeMode: 1
; LDSByteSize: 0 bytes/workgroup (compile time only)
; SGPRBlocks: 0
; VGPRBlocks: 0
; NumSGPRsForWavesPerEU: 4
; NumVGPRsForWavesPerEU: 1
; AccumOffset: 4
; Occupancy: 8
; WaveLimiterHint : 0
; COMPUTE_PGM_RSRC2:SCRATCH_EN: 0
; COMPUTE_PGM_RSRC2:USER_SGPR: 6
; COMPUTE_PGM_RSRC2:TRAP_HANDLER: 0
; COMPUTE_PGM_RSRC2:TGID_X_EN: 1
; COMPUTE_PGM_RSRC2:TGID_Y_EN: 0
; COMPUTE_PGM_RSRC2:TGID_Z_EN: 0
; COMPUTE_PGM_RSRC2:TIDIG_COMP_CNT: 0
; COMPUTE_PGM_RSRC3_GFX90A:ACCUM_OFFSET: 0
; COMPUTE_PGM_RSRC3_GFX90A:TG_SPLIT: 0
	.section	.text._ZN7rocprim17ROCPRIM_400000_NS6detail17trampoline_kernelINS0_14default_configENS1_38merge_sort_block_merge_config_selectorIjN6thrust23THRUST_200600_302600_NS5tupleIffNS6_9null_typeES8_S8_S8_S8_S8_S8_S8_EEEEZZNS1_27merge_sort_block_merge_implIS3_NS6_6detail15normal_iteratorINS6_10device_ptrIjEEEENSD_INSE_IS9_EEEEjNS1_19radix_merge_compareILb0ELb1EjNS0_19identity_decomposerEEEEE10hipError_tT0_T1_T2_jT3_P12ihipStream_tbPNSt15iterator_traitsISN_E10value_typeEPNST_ISO_E10value_typeEPSP_NS1_7vsmem_tEENKUlT_SN_SO_SP_E_clISG_PjSI_PS9_EESM_S12_SN_SO_SP_EUlS12_E_NS1_11comp_targetILNS1_3genE0ELNS1_11target_archE4294967295ELNS1_3gpuE0ELNS1_3repE0EEENS1_48merge_mergepath_partition_config_static_selectorELNS0_4arch9wavefront6targetE1EEEvSO_,"axG",@progbits,_ZN7rocprim17ROCPRIM_400000_NS6detail17trampoline_kernelINS0_14default_configENS1_38merge_sort_block_merge_config_selectorIjN6thrust23THRUST_200600_302600_NS5tupleIffNS6_9null_typeES8_S8_S8_S8_S8_S8_S8_EEEEZZNS1_27merge_sort_block_merge_implIS3_NS6_6detail15normal_iteratorINS6_10device_ptrIjEEEENSD_INSE_IS9_EEEEjNS1_19radix_merge_compareILb0ELb1EjNS0_19identity_decomposerEEEEE10hipError_tT0_T1_T2_jT3_P12ihipStream_tbPNSt15iterator_traitsISN_E10value_typeEPNST_ISO_E10value_typeEPSP_NS1_7vsmem_tEENKUlT_SN_SO_SP_E_clISG_PjSI_PS9_EESM_S12_SN_SO_SP_EUlS12_E_NS1_11comp_targetILNS1_3genE0ELNS1_11target_archE4294967295ELNS1_3gpuE0ELNS1_3repE0EEENS1_48merge_mergepath_partition_config_static_selectorELNS0_4arch9wavefront6targetE1EEEvSO_,comdat
	.protected	_ZN7rocprim17ROCPRIM_400000_NS6detail17trampoline_kernelINS0_14default_configENS1_38merge_sort_block_merge_config_selectorIjN6thrust23THRUST_200600_302600_NS5tupleIffNS6_9null_typeES8_S8_S8_S8_S8_S8_S8_EEEEZZNS1_27merge_sort_block_merge_implIS3_NS6_6detail15normal_iteratorINS6_10device_ptrIjEEEENSD_INSE_IS9_EEEEjNS1_19radix_merge_compareILb0ELb1EjNS0_19identity_decomposerEEEEE10hipError_tT0_T1_T2_jT3_P12ihipStream_tbPNSt15iterator_traitsISN_E10value_typeEPNST_ISO_E10value_typeEPSP_NS1_7vsmem_tEENKUlT_SN_SO_SP_E_clISG_PjSI_PS9_EESM_S12_SN_SO_SP_EUlS12_E_NS1_11comp_targetILNS1_3genE0ELNS1_11target_archE4294967295ELNS1_3gpuE0ELNS1_3repE0EEENS1_48merge_mergepath_partition_config_static_selectorELNS0_4arch9wavefront6targetE1EEEvSO_ ; -- Begin function _ZN7rocprim17ROCPRIM_400000_NS6detail17trampoline_kernelINS0_14default_configENS1_38merge_sort_block_merge_config_selectorIjN6thrust23THRUST_200600_302600_NS5tupleIffNS6_9null_typeES8_S8_S8_S8_S8_S8_S8_EEEEZZNS1_27merge_sort_block_merge_implIS3_NS6_6detail15normal_iteratorINS6_10device_ptrIjEEEENSD_INSE_IS9_EEEEjNS1_19radix_merge_compareILb0ELb1EjNS0_19identity_decomposerEEEEE10hipError_tT0_T1_T2_jT3_P12ihipStream_tbPNSt15iterator_traitsISN_E10value_typeEPNST_ISO_E10value_typeEPSP_NS1_7vsmem_tEENKUlT_SN_SO_SP_E_clISG_PjSI_PS9_EESM_S12_SN_SO_SP_EUlS12_E_NS1_11comp_targetILNS1_3genE0ELNS1_11target_archE4294967295ELNS1_3gpuE0ELNS1_3repE0EEENS1_48merge_mergepath_partition_config_static_selectorELNS0_4arch9wavefront6targetE1EEEvSO_
	.globl	_ZN7rocprim17ROCPRIM_400000_NS6detail17trampoline_kernelINS0_14default_configENS1_38merge_sort_block_merge_config_selectorIjN6thrust23THRUST_200600_302600_NS5tupleIffNS6_9null_typeES8_S8_S8_S8_S8_S8_S8_EEEEZZNS1_27merge_sort_block_merge_implIS3_NS6_6detail15normal_iteratorINS6_10device_ptrIjEEEENSD_INSE_IS9_EEEEjNS1_19radix_merge_compareILb0ELb1EjNS0_19identity_decomposerEEEEE10hipError_tT0_T1_T2_jT3_P12ihipStream_tbPNSt15iterator_traitsISN_E10value_typeEPNST_ISO_E10value_typeEPSP_NS1_7vsmem_tEENKUlT_SN_SO_SP_E_clISG_PjSI_PS9_EESM_S12_SN_SO_SP_EUlS12_E_NS1_11comp_targetILNS1_3genE0ELNS1_11target_archE4294967295ELNS1_3gpuE0ELNS1_3repE0EEENS1_48merge_mergepath_partition_config_static_selectorELNS0_4arch9wavefront6targetE1EEEvSO_
	.p2align	8
	.type	_ZN7rocprim17ROCPRIM_400000_NS6detail17trampoline_kernelINS0_14default_configENS1_38merge_sort_block_merge_config_selectorIjN6thrust23THRUST_200600_302600_NS5tupleIffNS6_9null_typeES8_S8_S8_S8_S8_S8_S8_EEEEZZNS1_27merge_sort_block_merge_implIS3_NS6_6detail15normal_iteratorINS6_10device_ptrIjEEEENSD_INSE_IS9_EEEEjNS1_19radix_merge_compareILb0ELb1EjNS0_19identity_decomposerEEEEE10hipError_tT0_T1_T2_jT3_P12ihipStream_tbPNSt15iterator_traitsISN_E10value_typeEPNST_ISO_E10value_typeEPSP_NS1_7vsmem_tEENKUlT_SN_SO_SP_E_clISG_PjSI_PS9_EESM_S12_SN_SO_SP_EUlS12_E_NS1_11comp_targetILNS1_3genE0ELNS1_11target_archE4294967295ELNS1_3gpuE0ELNS1_3repE0EEENS1_48merge_mergepath_partition_config_static_selectorELNS0_4arch9wavefront6targetE1EEEvSO_,@function
_ZN7rocprim17ROCPRIM_400000_NS6detail17trampoline_kernelINS0_14default_configENS1_38merge_sort_block_merge_config_selectorIjN6thrust23THRUST_200600_302600_NS5tupleIffNS6_9null_typeES8_S8_S8_S8_S8_S8_S8_EEEEZZNS1_27merge_sort_block_merge_implIS3_NS6_6detail15normal_iteratorINS6_10device_ptrIjEEEENSD_INSE_IS9_EEEEjNS1_19radix_merge_compareILb0ELb1EjNS0_19identity_decomposerEEEEE10hipError_tT0_T1_T2_jT3_P12ihipStream_tbPNSt15iterator_traitsISN_E10value_typeEPNST_ISO_E10value_typeEPSP_NS1_7vsmem_tEENKUlT_SN_SO_SP_E_clISG_PjSI_PS9_EESM_S12_SN_SO_SP_EUlS12_E_NS1_11comp_targetILNS1_3genE0ELNS1_11target_archE4294967295ELNS1_3gpuE0ELNS1_3repE0EEENS1_48merge_mergepath_partition_config_static_selectorELNS0_4arch9wavefront6targetE1EEEvSO_: ; @_ZN7rocprim17ROCPRIM_400000_NS6detail17trampoline_kernelINS0_14default_configENS1_38merge_sort_block_merge_config_selectorIjN6thrust23THRUST_200600_302600_NS5tupleIffNS6_9null_typeES8_S8_S8_S8_S8_S8_S8_EEEEZZNS1_27merge_sort_block_merge_implIS3_NS6_6detail15normal_iteratorINS6_10device_ptrIjEEEENSD_INSE_IS9_EEEEjNS1_19radix_merge_compareILb0ELb1EjNS0_19identity_decomposerEEEEE10hipError_tT0_T1_T2_jT3_P12ihipStream_tbPNSt15iterator_traitsISN_E10value_typeEPNST_ISO_E10value_typeEPSP_NS1_7vsmem_tEENKUlT_SN_SO_SP_E_clISG_PjSI_PS9_EESM_S12_SN_SO_SP_EUlS12_E_NS1_11comp_targetILNS1_3genE0ELNS1_11target_archE4294967295ELNS1_3gpuE0ELNS1_3repE0EEENS1_48merge_mergepath_partition_config_static_selectorELNS0_4arch9wavefront6targetE1EEEvSO_
; %bb.0:
	.section	.rodata,"a",@progbits
	.p2align	6, 0x0
	.amdhsa_kernel _ZN7rocprim17ROCPRIM_400000_NS6detail17trampoline_kernelINS0_14default_configENS1_38merge_sort_block_merge_config_selectorIjN6thrust23THRUST_200600_302600_NS5tupleIffNS6_9null_typeES8_S8_S8_S8_S8_S8_S8_EEEEZZNS1_27merge_sort_block_merge_implIS3_NS6_6detail15normal_iteratorINS6_10device_ptrIjEEEENSD_INSE_IS9_EEEEjNS1_19radix_merge_compareILb0ELb1EjNS0_19identity_decomposerEEEEE10hipError_tT0_T1_T2_jT3_P12ihipStream_tbPNSt15iterator_traitsISN_E10value_typeEPNST_ISO_E10value_typeEPSP_NS1_7vsmem_tEENKUlT_SN_SO_SP_E_clISG_PjSI_PS9_EESM_S12_SN_SO_SP_EUlS12_E_NS1_11comp_targetILNS1_3genE0ELNS1_11target_archE4294967295ELNS1_3gpuE0ELNS1_3repE0EEENS1_48merge_mergepath_partition_config_static_selectorELNS0_4arch9wavefront6targetE1EEEvSO_
		.amdhsa_group_segment_fixed_size 0
		.amdhsa_private_segment_fixed_size 0
		.amdhsa_kernarg_size 40
		.amdhsa_user_sgpr_count 6
		.amdhsa_user_sgpr_private_segment_buffer 1
		.amdhsa_user_sgpr_dispatch_ptr 0
		.amdhsa_user_sgpr_queue_ptr 0
		.amdhsa_user_sgpr_kernarg_segment_ptr 1
		.amdhsa_user_sgpr_dispatch_id 0
		.amdhsa_user_sgpr_flat_scratch_init 0
		.amdhsa_user_sgpr_kernarg_preload_length 0
		.amdhsa_user_sgpr_kernarg_preload_offset 0
		.amdhsa_user_sgpr_private_segment_size 0
		.amdhsa_uses_dynamic_stack 0
		.amdhsa_system_sgpr_private_segment_wavefront_offset 0
		.amdhsa_system_sgpr_workgroup_id_x 1
		.amdhsa_system_sgpr_workgroup_id_y 0
		.amdhsa_system_sgpr_workgroup_id_z 0
		.amdhsa_system_sgpr_workgroup_info 0
		.amdhsa_system_vgpr_workitem_id 0
		.amdhsa_next_free_vgpr 1
		.amdhsa_next_free_sgpr 0
		.amdhsa_accum_offset 4
		.amdhsa_reserve_vcc 0
		.amdhsa_reserve_flat_scratch 0
		.amdhsa_float_round_mode_32 0
		.amdhsa_float_round_mode_16_64 0
		.amdhsa_float_denorm_mode_32 3
		.amdhsa_float_denorm_mode_16_64 3
		.amdhsa_dx10_clamp 1
		.amdhsa_ieee_mode 1
		.amdhsa_fp16_overflow 0
		.amdhsa_tg_split 0
		.amdhsa_exception_fp_ieee_invalid_op 0
		.amdhsa_exception_fp_denorm_src 0
		.amdhsa_exception_fp_ieee_div_zero 0
		.amdhsa_exception_fp_ieee_overflow 0
		.amdhsa_exception_fp_ieee_underflow 0
		.amdhsa_exception_fp_ieee_inexact 0
		.amdhsa_exception_int_div_zero 0
	.end_amdhsa_kernel
	.section	.text._ZN7rocprim17ROCPRIM_400000_NS6detail17trampoline_kernelINS0_14default_configENS1_38merge_sort_block_merge_config_selectorIjN6thrust23THRUST_200600_302600_NS5tupleIffNS6_9null_typeES8_S8_S8_S8_S8_S8_S8_EEEEZZNS1_27merge_sort_block_merge_implIS3_NS6_6detail15normal_iteratorINS6_10device_ptrIjEEEENSD_INSE_IS9_EEEEjNS1_19radix_merge_compareILb0ELb1EjNS0_19identity_decomposerEEEEE10hipError_tT0_T1_T2_jT3_P12ihipStream_tbPNSt15iterator_traitsISN_E10value_typeEPNST_ISO_E10value_typeEPSP_NS1_7vsmem_tEENKUlT_SN_SO_SP_E_clISG_PjSI_PS9_EESM_S12_SN_SO_SP_EUlS12_E_NS1_11comp_targetILNS1_3genE0ELNS1_11target_archE4294967295ELNS1_3gpuE0ELNS1_3repE0EEENS1_48merge_mergepath_partition_config_static_selectorELNS0_4arch9wavefront6targetE1EEEvSO_,"axG",@progbits,_ZN7rocprim17ROCPRIM_400000_NS6detail17trampoline_kernelINS0_14default_configENS1_38merge_sort_block_merge_config_selectorIjN6thrust23THRUST_200600_302600_NS5tupleIffNS6_9null_typeES8_S8_S8_S8_S8_S8_S8_EEEEZZNS1_27merge_sort_block_merge_implIS3_NS6_6detail15normal_iteratorINS6_10device_ptrIjEEEENSD_INSE_IS9_EEEEjNS1_19radix_merge_compareILb0ELb1EjNS0_19identity_decomposerEEEEE10hipError_tT0_T1_T2_jT3_P12ihipStream_tbPNSt15iterator_traitsISN_E10value_typeEPNST_ISO_E10value_typeEPSP_NS1_7vsmem_tEENKUlT_SN_SO_SP_E_clISG_PjSI_PS9_EESM_S12_SN_SO_SP_EUlS12_E_NS1_11comp_targetILNS1_3genE0ELNS1_11target_archE4294967295ELNS1_3gpuE0ELNS1_3repE0EEENS1_48merge_mergepath_partition_config_static_selectorELNS0_4arch9wavefront6targetE1EEEvSO_,comdat
.Lfunc_end115:
	.size	_ZN7rocprim17ROCPRIM_400000_NS6detail17trampoline_kernelINS0_14default_configENS1_38merge_sort_block_merge_config_selectorIjN6thrust23THRUST_200600_302600_NS5tupleIffNS6_9null_typeES8_S8_S8_S8_S8_S8_S8_EEEEZZNS1_27merge_sort_block_merge_implIS3_NS6_6detail15normal_iteratorINS6_10device_ptrIjEEEENSD_INSE_IS9_EEEEjNS1_19radix_merge_compareILb0ELb1EjNS0_19identity_decomposerEEEEE10hipError_tT0_T1_T2_jT3_P12ihipStream_tbPNSt15iterator_traitsISN_E10value_typeEPNST_ISO_E10value_typeEPSP_NS1_7vsmem_tEENKUlT_SN_SO_SP_E_clISG_PjSI_PS9_EESM_S12_SN_SO_SP_EUlS12_E_NS1_11comp_targetILNS1_3genE0ELNS1_11target_archE4294967295ELNS1_3gpuE0ELNS1_3repE0EEENS1_48merge_mergepath_partition_config_static_selectorELNS0_4arch9wavefront6targetE1EEEvSO_, .Lfunc_end115-_ZN7rocprim17ROCPRIM_400000_NS6detail17trampoline_kernelINS0_14default_configENS1_38merge_sort_block_merge_config_selectorIjN6thrust23THRUST_200600_302600_NS5tupleIffNS6_9null_typeES8_S8_S8_S8_S8_S8_S8_EEEEZZNS1_27merge_sort_block_merge_implIS3_NS6_6detail15normal_iteratorINS6_10device_ptrIjEEEENSD_INSE_IS9_EEEEjNS1_19radix_merge_compareILb0ELb1EjNS0_19identity_decomposerEEEEE10hipError_tT0_T1_T2_jT3_P12ihipStream_tbPNSt15iterator_traitsISN_E10value_typeEPNST_ISO_E10value_typeEPSP_NS1_7vsmem_tEENKUlT_SN_SO_SP_E_clISG_PjSI_PS9_EESM_S12_SN_SO_SP_EUlS12_E_NS1_11comp_targetILNS1_3genE0ELNS1_11target_archE4294967295ELNS1_3gpuE0ELNS1_3repE0EEENS1_48merge_mergepath_partition_config_static_selectorELNS0_4arch9wavefront6targetE1EEEvSO_
                                        ; -- End function
	.section	.AMDGPU.csdata,"",@progbits
; Kernel info:
; codeLenInByte = 0
; NumSgprs: 4
; NumVgprs: 0
; NumAgprs: 0
; TotalNumVgprs: 0
; ScratchSize: 0
; MemoryBound: 0
; FloatMode: 240
; IeeeMode: 1
; LDSByteSize: 0 bytes/workgroup (compile time only)
; SGPRBlocks: 0
; VGPRBlocks: 0
; NumSGPRsForWavesPerEU: 4
; NumVGPRsForWavesPerEU: 1
; AccumOffset: 4
; Occupancy: 8
; WaveLimiterHint : 0
; COMPUTE_PGM_RSRC2:SCRATCH_EN: 0
; COMPUTE_PGM_RSRC2:USER_SGPR: 6
; COMPUTE_PGM_RSRC2:TRAP_HANDLER: 0
; COMPUTE_PGM_RSRC2:TGID_X_EN: 1
; COMPUTE_PGM_RSRC2:TGID_Y_EN: 0
; COMPUTE_PGM_RSRC2:TGID_Z_EN: 0
; COMPUTE_PGM_RSRC2:TIDIG_COMP_CNT: 0
; COMPUTE_PGM_RSRC3_GFX90A:ACCUM_OFFSET: 0
; COMPUTE_PGM_RSRC3_GFX90A:TG_SPLIT: 0
	.section	.text._ZN7rocprim17ROCPRIM_400000_NS6detail17trampoline_kernelINS0_14default_configENS1_38merge_sort_block_merge_config_selectorIjN6thrust23THRUST_200600_302600_NS5tupleIffNS6_9null_typeES8_S8_S8_S8_S8_S8_S8_EEEEZZNS1_27merge_sort_block_merge_implIS3_NS6_6detail15normal_iteratorINS6_10device_ptrIjEEEENSD_INSE_IS9_EEEEjNS1_19radix_merge_compareILb0ELb1EjNS0_19identity_decomposerEEEEE10hipError_tT0_T1_T2_jT3_P12ihipStream_tbPNSt15iterator_traitsISN_E10value_typeEPNST_ISO_E10value_typeEPSP_NS1_7vsmem_tEENKUlT_SN_SO_SP_E_clISG_PjSI_PS9_EESM_S12_SN_SO_SP_EUlS12_E_NS1_11comp_targetILNS1_3genE10ELNS1_11target_archE1201ELNS1_3gpuE5ELNS1_3repE0EEENS1_48merge_mergepath_partition_config_static_selectorELNS0_4arch9wavefront6targetE1EEEvSO_,"axG",@progbits,_ZN7rocprim17ROCPRIM_400000_NS6detail17trampoline_kernelINS0_14default_configENS1_38merge_sort_block_merge_config_selectorIjN6thrust23THRUST_200600_302600_NS5tupleIffNS6_9null_typeES8_S8_S8_S8_S8_S8_S8_EEEEZZNS1_27merge_sort_block_merge_implIS3_NS6_6detail15normal_iteratorINS6_10device_ptrIjEEEENSD_INSE_IS9_EEEEjNS1_19radix_merge_compareILb0ELb1EjNS0_19identity_decomposerEEEEE10hipError_tT0_T1_T2_jT3_P12ihipStream_tbPNSt15iterator_traitsISN_E10value_typeEPNST_ISO_E10value_typeEPSP_NS1_7vsmem_tEENKUlT_SN_SO_SP_E_clISG_PjSI_PS9_EESM_S12_SN_SO_SP_EUlS12_E_NS1_11comp_targetILNS1_3genE10ELNS1_11target_archE1201ELNS1_3gpuE5ELNS1_3repE0EEENS1_48merge_mergepath_partition_config_static_selectorELNS0_4arch9wavefront6targetE1EEEvSO_,comdat
	.protected	_ZN7rocprim17ROCPRIM_400000_NS6detail17trampoline_kernelINS0_14default_configENS1_38merge_sort_block_merge_config_selectorIjN6thrust23THRUST_200600_302600_NS5tupleIffNS6_9null_typeES8_S8_S8_S8_S8_S8_S8_EEEEZZNS1_27merge_sort_block_merge_implIS3_NS6_6detail15normal_iteratorINS6_10device_ptrIjEEEENSD_INSE_IS9_EEEEjNS1_19radix_merge_compareILb0ELb1EjNS0_19identity_decomposerEEEEE10hipError_tT0_T1_T2_jT3_P12ihipStream_tbPNSt15iterator_traitsISN_E10value_typeEPNST_ISO_E10value_typeEPSP_NS1_7vsmem_tEENKUlT_SN_SO_SP_E_clISG_PjSI_PS9_EESM_S12_SN_SO_SP_EUlS12_E_NS1_11comp_targetILNS1_3genE10ELNS1_11target_archE1201ELNS1_3gpuE5ELNS1_3repE0EEENS1_48merge_mergepath_partition_config_static_selectorELNS0_4arch9wavefront6targetE1EEEvSO_ ; -- Begin function _ZN7rocprim17ROCPRIM_400000_NS6detail17trampoline_kernelINS0_14default_configENS1_38merge_sort_block_merge_config_selectorIjN6thrust23THRUST_200600_302600_NS5tupleIffNS6_9null_typeES8_S8_S8_S8_S8_S8_S8_EEEEZZNS1_27merge_sort_block_merge_implIS3_NS6_6detail15normal_iteratorINS6_10device_ptrIjEEEENSD_INSE_IS9_EEEEjNS1_19radix_merge_compareILb0ELb1EjNS0_19identity_decomposerEEEEE10hipError_tT0_T1_T2_jT3_P12ihipStream_tbPNSt15iterator_traitsISN_E10value_typeEPNST_ISO_E10value_typeEPSP_NS1_7vsmem_tEENKUlT_SN_SO_SP_E_clISG_PjSI_PS9_EESM_S12_SN_SO_SP_EUlS12_E_NS1_11comp_targetILNS1_3genE10ELNS1_11target_archE1201ELNS1_3gpuE5ELNS1_3repE0EEENS1_48merge_mergepath_partition_config_static_selectorELNS0_4arch9wavefront6targetE1EEEvSO_
	.globl	_ZN7rocprim17ROCPRIM_400000_NS6detail17trampoline_kernelINS0_14default_configENS1_38merge_sort_block_merge_config_selectorIjN6thrust23THRUST_200600_302600_NS5tupleIffNS6_9null_typeES8_S8_S8_S8_S8_S8_S8_EEEEZZNS1_27merge_sort_block_merge_implIS3_NS6_6detail15normal_iteratorINS6_10device_ptrIjEEEENSD_INSE_IS9_EEEEjNS1_19radix_merge_compareILb0ELb1EjNS0_19identity_decomposerEEEEE10hipError_tT0_T1_T2_jT3_P12ihipStream_tbPNSt15iterator_traitsISN_E10value_typeEPNST_ISO_E10value_typeEPSP_NS1_7vsmem_tEENKUlT_SN_SO_SP_E_clISG_PjSI_PS9_EESM_S12_SN_SO_SP_EUlS12_E_NS1_11comp_targetILNS1_3genE10ELNS1_11target_archE1201ELNS1_3gpuE5ELNS1_3repE0EEENS1_48merge_mergepath_partition_config_static_selectorELNS0_4arch9wavefront6targetE1EEEvSO_
	.p2align	8
	.type	_ZN7rocprim17ROCPRIM_400000_NS6detail17trampoline_kernelINS0_14default_configENS1_38merge_sort_block_merge_config_selectorIjN6thrust23THRUST_200600_302600_NS5tupleIffNS6_9null_typeES8_S8_S8_S8_S8_S8_S8_EEEEZZNS1_27merge_sort_block_merge_implIS3_NS6_6detail15normal_iteratorINS6_10device_ptrIjEEEENSD_INSE_IS9_EEEEjNS1_19radix_merge_compareILb0ELb1EjNS0_19identity_decomposerEEEEE10hipError_tT0_T1_T2_jT3_P12ihipStream_tbPNSt15iterator_traitsISN_E10value_typeEPNST_ISO_E10value_typeEPSP_NS1_7vsmem_tEENKUlT_SN_SO_SP_E_clISG_PjSI_PS9_EESM_S12_SN_SO_SP_EUlS12_E_NS1_11comp_targetILNS1_3genE10ELNS1_11target_archE1201ELNS1_3gpuE5ELNS1_3repE0EEENS1_48merge_mergepath_partition_config_static_selectorELNS0_4arch9wavefront6targetE1EEEvSO_,@function
_ZN7rocprim17ROCPRIM_400000_NS6detail17trampoline_kernelINS0_14default_configENS1_38merge_sort_block_merge_config_selectorIjN6thrust23THRUST_200600_302600_NS5tupleIffNS6_9null_typeES8_S8_S8_S8_S8_S8_S8_EEEEZZNS1_27merge_sort_block_merge_implIS3_NS6_6detail15normal_iteratorINS6_10device_ptrIjEEEENSD_INSE_IS9_EEEEjNS1_19radix_merge_compareILb0ELb1EjNS0_19identity_decomposerEEEEE10hipError_tT0_T1_T2_jT3_P12ihipStream_tbPNSt15iterator_traitsISN_E10value_typeEPNST_ISO_E10value_typeEPSP_NS1_7vsmem_tEENKUlT_SN_SO_SP_E_clISG_PjSI_PS9_EESM_S12_SN_SO_SP_EUlS12_E_NS1_11comp_targetILNS1_3genE10ELNS1_11target_archE1201ELNS1_3gpuE5ELNS1_3repE0EEENS1_48merge_mergepath_partition_config_static_selectorELNS0_4arch9wavefront6targetE1EEEvSO_: ; @_ZN7rocprim17ROCPRIM_400000_NS6detail17trampoline_kernelINS0_14default_configENS1_38merge_sort_block_merge_config_selectorIjN6thrust23THRUST_200600_302600_NS5tupleIffNS6_9null_typeES8_S8_S8_S8_S8_S8_S8_EEEEZZNS1_27merge_sort_block_merge_implIS3_NS6_6detail15normal_iteratorINS6_10device_ptrIjEEEENSD_INSE_IS9_EEEEjNS1_19radix_merge_compareILb0ELb1EjNS0_19identity_decomposerEEEEE10hipError_tT0_T1_T2_jT3_P12ihipStream_tbPNSt15iterator_traitsISN_E10value_typeEPNST_ISO_E10value_typeEPSP_NS1_7vsmem_tEENKUlT_SN_SO_SP_E_clISG_PjSI_PS9_EESM_S12_SN_SO_SP_EUlS12_E_NS1_11comp_targetILNS1_3genE10ELNS1_11target_archE1201ELNS1_3gpuE5ELNS1_3repE0EEENS1_48merge_mergepath_partition_config_static_selectorELNS0_4arch9wavefront6targetE1EEEvSO_
; %bb.0:
	.section	.rodata,"a",@progbits
	.p2align	6, 0x0
	.amdhsa_kernel _ZN7rocprim17ROCPRIM_400000_NS6detail17trampoline_kernelINS0_14default_configENS1_38merge_sort_block_merge_config_selectorIjN6thrust23THRUST_200600_302600_NS5tupleIffNS6_9null_typeES8_S8_S8_S8_S8_S8_S8_EEEEZZNS1_27merge_sort_block_merge_implIS3_NS6_6detail15normal_iteratorINS6_10device_ptrIjEEEENSD_INSE_IS9_EEEEjNS1_19radix_merge_compareILb0ELb1EjNS0_19identity_decomposerEEEEE10hipError_tT0_T1_T2_jT3_P12ihipStream_tbPNSt15iterator_traitsISN_E10value_typeEPNST_ISO_E10value_typeEPSP_NS1_7vsmem_tEENKUlT_SN_SO_SP_E_clISG_PjSI_PS9_EESM_S12_SN_SO_SP_EUlS12_E_NS1_11comp_targetILNS1_3genE10ELNS1_11target_archE1201ELNS1_3gpuE5ELNS1_3repE0EEENS1_48merge_mergepath_partition_config_static_selectorELNS0_4arch9wavefront6targetE1EEEvSO_
		.amdhsa_group_segment_fixed_size 0
		.amdhsa_private_segment_fixed_size 0
		.amdhsa_kernarg_size 40
		.amdhsa_user_sgpr_count 6
		.amdhsa_user_sgpr_private_segment_buffer 1
		.amdhsa_user_sgpr_dispatch_ptr 0
		.amdhsa_user_sgpr_queue_ptr 0
		.amdhsa_user_sgpr_kernarg_segment_ptr 1
		.amdhsa_user_sgpr_dispatch_id 0
		.amdhsa_user_sgpr_flat_scratch_init 0
		.amdhsa_user_sgpr_kernarg_preload_length 0
		.amdhsa_user_sgpr_kernarg_preload_offset 0
		.amdhsa_user_sgpr_private_segment_size 0
		.amdhsa_uses_dynamic_stack 0
		.amdhsa_system_sgpr_private_segment_wavefront_offset 0
		.amdhsa_system_sgpr_workgroup_id_x 1
		.amdhsa_system_sgpr_workgroup_id_y 0
		.amdhsa_system_sgpr_workgroup_id_z 0
		.amdhsa_system_sgpr_workgroup_info 0
		.amdhsa_system_vgpr_workitem_id 0
		.amdhsa_next_free_vgpr 1
		.amdhsa_next_free_sgpr 0
		.amdhsa_accum_offset 4
		.amdhsa_reserve_vcc 0
		.amdhsa_reserve_flat_scratch 0
		.amdhsa_float_round_mode_32 0
		.amdhsa_float_round_mode_16_64 0
		.amdhsa_float_denorm_mode_32 3
		.amdhsa_float_denorm_mode_16_64 3
		.amdhsa_dx10_clamp 1
		.amdhsa_ieee_mode 1
		.amdhsa_fp16_overflow 0
		.amdhsa_tg_split 0
		.amdhsa_exception_fp_ieee_invalid_op 0
		.amdhsa_exception_fp_denorm_src 0
		.amdhsa_exception_fp_ieee_div_zero 0
		.amdhsa_exception_fp_ieee_overflow 0
		.amdhsa_exception_fp_ieee_underflow 0
		.amdhsa_exception_fp_ieee_inexact 0
		.amdhsa_exception_int_div_zero 0
	.end_amdhsa_kernel
	.section	.text._ZN7rocprim17ROCPRIM_400000_NS6detail17trampoline_kernelINS0_14default_configENS1_38merge_sort_block_merge_config_selectorIjN6thrust23THRUST_200600_302600_NS5tupleIffNS6_9null_typeES8_S8_S8_S8_S8_S8_S8_EEEEZZNS1_27merge_sort_block_merge_implIS3_NS6_6detail15normal_iteratorINS6_10device_ptrIjEEEENSD_INSE_IS9_EEEEjNS1_19radix_merge_compareILb0ELb1EjNS0_19identity_decomposerEEEEE10hipError_tT0_T1_T2_jT3_P12ihipStream_tbPNSt15iterator_traitsISN_E10value_typeEPNST_ISO_E10value_typeEPSP_NS1_7vsmem_tEENKUlT_SN_SO_SP_E_clISG_PjSI_PS9_EESM_S12_SN_SO_SP_EUlS12_E_NS1_11comp_targetILNS1_3genE10ELNS1_11target_archE1201ELNS1_3gpuE5ELNS1_3repE0EEENS1_48merge_mergepath_partition_config_static_selectorELNS0_4arch9wavefront6targetE1EEEvSO_,"axG",@progbits,_ZN7rocprim17ROCPRIM_400000_NS6detail17trampoline_kernelINS0_14default_configENS1_38merge_sort_block_merge_config_selectorIjN6thrust23THRUST_200600_302600_NS5tupleIffNS6_9null_typeES8_S8_S8_S8_S8_S8_S8_EEEEZZNS1_27merge_sort_block_merge_implIS3_NS6_6detail15normal_iteratorINS6_10device_ptrIjEEEENSD_INSE_IS9_EEEEjNS1_19radix_merge_compareILb0ELb1EjNS0_19identity_decomposerEEEEE10hipError_tT0_T1_T2_jT3_P12ihipStream_tbPNSt15iterator_traitsISN_E10value_typeEPNST_ISO_E10value_typeEPSP_NS1_7vsmem_tEENKUlT_SN_SO_SP_E_clISG_PjSI_PS9_EESM_S12_SN_SO_SP_EUlS12_E_NS1_11comp_targetILNS1_3genE10ELNS1_11target_archE1201ELNS1_3gpuE5ELNS1_3repE0EEENS1_48merge_mergepath_partition_config_static_selectorELNS0_4arch9wavefront6targetE1EEEvSO_,comdat
.Lfunc_end116:
	.size	_ZN7rocprim17ROCPRIM_400000_NS6detail17trampoline_kernelINS0_14default_configENS1_38merge_sort_block_merge_config_selectorIjN6thrust23THRUST_200600_302600_NS5tupleIffNS6_9null_typeES8_S8_S8_S8_S8_S8_S8_EEEEZZNS1_27merge_sort_block_merge_implIS3_NS6_6detail15normal_iteratorINS6_10device_ptrIjEEEENSD_INSE_IS9_EEEEjNS1_19radix_merge_compareILb0ELb1EjNS0_19identity_decomposerEEEEE10hipError_tT0_T1_T2_jT3_P12ihipStream_tbPNSt15iterator_traitsISN_E10value_typeEPNST_ISO_E10value_typeEPSP_NS1_7vsmem_tEENKUlT_SN_SO_SP_E_clISG_PjSI_PS9_EESM_S12_SN_SO_SP_EUlS12_E_NS1_11comp_targetILNS1_3genE10ELNS1_11target_archE1201ELNS1_3gpuE5ELNS1_3repE0EEENS1_48merge_mergepath_partition_config_static_selectorELNS0_4arch9wavefront6targetE1EEEvSO_, .Lfunc_end116-_ZN7rocprim17ROCPRIM_400000_NS6detail17trampoline_kernelINS0_14default_configENS1_38merge_sort_block_merge_config_selectorIjN6thrust23THRUST_200600_302600_NS5tupleIffNS6_9null_typeES8_S8_S8_S8_S8_S8_S8_EEEEZZNS1_27merge_sort_block_merge_implIS3_NS6_6detail15normal_iteratorINS6_10device_ptrIjEEEENSD_INSE_IS9_EEEEjNS1_19radix_merge_compareILb0ELb1EjNS0_19identity_decomposerEEEEE10hipError_tT0_T1_T2_jT3_P12ihipStream_tbPNSt15iterator_traitsISN_E10value_typeEPNST_ISO_E10value_typeEPSP_NS1_7vsmem_tEENKUlT_SN_SO_SP_E_clISG_PjSI_PS9_EESM_S12_SN_SO_SP_EUlS12_E_NS1_11comp_targetILNS1_3genE10ELNS1_11target_archE1201ELNS1_3gpuE5ELNS1_3repE0EEENS1_48merge_mergepath_partition_config_static_selectorELNS0_4arch9wavefront6targetE1EEEvSO_
                                        ; -- End function
	.section	.AMDGPU.csdata,"",@progbits
; Kernel info:
; codeLenInByte = 0
; NumSgprs: 4
; NumVgprs: 0
; NumAgprs: 0
; TotalNumVgprs: 0
; ScratchSize: 0
; MemoryBound: 0
; FloatMode: 240
; IeeeMode: 1
; LDSByteSize: 0 bytes/workgroup (compile time only)
; SGPRBlocks: 0
; VGPRBlocks: 0
; NumSGPRsForWavesPerEU: 4
; NumVGPRsForWavesPerEU: 1
; AccumOffset: 4
; Occupancy: 8
; WaveLimiterHint : 0
; COMPUTE_PGM_RSRC2:SCRATCH_EN: 0
; COMPUTE_PGM_RSRC2:USER_SGPR: 6
; COMPUTE_PGM_RSRC2:TRAP_HANDLER: 0
; COMPUTE_PGM_RSRC2:TGID_X_EN: 1
; COMPUTE_PGM_RSRC2:TGID_Y_EN: 0
; COMPUTE_PGM_RSRC2:TGID_Z_EN: 0
; COMPUTE_PGM_RSRC2:TIDIG_COMP_CNT: 0
; COMPUTE_PGM_RSRC3_GFX90A:ACCUM_OFFSET: 0
; COMPUTE_PGM_RSRC3_GFX90A:TG_SPLIT: 0
	.section	.text._ZN7rocprim17ROCPRIM_400000_NS6detail17trampoline_kernelINS0_14default_configENS1_38merge_sort_block_merge_config_selectorIjN6thrust23THRUST_200600_302600_NS5tupleIffNS6_9null_typeES8_S8_S8_S8_S8_S8_S8_EEEEZZNS1_27merge_sort_block_merge_implIS3_NS6_6detail15normal_iteratorINS6_10device_ptrIjEEEENSD_INSE_IS9_EEEEjNS1_19radix_merge_compareILb0ELb1EjNS0_19identity_decomposerEEEEE10hipError_tT0_T1_T2_jT3_P12ihipStream_tbPNSt15iterator_traitsISN_E10value_typeEPNST_ISO_E10value_typeEPSP_NS1_7vsmem_tEENKUlT_SN_SO_SP_E_clISG_PjSI_PS9_EESM_S12_SN_SO_SP_EUlS12_E_NS1_11comp_targetILNS1_3genE5ELNS1_11target_archE942ELNS1_3gpuE9ELNS1_3repE0EEENS1_48merge_mergepath_partition_config_static_selectorELNS0_4arch9wavefront6targetE1EEEvSO_,"axG",@progbits,_ZN7rocprim17ROCPRIM_400000_NS6detail17trampoline_kernelINS0_14default_configENS1_38merge_sort_block_merge_config_selectorIjN6thrust23THRUST_200600_302600_NS5tupleIffNS6_9null_typeES8_S8_S8_S8_S8_S8_S8_EEEEZZNS1_27merge_sort_block_merge_implIS3_NS6_6detail15normal_iteratorINS6_10device_ptrIjEEEENSD_INSE_IS9_EEEEjNS1_19radix_merge_compareILb0ELb1EjNS0_19identity_decomposerEEEEE10hipError_tT0_T1_T2_jT3_P12ihipStream_tbPNSt15iterator_traitsISN_E10value_typeEPNST_ISO_E10value_typeEPSP_NS1_7vsmem_tEENKUlT_SN_SO_SP_E_clISG_PjSI_PS9_EESM_S12_SN_SO_SP_EUlS12_E_NS1_11comp_targetILNS1_3genE5ELNS1_11target_archE942ELNS1_3gpuE9ELNS1_3repE0EEENS1_48merge_mergepath_partition_config_static_selectorELNS0_4arch9wavefront6targetE1EEEvSO_,comdat
	.protected	_ZN7rocprim17ROCPRIM_400000_NS6detail17trampoline_kernelINS0_14default_configENS1_38merge_sort_block_merge_config_selectorIjN6thrust23THRUST_200600_302600_NS5tupleIffNS6_9null_typeES8_S8_S8_S8_S8_S8_S8_EEEEZZNS1_27merge_sort_block_merge_implIS3_NS6_6detail15normal_iteratorINS6_10device_ptrIjEEEENSD_INSE_IS9_EEEEjNS1_19radix_merge_compareILb0ELb1EjNS0_19identity_decomposerEEEEE10hipError_tT0_T1_T2_jT3_P12ihipStream_tbPNSt15iterator_traitsISN_E10value_typeEPNST_ISO_E10value_typeEPSP_NS1_7vsmem_tEENKUlT_SN_SO_SP_E_clISG_PjSI_PS9_EESM_S12_SN_SO_SP_EUlS12_E_NS1_11comp_targetILNS1_3genE5ELNS1_11target_archE942ELNS1_3gpuE9ELNS1_3repE0EEENS1_48merge_mergepath_partition_config_static_selectorELNS0_4arch9wavefront6targetE1EEEvSO_ ; -- Begin function _ZN7rocprim17ROCPRIM_400000_NS6detail17trampoline_kernelINS0_14default_configENS1_38merge_sort_block_merge_config_selectorIjN6thrust23THRUST_200600_302600_NS5tupleIffNS6_9null_typeES8_S8_S8_S8_S8_S8_S8_EEEEZZNS1_27merge_sort_block_merge_implIS3_NS6_6detail15normal_iteratorINS6_10device_ptrIjEEEENSD_INSE_IS9_EEEEjNS1_19radix_merge_compareILb0ELb1EjNS0_19identity_decomposerEEEEE10hipError_tT0_T1_T2_jT3_P12ihipStream_tbPNSt15iterator_traitsISN_E10value_typeEPNST_ISO_E10value_typeEPSP_NS1_7vsmem_tEENKUlT_SN_SO_SP_E_clISG_PjSI_PS9_EESM_S12_SN_SO_SP_EUlS12_E_NS1_11comp_targetILNS1_3genE5ELNS1_11target_archE942ELNS1_3gpuE9ELNS1_3repE0EEENS1_48merge_mergepath_partition_config_static_selectorELNS0_4arch9wavefront6targetE1EEEvSO_
	.globl	_ZN7rocprim17ROCPRIM_400000_NS6detail17trampoline_kernelINS0_14default_configENS1_38merge_sort_block_merge_config_selectorIjN6thrust23THRUST_200600_302600_NS5tupleIffNS6_9null_typeES8_S8_S8_S8_S8_S8_S8_EEEEZZNS1_27merge_sort_block_merge_implIS3_NS6_6detail15normal_iteratorINS6_10device_ptrIjEEEENSD_INSE_IS9_EEEEjNS1_19radix_merge_compareILb0ELb1EjNS0_19identity_decomposerEEEEE10hipError_tT0_T1_T2_jT3_P12ihipStream_tbPNSt15iterator_traitsISN_E10value_typeEPNST_ISO_E10value_typeEPSP_NS1_7vsmem_tEENKUlT_SN_SO_SP_E_clISG_PjSI_PS9_EESM_S12_SN_SO_SP_EUlS12_E_NS1_11comp_targetILNS1_3genE5ELNS1_11target_archE942ELNS1_3gpuE9ELNS1_3repE0EEENS1_48merge_mergepath_partition_config_static_selectorELNS0_4arch9wavefront6targetE1EEEvSO_
	.p2align	8
	.type	_ZN7rocprim17ROCPRIM_400000_NS6detail17trampoline_kernelINS0_14default_configENS1_38merge_sort_block_merge_config_selectorIjN6thrust23THRUST_200600_302600_NS5tupleIffNS6_9null_typeES8_S8_S8_S8_S8_S8_S8_EEEEZZNS1_27merge_sort_block_merge_implIS3_NS6_6detail15normal_iteratorINS6_10device_ptrIjEEEENSD_INSE_IS9_EEEEjNS1_19radix_merge_compareILb0ELb1EjNS0_19identity_decomposerEEEEE10hipError_tT0_T1_T2_jT3_P12ihipStream_tbPNSt15iterator_traitsISN_E10value_typeEPNST_ISO_E10value_typeEPSP_NS1_7vsmem_tEENKUlT_SN_SO_SP_E_clISG_PjSI_PS9_EESM_S12_SN_SO_SP_EUlS12_E_NS1_11comp_targetILNS1_3genE5ELNS1_11target_archE942ELNS1_3gpuE9ELNS1_3repE0EEENS1_48merge_mergepath_partition_config_static_selectorELNS0_4arch9wavefront6targetE1EEEvSO_,@function
_ZN7rocprim17ROCPRIM_400000_NS6detail17trampoline_kernelINS0_14default_configENS1_38merge_sort_block_merge_config_selectorIjN6thrust23THRUST_200600_302600_NS5tupleIffNS6_9null_typeES8_S8_S8_S8_S8_S8_S8_EEEEZZNS1_27merge_sort_block_merge_implIS3_NS6_6detail15normal_iteratorINS6_10device_ptrIjEEEENSD_INSE_IS9_EEEEjNS1_19radix_merge_compareILb0ELb1EjNS0_19identity_decomposerEEEEE10hipError_tT0_T1_T2_jT3_P12ihipStream_tbPNSt15iterator_traitsISN_E10value_typeEPNST_ISO_E10value_typeEPSP_NS1_7vsmem_tEENKUlT_SN_SO_SP_E_clISG_PjSI_PS9_EESM_S12_SN_SO_SP_EUlS12_E_NS1_11comp_targetILNS1_3genE5ELNS1_11target_archE942ELNS1_3gpuE9ELNS1_3repE0EEENS1_48merge_mergepath_partition_config_static_selectorELNS0_4arch9wavefront6targetE1EEEvSO_: ; @_ZN7rocprim17ROCPRIM_400000_NS6detail17trampoline_kernelINS0_14default_configENS1_38merge_sort_block_merge_config_selectorIjN6thrust23THRUST_200600_302600_NS5tupleIffNS6_9null_typeES8_S8_S8_S8_S8_S8_S8_EEEEZZNS1_27merge_sort_block_merge_implIS3_NS6_6detail15normal_iteratorINS6_10device_ptrIjEEEENSD_INSE_IS9_EEEEjNS1_19radix_merge_compareILb0ELb1EjNS0_19identity_decomposerEEEEE10hipError_tT0_T1_T2_jT3_P12ihipStream_tbPNSt15iterator_traitsISN_E10value_typeEPNST_ISO_E10value_typeEPSP_NS1_7vsmem_tEENKUlT_SN_SO_SP_E_clISG_PjSI_PS9_EESM_S12_SN_SO_SP_EUlS12_E_NS1_11comp_targetILNS1_3genE5ELNS1_11target_archE942ELNS1_3gpuE9ELNS1_3repE0EEENS1_48merge_mergepath_partition_config_static_selectorELNS0_4arch9wavefront6targetE1EEEvSO_
; %bb.0:
	.section	.rodata,"a",@progbits
	.p2align	6, 0x0
	.amdhsa_kernel _ZN7rocprim17ROCPRIM_400000_NS6detail17trampoline_kernelINS0_14default_configENS1_38merge_sort_block_merge_config_selectorIjN6thrust23THRUST_200600_302600_NS5tupleIffNS6_9null_typeES8_S8_S8_S8_S8_S8_S8_EEEEZZNS1_27merge_sort_block_merge_implIS3_NS6_6detail15normal_iteratorINS6_10device_ptrIjEEEENSD_INSE_IS9_EEEEjNS1_19radix_merge_compareILb0ELb1EjNS0_19identity_decomposerEEEEE10hipError_tT0_T1_T2_jT3_P12ihipStream_tbPNSt15iterator_traitsISN_E10value_typeEPNST_ISO_E10value_typeEPSP_NS1_7vsmem_tEENKUlT_SN_SO_SP_E_clISG_PjSI_PS9_EESM_S12_SN_SO_SP_EUlS12_E_NS1_11comp_targetILNS1_3genE5ELNS1_11target_archE942ELNS1_3gpuE9ELNS1_3repE0EEENS1_48merge_mergepath_partition_config_static_selectorELNS0_4arch9wavefront6targetE1EEEvSO_
		.amdhsa_group_segment_fixed_size 0
		.amdhsa_private_segment_fixed_size 0
		.amdhsa_kernarg_size 40
		.amdhsa_user_sgpr_count 6
		.amdhsa_user_sgpr_private_segment_buffer 1
		.amdhsa_user_sgpr_dispatch_ptr 0
		.amdhsa_user_sgpr_queue_ptr 0
		.amdhsa_user_sgpr_kernarg_segment_ptr 1
		.amdhsa_user_sgpr_dispatch_id 0
		.amdhsa_user_sgpr_flat_scratch_init 0
		.amdhsa_user_sgpr_kernarg_preload_length 0
		.amdhsa_user_sgpr_kernarg_preload_offset 0
		.amdhsa_user_sgpr_private_segment_size 0
		.amdhsa_uses_dynamic_stack 0
		.amdhsa_system_sgpr_private_segment_wavefront_offset 0
		.amdhsa_system_sgpr_workgroup_id_x 1
		.amdhsa_system_sgpr_workgroup_id_y 0
		.amdhsa_system_sgpr_workgroup_id_z 0
		.amdhsa_system_sgpr_workgroup_info 0
		.amdhsa_system_vgpr_workitem_id 0
		.amdhsa_next_free_vgpr 1
		.amdhsa_next_free_sgpr 0
		.amdhsa_accum_offset 4
		.amdhsa_reserve_vcc 0
		.amdhsa_reserve_flat_scratch 0
		.amdhsa_float_round_mode_32 0
		.amdhsa_float_round_mode_16_64 0
		.amdhsa_float_denorm_mode_32 3
		.amdhsa_float_denorm_mode_16_64 3
		.amdhsa_dx10_clamp 1
		.amdhsa_ieee_mode 1
		.amdhsa_fp16_overflow 0
		.amdhsa_tg_split 0
		.amdhsa_exception_fp_ieee_invalid_op 0
		.amdhsa_exception_fp_denorm_src 0
		.amdhsa_exception_fp_ieee_div_zero 0
		.amdhsa_exception_fp_ieee_overflow 0
		.amdhsa_exception_fp_ieee_underflow 0
		.amdhsa_exception_fp_ieee_inexact 0
		.amdhsa_exception_int_div_zero 0
	.end_amdhsa_kernel
	.section	.text._ZN7rocprim17ROCPRIM_400000_NS6detail17trampoline_kernelINS0_14default_configENS1_38merge_sort_block_merge_config_selectorIjN6thrust23THRUST_200600_302600_NS5tupleIffNS6_9null_typeES8_S8_S8_S8_S8_S8_S8_EEEEZZNS1_27merge_sort_block_merge_implIS3_NS6_6detail15normal_iteratorINS6_10device_ptrIjEEEENSD_INSE_IS9_EEEEjNS1_19radix_merge_compareILb0ELb1EjNS0_19identity_decomposerEEEEE10hipError_tT0_T1_T2_jT3_P12ihipStream_tbPNSt15iterator_traitsISN_E10value_typeEPNST_ISO_E10value_typeEPSP_NS1_7vsmem_tEENKUlT_SN_SO_SP_E_clISG_PjSI_PS9_EESM_S12_SN_SO_SP_EUlS12_E_NS1_11comp_targetILNS1_3genE5ELNS1_11target_archE942ELNS1_3gpuE9ELNS1_3repE0EEENS1_48merge_mergepath_partition_config_static_selectorELNS0_4arch9wavefront6targetE1EEEvSO_,"axG",@progbits,_ZN7rocprim17ROCPRIM_400000_NS6detail17trampoline_kernelINS0_14default_configENS1_38merge_sort_block_merge_config_selectorIjN6thrust23THRUST_200600_302600_NS5tupleIffNS6_9null_typeES8_S8_S8_S8_S8_S8_S8_EEEEZZNS1_27merge_sort_block_merge_implIS3_NS6_6detail15normal_iteratorINS6_10device_ptrIjEEEENSD_INSE_IS9_EEEEjNS1_19radix_merge_compareILb0ELb1EjNS0_19identity_decomposerEEEEE10hipError_tT0_T1_T2_jT3_P12ihipStream_tbPNSt15iterator_traitsISN_E10value_typeEPNST_ISO_E10value_typeEPSP_NS1_7vsmem_tEENKUlT_SN_SO_SP_E_clISG_PjSI_PS9_EESM_S12_SN_SO_SP_EUlS12_E_NS1_11comp_targetILNS1_3genE5ELNS1_11target_archE942ELNS1_3gpuE9ELNS1_3repE0EEENS1_48merge_mergepath_partition_config_static_selectorELNS0_4arch9wavefront6targetE1EEEvSO_,comdat
.Lfunc_end117:
	.size	_ZN7rocprim17ROCPRIM_400000_NS6detail17trampoline_kernelINS0_14default_configENS1_38merge_sort_block_merge_config_selectorIjN6thrust23THRUST_200600_302600_NS5tupleIffNS6_9null_typeES8_S8_S8_S8_S8_S8_S8_EEEEZZNS1_27merge_sort_block_merge_implIS3_NS6_6detail15normal_iteratorINS6_10device_ptrIjEEEENSD_INSE_IS9_EEEEjNS1_19radix_merge_compareILb0ELb1EjNS0_19identity_decomposerEEEEE10hipError_tT0_T1_T2_jT3_P12ihipStream_tbPNSt15iterator_traitsISN_E10value_typeEPNST_ISO_E10value_typeEPSP_NS1_7vsmem_tEENKUlT_SN_SO_SP_E_clISG_PjSI_PS9_EESM_S12_SN_SO_SP_EUlS12_E_NS1_11comp_targetILNS1_3genE5ELNS1_11target_archE942ELNS1_3gpuE9ELNS1_3repE0EEENS1_48merge_mergepath_partition_config_static_selectorELNS0_4arch9wavefront6targetE1EEEvSO_, .Lfunc_end117-_ZN7rocprim17ROCPRIM_400000_NS6detail17trampoline_kernelINS0_14default_configENS1_38merge_sort_block_merge_config_selectorIjN6thrust23THRUST_200600_302600_NS5tupleIffNS6_9null_typeES8_S8_S8_S8_S8_S8_S8_EEEEZZNS1_27merge_sort_block_merge_implIS3_NS6_6detail15normal_iteratorINS6_10device_ptrIjEEEENSD_INSE_IS9_EEEEjNS1_19radix_merge_compareILb0ELb1EjNS0_19identity_decomposerEEEEE10hipError_tT0_T1_T2_jT3_P12ihipStream_tbPNSt15iterator_traitsISN_E10value_typeEPNST_ISO_E10value_typeEPSP_NS1_7vsmem_tEENKUlT_SN_SO_SP_E_clISG_PjSI_PS9_EESM_S12_SN_SO_SP_EUlS12_E_NS1_11comp_targetILNS1_3genE5ELNS1_11target_archE942ELNS1_3gpuE9ELNS1_3repE0EEENS1_48merge_mergepath_partition_config_static_selectorELNS0_4arch9wavefront6targetE1EEEvSO_
                                        ; -- End function
	.section	.AMDGPU.csdata,"",@progbits
; Kernel info:
; codeLenInByte = 0
; NumSgprs: 4
; NumVgprs: 0
; NumAgprs: 0
; TotalNumVgprs: 0
; ScratchSize: 0
; MemoryBound: 0
; FloatMode: 240
; IeeeMode: 1
; LDSByteSize: 0 bytes/workgroup (compile time only)
; SGPRBlocks: 0
; VGPRBlocks: 0
; NumSGPRsForWavesPerEU: 4
; NumVGPRsForWavesPerEU: 1
; AccumOffset: 4
; Occupancy: 8
; WaveLimiterHint : 0
; COMPUTE_PGM_RSRC2:SCRATCH_EN: 0
; COMPUTE_PGM_RSRC2:USER_SGPR: 6
; COMPUTE_PGM_RSRC2:TRAP_HANDLER: 0
; COMPUTE_PGM_RSRC2:TGID_X_EN: 1
; COMPUTE_PGM_RSRC2:TGID_Y_EN: 0
; COMPUTE_PGM_RSRC2:TGID_Z_EN: 0
; COMPUTE_PGM_RSRC2:TIDIG_COMP_CNT: 0
; COMPUTE_PGM_RSRC3_GFX90A:ACCUM_OFFSET: 0
; COMPUTE_PGM_RSRC3_GFX90A:TG_SPLIT: 0
	.section	.text._ZN7rocprim17ROCPRIM_400000_NS6detail17trampoline_kernelINS0_14default_configENS1_38merge_sort_block_merge_config_selectorIjN6thrust23THRUST_200600_302600_NS5tupleIffNS6_9null_typeES8_S8_S8_S8_S8_S8_S8_EEEEZZNS1_27merge_sort_block_merge_implIS3_NS6_6detail15normal_iteratorINS6_10device_ptrIjEEEENSD_INSE_IS9_EEEEjNS1_19radix_merge_compareILb0ELb1EjNS0_19identity_decomposerEEEEE10hipError_tT0_T1_T2_jT3_P12ihipStream_tbPNSt15iterator_traitsISN_E10value_typeEPNST_ISO_E10value_typeEPSP_NS1_7vsmem_tEENKUlT_SN_SO_SP_E_clISG_PjSI_PS9_EESM_S12_SN_SO_SP_EUlS12_E_NS1_11comp_targetILNS1_3genE4ELNS1_11target_archE910ELNS1_3gpuE8ELNS1_3repE0EEENS1_48merge_mergepath_partition_config_static_selectorELNS0_4arch9wavefront6targetE1EEEvSO_,"axG",@progbits,_ZN7rocprim17ROCPRIM_400000_NS6detail17trampoline_kernelINS0_14default_configENS1_38merge_sort_block_merge_config_selectorIjN6thrust23THRUST_200600_302600_NS5tupleIffNS6_9null_typeES8_S8_S8_S8_S8_S8_S8_EEEEZZNS1_27merge_sort_block_merge_implIS3_NS6_6detail15normal_iteratorINS6_10device_ptrIjEEEENSD_INSE_IS9_EEEEjNS1_19radix_merge_compareILb0ELb1EjNS0_19identity_decomposerEEEEE10hipError_tT0_T1_T2_jT3_P12ihipStream_tbPNSt15iterator_traitsISN_E10value_typeEPNST_ISO_E10value_typeEPSP_NS1_7vsmem_tEENKUlT_SN_SO_SP_E_clISG_PjSI_PS9_EESM_S12_SN_SO_SP_EUlS12_E_NS1_11comp_targetILNS1_3genE4ELNS1_11target_archE910ELNS1_3gpuE8ELNS1_3repE0EEENS1_48merge_mergepath_partition_config_static_selectorELNS0_4arch9wavefront6targetE1EEEvSO_,comdat
	.protected	_ZN7rocprim17ROCPRIM_400000_NS6detail17trampoline_kernelINS0_14default_configENS1_38merge_sort_block_merge_config_selectorIjN6thrust23THRUST_200600_302600_NS5tupleIffNS6_9null_typeES8_S8_S8_S8_S8_S8_S8_EEEEZZNS1_27merge_sort_block_merge_implIS3_NS6_6detail15normal_iteratorINS6_10device_ptrIjEEEENSD_INSE_IS9_EEEEjNS1_19radix_merge_compareILb0ELb1EjNS0_19identity_decomposerEEEEE10hipError_tT0_T1_T2_jT3_P12ihipStream_tbPNSt15iterator_traitsISN_E10value_typeEPNST_ISO_E10value_typeEPSP_NS1_7vsmem_tEENKUlT_SN_SO_SP_E_clISG_PjSI_PS9_EESM_S12_SN_SO_SP_EUlS12_E_NS1_11comp_targetILNS1_3genE4ELNS1_11target_archE910ELNS1_3gpuE8ELNS1_3repE0EEENS1_48merge_mergepath_partition_config_static_selectorELNS0_4arch9wavefront6targetE1EEEvSO_ ; -- Begin function _ZN7rocprim17ROCPRIM_400000_NS6detail17trampoline_kernelINS0_14default_configENS1_38merge_sort_block_merge_config_selectorIjN6thrust23THRUST_200600_302600_NS5tupleIffNS6_9null_typeES8_S8_S8_S8_S8_S8_S8_EEEEZZNS1_27merge_sort_block_merge_implIS3_NS6_6detail15normal_iteratorINS6_10device_ptrIjEEEENSD_INSE_IS9_EEEEjNS1_19radix_merge_compareILb0ELb1EjNS0_19identity_decomposerEEEEE10hipError_tT0_T1_T2_jT3_P12ihipStream_tbPNSt15iterator_traitsISN_E10value_typeEPNST_ISO_E10value_typeEPSP_NS1_7vsmem_tEENKUlT_SN_SO_SP_E_clISG_PjSI_PS9_EESM_S12_SN_SO_SP_EUlS12_E_NS1_11comp_targetILNS1_3genE4ELNS1_11target_archE910ELNS1_3gpuE8ELNS1_3repE0EEENS1_48merge_mergepath_partition_config_static_selectorELNS0_4arch9wavefront6targetE1EEEvSO_
	.globl	_ZN7rocprim17ROCPRIM_400000_NS6detail17trampoline_kernelINS0_14default_configENS1_38merge_sort_block_merge_config_selectorIjN6thrust23THRUST_200600_302600_NS5tupleIffNS6_9null_typeES8_S8_S8_S8_S8_S8_S8_EEEEZZNS1_27merge_sort_block_merge_implIS3_NS6_6detail15normal_iteratorINS6_10device_ptrIjEEEENSD_INSE_IS9_EEEEjNS1_19radix_merge_compareILb0ELb1EjNS0_19identity_decomposerEEEEE10hipError_tT0_T1_T2_jT3_P12ihipStream_tbPNSt15iterator_traitsISN_E10value_typeEPNST_ISO_E10value_typeEPSP_NS1_7vsmem_tEENKUlT_SN_SO_SP_E_clISG_PjSI_PS9_EESM_S12_SN_SO_SP_EUlS12_E_NS1_11comp_targetILNS1_3genE4ELNS1_11target_archE910ELNS1_3gpuE8ELNS1_3repE0EEENS1_48merge_mergepath_partition_config_static_selectorELNS0_4arch9wavefront6targetE1EEEvSO_
	.p2align	8
	.type	_ZN7rocprim17ROCPRIM_400000_NS6detail17trampoline_kernelINS0_14default_configENS1_38merge_sort_block_merge_config_selectorIjN6thrust23THRUST_200600_302600_NS5tupleIffNS6_9null_typeES8_S8_S8_S8_S8_S8_S8_EEEEZZNS1_27merge_sort_block_merge_implIS3_NS6_6detail15normal_iteratorINS6_10device_ptrIjEEEENSD_INSE_IS9_EEEEjNS1_19radix_merge_compareILb0ELb1EjNS0_19identity_decomposerEEEEE10hipError_tT0_T1_T2_jT3_P12ihipStream_tbPNSt15iterator_traitsISN_E10value_typeEPNST_ISO_E10value_typeEPSP_NS1_7vsmem_tEENKUlT_SN_SO_SP_E_clISG_PjSI_PS9_EESM_S12_SN_SO_SP_EUlS12_E_NS1_11comp_targetILNS1_3genE4ELNS1_11target_archE910ELNS1_3gpuE8ELNS1_3repE0EEENS1_48merge_mergepath_partition_config_static_selectorELNS0_4arch9wavefront6targetE1EEEvSO_,@function
_ZN7rocprim17ROCPRIM_400000_NS6detail17trampoline_kernelINS0_14default_configENS1_38merge_sort_block_merge_config_selectorIjN6thrust23THRUST_200600_302600_NS5tupleIffNS6_9null_typeES8_S8_S8_S8_S8_S8_S8_EEEEZZNS1_27merge_sort_block_merge_implIS3_NS6_6detail15normal_iteratorINS6_10device_ptrIjEEEENSD_INSE_IS9_EEEEjNS1_19radix_merge_compareILb0ELb1EjNS0_19identity_decomposerEEEEE10hipError_tT0_T1_T2_jT3_P12ihipStream_tbPNSt15iterator_traitsISN_E10value_typeEPNST_ISO_E10value_typeEPSP_NS1_7vsmem_tEENKUlT_SN_SO_SP_E_clISG_PjSI_PS9_EESM_S12_SN_SO_SP_EUlS12_E_NS1_11comp_targetILNS1_3genE4ELNS1_11target_archE910ELNS1_3gpuE8ELNS1_3repE0EEENS1_48merge_mergepath_partition_config_static_selectorELNS0_4arch9wavefront6targetE1EEEvSO_: ; @_ZN7rocprim17ROCPRIM_400000_NS6detail17trampoline_kernelINS0_14default_configENS1_38merge_sort_block_merge_config_selectorIjN6thrust23THRUST_200600_302600_NS5tupleIffNS6_9null_typeES8_S8_S8_S8_S8_S8_S8_EEEEZZNS1_27merge_sort_block_merge_implIS3_NS6_6detail15normal_iteratorINS6_10device_ptrIjEEEENSD_INSE_IS9_EEEEjNS1_19radix_merge_compareILb0ELb1EjNS0_19identity_decomposerEEEEE10hipError_tT0_T1_T2_jT3_P12ihipStream_tbPNSt15iterator_traitsISN_E10value_typeEPNST_ISO_E10value_typeEPSP_NS1_7vsmem_tEENKUlT_SN_SO_SP_E_clISG_PjSI_PS9_EESM_S12_SN_SO_SP_EUlS12_E_NS1_11comp_targetILNS1_3genE4ELNS1_11target_archE910ELNS1_3gpuE8ELNS1_3repE0EEENS1_48merge_mergepath_partition_config_static_selectorELNS0_4arch9wavefront6targetE1EEEvSO_
; %bb.0:
	s_load_dword s0, s[4:5], 0x0
	v_lshl_or_b32 v0, s6, 7, v0
	s_waitcnt lgkmcnt(0)
	v_cmp_gt_u32_e32 vcc, s0, v0
	s_and_saveexec_b64 s[0:1], vcc
	s_cbranch_execz .LBB118_6
; %bb.1:
	s_load_dwordx2 s[2:3], s[4:5], 0x4
	s_load_dwordx2 s[0:1], s[4:5], 0x20
	s_waitcnt lgkmcnt(0)
	s_lshr_b32 s6, s2, 9
	s_and_b32 s6, s6, 0x7ffffe
	s_add_i32 s7, s6, -1
	s_sub_i32 s6, 0, s6
	v_and_b32_e32 v1, s6, v0
	v_lshlrev_b32_e32 v1, 10, v1
	v_min_u32_e32 v2, s3, v1
	v_add_u32_e32 v1, s2, v1
	v_min_u32_e32 v4, s3, v1
	v_add_u32_e32 v1, s2, v4
	v_and_b32_e32 v3, s7, v0
	v_min_u32_e32 v1, s3, v1
	v_sub_u32_e32 v5, v1, v2
	v_lshlrev_b32_e32 v3, 10, v3
	v_min_u32_e32 v6, v5, v3
	v_sub_u32_e32 v3, v4, v2
	v_sub_u32_e32 v1, v1, v4
	v_sub_u32_e64 v1, v6, v1 clamp
	v_min_u32_e32 v7, v6, v3
	v_cmp_lt_u32_e32 vcc, v1, v7
	s_and_saveexec_b64 s[2:3], vcc
	s_cbranch_execz .LBB118_5
; %bb.2:
	s_load_dwordx2 s[8:9], s[4:5], 0x10
	s_load_dword s6, s[4:5], 0x18
	v_mov_b32_e32 v5, 0
	v_mov_b32_e32 v3, v5
	v_lshlrev_b64 v[8:9], 2, v[2:3]
	s_waitcnt lgkmcnt(0)
	v_mov_b32_e32 v12, s9
	v_add_co_u32_e32 v3, vcc, s8, v8
	v_addc_co_u32_e32 v8, vcc, v12, v9, vcc
	v_lshlrev_b64 v[10:11], 2, v[4:5]
	v_add_co_u32_e32 v9, vcc, s8, v10
	v_addc_co_u32_e32 v10, vcc, v12, v11, vcc
	s_mov_b64 s[4:5], 0
.LBB118_3:                              ; =>This Inner Loop Header: Depth=1
	v_add_u32_e32 v4, v7, v1
	v_lshrrev_b32_e32 v4, 1, v4
	v_lshlrev_b64 v[14:15], 2, v[4:5]
	v_mov_b32_e32 v13, v5
	v_xad_u32 v12, v4, -1, v6
	v_add_co_u32_e32 v14, vcc, v3, v14
	v_addc_co_u32_e32 v15, vcc, v8, v15, vcc
	v_lshlrev_b64 v[12:13], 2, v[12:13]
	v_add_co_u32_e32 v12, vcc, v9, v12
	v_addc_co_u32_e32 v13, vcc, v10, v13, vcc
	flat_load_dword v11, v[14:15]
	flat_load_dword v16, v[12:13]
	v_add_u32_e32 v12, 1, v4
	s_waitcnt vmcnt(0) lgkmcnt(0)
	v_and_b32_e32 v11, s6, v11
	v_and_b32_e32 v13, s6, v16
	v_cmp_gt_u32_e32 vcc, v11, v13
	v_cndmask_b32_e32 v7, v7, v4, vcc
	v_cndmask_b32_e32 v1, v12, v1, vcc
	v_cmp_ge_u32_e32 vcc, v1, v7
	s_or_b64 s[4:5], vcc, s[4:5]
	s_andn2_b64 exec, exec, s[4:5]
	s_cbranch_execnz .LBB118_3
; %bb.4:
	s_or_b64 exec, exec, s[4:5]
.LBB118_5:
	s_or_b64 exec, exec, s[2:3]
	v_add_u32_e32 v2, v1, v2
	v_mov_b32_e32 v1, 0
	v_lshlrev_b64 v[0:1], 2, v[0:1]
	v_mov_b32_e32 v3, s1
	v_add_co_u32_e32 v0, vcc, s0, v0
	v_addc_co_u32_e32 v1, vcc, v3, v1, vcc
	global_store_dword v[0:1], v2, off
.LBB118_6:
	s_endpgm
	.section	.rodata,"a",@progbits
	.p2align	6, 0x0
	.amdhsa_kernel _ZN7rocprim17ROCPRIM_400000_NS6detail17trampoline_kernelINS0_14default_configENS1_38merge_sort_block_merge_config_selectorIjN6thrust23THRUST_200600_302600_NS5tupleIffNS6_9null_typeES8_S8_S8_S8_S8_S8_S8_EEEEZZNS1_27merge_sort_block_merge_implIS3_NS6_6detail15normal_iteratorINS6_10device_ptrIjEEEENSD_INSE_IS9_EEEEjNS1_19radix_merge_compareILb0ELb1EjNS0_19identity_decomposerEEEEE10hipError_tT0_T1_T2_jT3_P12ihipStream_tbPNSt15iterator_traitsISN_E10value_typeEPNST_ISO_E10value_typeEPSP_NS1_7vsmem_tEENKUlT_SN_SO_SP_E_clISG_PjSI_PS9_EESM_S12_SN_SO_SP_EUlS12_E_NS1_11comp_targetILNS1_3genE4ELNS1_11target_archE910ELNS1_3gpuE8ELNS1_3repE0EEENS1_48merge_mergepath_partition_config_static_selectorELNS0_4arch9wavefront6targetE1EEEvSO_
		.amdhsa_group_segment_fixed_size 0
		.amdhsa_private_segment_fixed_size 0
		.amdhsa_kernarg_size 40
		.amdhsa_user_sgpr_count 6
		.amdhsa_user_sgpr_private_segment_buffer 1
		.amdhsa_user_sgpr_dispatch_ptr 0
		.amdhsa_user_sgpr_queue_ptr 0
		.amdhsa_user_sgpr_kernarg_segment_ptr 1
		.amdhsa_user_sgpr_dispatch_id 0
		.amdhsa_user_sgpr_flat_scratch_init 0
		.amdhsa_user_sgpr_kernarg_preload_length 0
		.amdhsa_user_sgpr_kernarg_preload_offset 0
		.amdhsa_user_sgpr_private_segment_size 0
		.amdhsa_uses_dynamic_stack 0
		.amdhsa_system_sgpr_private_segment_wavefront_offset 0
		.amdhsa_system_sgpr_workgroup_id_x 1
		.amdhsa_system_sgpr_workgroup_id_y 0
		.amdhsa_system_sgpr_workgroup_id_z 0
		.amdhsa_system_sgpr_workgroup_info 0
		.amdhsa_system_vgpr_workitem_id 0
		.amdhsa_next_free_vgpr 17
		.amdhsa_next_free_sgpr 10
		.amdhsa_accum_offset 20
		.amdhsa_reserve_vcc 1
		.amdhsa_reserve_flat_scratch 0
		.amdhsa_float_round_mode_32 0
		.amdhsa_float_round_mode_16_64 0
		.amdhsa_float_denorm_mode_32 3
		.amdhsa_float_denorm_mode_16_64 3
		.amdhsa_dx10_clamp 1
		.amdhsa_ieee_mode 1
		.amdhsa_fp16_overflow 0
		.amdhsa_tg_split 0
		.amdhsa_exception_fp_ieee_invalid_op 0
		.amdhsa_exception_fp_denorm_src 0
		.amdhsa_exception_fp_ieee_div_zero 0
		.amdhsa_exception_fp_ieee_overflow 0
		.amdhsa_exception_fp_ieee_underflow 0
		.amdhsa_exception_fp_ieee_inexact 0
		.amdhsa_exception_int_div_zero 0
	.end_amdhsa_kernel
	.section	.text._ZN7rocprim17ROCPRIM_400000_NS6detail17trampoline_kernelINS0_14default_configENS1_38merge_sort_block_merge_config_selectorIjN6thrust23THRUST_200600_302600_NS5tupleIffNS6_9null_typeES8_S8_S8_S8_S8_S8_S8_EEEEZZNS1_27merge_sort_block_merge_implIS3_NS6_6detail15normal_iteratorINS6_10device_ptrIjEEEENSD_INSE_IS9_EEEEjNS1_19radix_merge_compareILb0ELb1EjNS0_19identity_decomposerEEEEE10hipError_tT0_T1_T2_jT3_P12ihipStream_tbPNSt15iterator_traitsISN_E10value_typeEPNST_ISO_E10value_typeEPSP_NS1_7vsmem_tEENKUlT_SN_SO_SP_E_clISG_PjSI_PS9_EESM_S12_SN_SO_SP_EUlS12_E_NS1_11comp_targetILNS1_3genE4ELNS1_11target_archE910ELNS1_3gpuE8ELNS1_3repE0EEENS1_48merge_mergepath_partition_config_static_selectorELNS0_4arch9wavefront6targetE1EEEvSO_,"axG",@progbits,_ZN7rocprim17ROCPRIM_400000_NS6detail17trampoline_kernelINS0_14default_configENS1_38merge_sort_block_merge_config_selectorIjN6thrust23THRUST_200600_302600_NS5tupleIffNS6_9null_typeES8_S8_S8_S8_S8_S8_S8_EEEEZZNS1_27merge_sort_block_merge_implIS3_NS6_6detail15normal_iteratorINS6_10device_ptrIjEEEENSD_INSE_IS9_EEEEjNS1_19radix_merge_compareILb0ELb1EjNS0_19identity_decomposerEEEEE10hipError_tT0_T1_T2_jT3_P12ihipStream_tbPNSt15iterator_traitsISN_E10value_typeEPNST_ISO_E10value_typeEPSP_NS1_7vsmem_tEENKUlT_SN_SO_SP_E_clISG_PjSI_PS9_EESM_S12_SN_SO_SP_EUlS12_E_NS1_11comp_targetILNS1_3genE4ELNS1_11target_archE910ELNS1_3gpuE8ELNS1_3repE0EEENS1_48merge_mergepath_partition_config_static_selectorELNS0_4arch9wavefront6targetE1EEEvSO_,comdat
.Lfunc_end118:
	.size	_ZN7rocprim17ROCPRIM_400000_NS6detail17trampoline_kernelINS0_14default_configENS1_38merge_sort_block_merge_config_selectorIjN6thrust23THRUST_200600_302600_NS5tupleIffNS6_9null_typeES8_S8_S8_S8_S8_S8_S8_EEEEZZNS1_27merge_sort_block_merge_implIS3_NS6_6detail15normal_iteratorINS6_10device_ptrIjEEEENSD_INSE_IS9_EEEEjNS1_19radix_merge_compareILb0ELb1EjNS0_19identity_decomposerEEEEE10hipError_tT0_T1_T2_jT3_P12ihipStream_tbPNSt15iterator_traitsISN_E10value_typeEPNST_ISO_E10value_typeEPSP_NS1_7vsmem_tEENKUlT_SN_SO_SP_E_clISG_PjSI_PS9_EESM_S12_SN_SO_SP_EUlS12_E_NS1_11comp_targetILNS1_3genE4ELNS1_11target_archE910ELNS1_3gpuE8ELNS1_3repE0EEENS1_48merge_mergepath_partition_config_static_selectorELNS0_4arch9wavefront6targetE1EEEvSO_, .Lfunc_end118-_ZN7rocprim17ROCPRIM_400000_NS6detail17trampoline_kernelINS0_14default_configENS1_38merge_sort_block_merge_config_selectorIjN6thrust23THRUST_200600_302600_NS5tupleIffNS6_9null_typeES8_S8_S8_S8_S8_S8_S8_EEEEZZNS1_27merge_sort_block_merge_implIS3_NS6_6detail15normal_iteratorINS6_10device_ptrIjEEEENSD_INSE_IS9_EEEEjNS1_19radix_merge_compareILb0ELb1EjNS0_19identity_decomposerEEEEE10hipError_tT0_T1_T2_jT3_P12ihipStream_tbPNSt15iterator_traitsISN_E10value_typeEPNST_ISO_E10value_typeEPSP_NS1_7vsmem_tEENKUlT_SN_SO_SP_E_clISG_PjSI_PS9_EESM_S12_SN_SO_SP_EUlS12_E_NS1_11comp_targetILNS1_3genE4ELNS1_11target_archE910ELNS1_3gpuE8ELNS1_3repE0EEENS1_48merge_mergepath_partition_config_static_selectorELNS0_4arch9wavefront6targetE1EEEvSO_
                                        ; -- End function
	.section	.AMDGPU.csdata,"",@progbits
; Kernel info:
; codeLenInByte = 376
; NumSgprs: 14
; NumVgprs: 17
; NumAgprs: 0
; TotalNumVgprs: 17
; ScratchSize: 0
; MemoryBound: 0
; FloatMode: 240
; IeeeMode: 1
; LDSByteSize: 0 bytes/workgroup (compile time only)
; SGPRBlocks: 1
; VGPRBlocks: 2
; NumSGPRsForWavesPerEU: 14
; NumVGPRsForWavesPerEU: 17
; AccumOffset: 20
; Occupancy: 8
; WaveLimiterHint : 0
; COMPUTE_PGM_RSRC2:SCRATCH_EN: 0
; COMPUTE_PGM_RSRC2:USER_SGPR: 6
; COMPUTE_PGM_RSRC2:TRAP_HANDLER: 0
; COMPUTE_PGM_RSRC2:TGID_X_EN: 1
; COMPUTE_PGM_RSRC2:TGID_Y_EN: 0
; COMPUTE_PGM_RSRC2:TGID_Z_EN: 0
; COMPUTE_PGM_RSRC2:TIDIG_COMP_CNT: 0
; COMPUTE_PGM_RSRC3_GFX90A:ACCUM_OFFSET: 4
; COMPUTE_PGM_RSRC3_GFX90A:TG_SPLIT: 0
	.section	.text._ZN7rocprim17ROCPRIM_400000_NS6detail17trampoline_kernelINS0_14default_configENS1_38merge_sort_block_merge_config_selectorIjN6thrust23THRUST_200600_302600_NS5tupleIffNS6_9null_typeES8_S8_S8_S8_S8_S8_S8_EEEEZZNS1_27merge_sort_block_merge_implIS3_NS6_6detail15normal_iteratorINS6_10device_ptrIjEEEENSD_INSE_IS9_EEEEjNS1_19radix_merge_compareILb0ELb1EjNS0_19identity_decomposerEEEEE10hipError_tT0_T1_T2_jT3_P12ihipStream_tbPNSt15iterator_traitsISN_E10value_typeEPNST_ISO_E10value_typeEPSP_NS1_7vsmem_tEENKUlT_SN_SO_SP_E_clISG_PjSI_PS9_EESM_S12_SN_SO_SP_EUlS12_E_NS1_11comp_targetILNS1_3genE3ELNS1_11target_archE908ELNS1_3gpuE7ELNS1_3repE0EEENS1_48merge_mergepath_partition_config_static_selectorELNS0_4arch9wavefront6targetE1EEEvSO_,"axG",@progbits,_ZN7rocprim17ROCPRIM_400000_NS6detail17trampoline_kernelINS0_14default_configENS1_38merge_sort_block_merge_config_selectorIjN6thrust23THRUST_200600_302600_NS5tupleIffNS6_9null_typeES8_S8_S8_S8_S8_S8_S8_EEEEZZNS1_27merge_sort_block_merge_implIS3_NS6_6detail15normal_iteratorINS6_10device_ptrIjEEEENSD_INSE_IS9_EEEEjNS1_19radix_merge_compareILb0ELb1EjNS0_19identity_decomposerEEEEE10hipError_tT0_T1_T2_jT3_P12ihipStream_tbPNSt15iterator_traitsISN_E10value_typeEPNST_ISO_E10value_typeEPSP_NS1_7vsmem_tEENKUlT_SN_SO_SP_E_clISG_PjSI_PS9_EESM_S12_SN_SO_SP_EUlS12_E_NS1_11comp_targetILNS1_3genE3ELNS1_11target_archE908ELNS1_3gpuE7ELNS1_3repE0EEENS1_48merge_mergepath_partition_config_static_selectorELNS0_4arch9wavefront6targetE1EEEvSO_,comdat
	.protected	_ZN7rocprim17ROCPRIM_400000_NS6detail17trampoline_kernelINS0_14default_configENS1_38merge_sort_block_merge_config_selectorIjN6thrust23THRUST_200600_302600_NS5tupleIffNS6_9null_typeES8_S8_S8_S8_S8_S8_S8_EEEEZZNS1_27merge_sort_block_merge_implIS3_NS6_6detail15normal_iteratorINS6_10device_ptrIjEEEENSD_INSE_IS9_EEEEjNS1_19radix_merge_compareILb0ELb1EjNS0_19identity_decomposerEEEEE10hipError_tT0_T1_T2_jT3_P12ihipStream_tbPNSt15iterator_traitsISN_E10value_typeEPNST_ISO_E10value_typeEPSP_NS1_7vsmem_tEENKUlT_SN_SO_SP_E_clISG_PjSI_PS9_EESM_S12_SN_SO_SP_EUlS12_E_NS1_11comp_targetILNS1_3genE3ELNS1_11target_archE908ELNS1_3gpuE7ELNS1_3repE0EEENS1_48merge_mergepath_partition_config_static_selectorELNS0_4arch9wavefront6targetE1EEEvSO_ ; -- Begin function _ZN7rocprim17ROCPRIM_400000_NS6detail17trampoline_kernelINS0_14default_configENS1_38merge_sort_block_merge_config_selectorIjN6thrust23THRUST_200600_302600_NS5tupleIffNS6_9null_typeES8_S8_S8_S8_S8_S8_S8_EEEEZZNS1_27merge_sort_block_merge_implIS3_NS6_6detail15normal_iteratorINS6_10device_ptrIjEEEENSD_INSE_IS9_EEEEjNS1_19radix_merge_compareILb0ELb1EjNS0_19identity_decomposerEEEEE10hipError_tT0_T1_T2_jT3_P12ihipStream_tbPNSt15iterator_traitsISN_E10value_typeEPNST_ISO_E10value_typeEPSP_NS1_7vsmem_tEENKUlT_SN_SO_SP_E_clISG_PjSI_PS9_EESM_S12_SN_SO_SP_EUlS12_E_NS1_11comp_targetILNS1_3genE3ELNS1_11target_archE908ELNS1_3gpuE7ELNS1_3repE0EEENS1_48merge_mergepath_partition_config_static_selectorELNS0_4arch9wavefront6targetE1EEEvSO_
	.globl	_ZN7rocprim17ROCPRIM_400000_NS6detail17trampoline_kernelINS0_14default_configENS1_38merge_sort_block_merge_config_selectorIjN6thrust23THRUST_200600_302600_NS5tupleIffNS6_9null_typeES8_S8_S8_S8_S8_S8_S8_EEEEZZNS1_27merge_sort_block_merge_implIS3_NS6_6detail15normal_iteratorINS6_10device_ptrIjEEEENSD_INSE_IS9_EEEEjNS1_19radix_merge_compareILb0ELb1EjNS0_19identity_decomposerEEEEE10hipError_tT0_T1_T2_jT3_P12ihipStream_tbPNSt15iterator_traitsISN_E10value_typeEPNST_ISO_E10value_typeEPSP_NS1_7vsmem_tEENKUlT_SN_SO_SP_E_clISG_PjSI_PS9_EESM_S12_SN_SO_SP_EUlS12_E_NS1_11comp_targetILNS1_3genE3ELNS1_11target_archE908ELNS1_3gpuE7ELNS1_3repE0EEENS1_48merge_mergepath_partition_config_static_selectorELNS0_4arch9wavefront6targetE1EEEvSO_
	.p2align	8
	.type	_ZN7rocprim17ROCPRIM_400000_NS6detail17trampoline_kernelINS0_14default_configENS1_38merge_sort_block_merge_config_selectorIjN6thrust23THRUST_200600_302600_NS5tupleIffNS6_9null_typeES8_S8_S8_S8_S8_S8_S8_EEEEZZNS1_27merge_sort_block_merge_implIS3_NS6_6detail15normal_iteratorINS6_10device_ptrIjEEEENSD_INSE_IS9_EEEEjNS1_19radix_merge_compareILb0ELb1EjNS0_19identity_decomposerEEEEE10hipError_tT0_T1_T2_jT3_P12ihipStream_tbPNSt15iterator_traitsISN_E10value_typeEPNST_ISO_E10value_typeEPSP_NS1_7vsmem_tEENKUlT_SN_SO_SP_E_clISG_PjSI_PS9_EESM_S12_SN_SO_SP_EUlS12_E_NS1_11comp_targetILNS1_3genE3ELNS1_11target_archE908ELNS1_3gpuE7ELNS1_3repE0EEENS1_48merge_mergepath_partition_config_static_selectorELNS0_4arch9wavefront6targetE1EEEvSO_,@function
_ZN7rocprim17ROCPRIM_400000_NS6detail17trampoline_kernelINS0_14default_configENS1_38merge_sort_block_merge_config_selectorIjN6thrust23THRUST_200600_302600_NS5tupleIffNS6_9null_typeES8_S8_S8_S8_S8_S8_S8_EEEEZZNS1_27merge_sort_block_merge_implIS3_NS6_6detail15normal_iteratorINS6_10device_ptrIjEEEENSD_INSE_IS9_EEEEjNS1_19radix_merge_compareILb0ELb1EjNS0_19identity_decomposerEEEEE10hipError_tT0_T1_T2_jT3_P12ihipStream_tbPNSt15iterator_traitsISN_E10value_typeEPNST_ISO_E10value_typeEPSP_NS1_7vsmem_tEENKUlT_SN_SO_SP_E_clISG_PjSI_PS9_EESM_S12_SN_SO_SP_EUlS12_E_NS1_11comp_targetILNS1_3genE3ELNS1_11target_archE908ELNS1_3gpuE7ELNS1_3repE0EEENS1_48merge_mergepath_partition_config_static_selectorELNS0_4arch9wavefront6targetE1EEEvSO_: ; @_ZN7rocprim17ROCPRIM_400000_NS6detail17trampoline_kernelINS0_14default_configENS1_38merge_sort_block_merge_config_selectorIjN6thrust23THRUST_200600_302600_NS5tupleIffNS6_9null_typeES8_S8_S8_S8_S8_S8_S8_EEEEZZNS1_27merge_sort_block_merge_implIS3_NS6_6detail15normal_iteratorINS6_10device_ptrIjEEEENSD_INSE_IS9_EEEEjNS1_19radix_merge_compareILb0ELb1EjNS0_19identity_decomposerEEEEE10hipError_tT0_T1_T2_jT3_P12ihipStream_tbPNSt15iterator_traitsISN_E10value_typeEPNST_ISO_E10value_typeEPSP_NS1_7vsmem_tEENKUlT_SN_SO_SP_E_clISG_PjSI_PS9_EESM_S12_SN_SO_SP_EUlS12_E_NS1_11comp_targetILNS1_3genE3ELNS1_11target_archE908ELNS1_3gpuE7ELNS1_3repE0EEENS1_48merge_mergepath_partition_config_static_selectorELNS0_4arch9wavefront6targetE1EEEvSO_
; %bb.0:
	.section	.rodata,"a",@progbits
	.p2align	6, 0x0
	.amdhsa_kernel _ZN7rocprim17ROCPRIM_400000_NS6detail17trampoline_kernelINS0_14default_configENS1_38merge_sort_block_merge_config_selectorIjN6thrust23THRUST_200600_302600_NS5tupleIffNS6_9null_typeES8_S8_S8_S8_S8_S8_S8_EEEEZZNS1_27merge_sort_block_merge_implIS3_NS6_6detail15normal_iteratorINS6_10device_ptrIjEEEENSD_INSE_IS9_EEEEjNS1_19radix_merge_compareILb0ELb1EjNS0_19identity_decomposerEEEEE10hipError_tT0_T1_T2_jT3_P12ihipStream_tbPNSt15iterator_traitsISN_E10value_typeEPNST_ISO_E10value_typeEPSP_NS1_7vsmem_tEENKUlT_SN_SO_SP_E_clISG_PjSI_PS9_EESM_S12_SN_SO_SP_EUlS12_E_NS1_11comp_targetILNS1_3genE3ELNS1_11target_archE908ELNS1_3gpuE7ELNS1_3repE0EEENS1_48merge_mergepath_partition_config_static_selectorELNS0_4arch9wavefront6targetE1EEEvSO_
		.amdhsa_group_segment_fixed_size 0
		.amdhsa_private_segment_fixed_size 0
		.amdhsa_kernarg_size 40
		.amdhsa_user_sgpr_count 6
		.amdhsa_user_sgpr_private_segment_buffer 1
		.amdhsa_user_sgpr_dispatch_ptr 0
		.amdhsa_user_sgpr_queue_ptr 0
		.amdhsa_user_sgpr_kernarg_segment_ptr 1
		.amdhsa_user_sgpr_dispatch_id 0
		.amdhsa_user_sgpr_flat_scratch_init 0
		.amdhsa_user_sgpr_kernarg_preload_length 0
		.amdhsa_user_sgpr_kernarg_preload_offset 0
		.amdhsa_user_sgpr_private_segment_size 0
		.amdhsa_uses_dynamic_stack 0
		.amdhsa_system_sgpr_private_segment_wavefront_offset 0
		.amdhsa_system_sgpr_workgroup_id_x 1
		.amdhsa_system_sgpr_workgroup_id_y 0
		.amdhsa_system_sgpr_workgroup_id_z 0
		.amdhsa_system_sgpr_workgroup_info 0
		.amdhsa_system_vgpr_workitem_id 0
		.amdhsa_next_free_vgpr 1
		.amdhsa_next_free_sgpr 0
		.amdhsa_accum_offset 4
		.amdhsa_reserve_vcc 0
		.amdhsa_reserve_flat_scratch 0
		.amdhsa_float_round_mode_32 0
		.amdhsa_float_round_mode_16_64 0
		.amdhsa_float_denorm_mode_32 3
		.amdhsa_float_denorm_mode_16_64 3
		.amdhsa_dx10_clamp 1
		.amdhsa_ieee_mode 1
		.amdhsa_fp16_overflow 0
		.amdhsa_tg_split 0
		.amdhsa_exception_fp_ieee_invalid_op 0
		.amdhsa_exception_fp_denorm_src 0
		.amdhsa_exception_fp_ieee_div_zero 0
		.amdhsa_exception_fp_ieee_overflow 0
		.amdhsa_exception_fp_ieee_underflow 0
		.amdhsa_exception_fp_ieee_inexact 0
		.amdhsa_exception_int_div_zero 0
	.end_amdhsa_kernel
	.section	.text._ZN7rocprim17ROCPRIM_400000_NS6detail17trampoline_kernelINS0_14default_configENS1_38merge_sort_block_merge_config_selectorIjN6thrust23THRUST_200600_302600_NS5tupleIffNS6_9null_typeES8_S8_S8_S8_S8_S8_S8_EEEEZZNS1_27merge_sort_block_merge_implIS3_NS6_6detail15normal_iteratorINS6_10device_ptrIjEEEENSD_INSE_IS9_EEEEjNS1_19radix_merge_compareILb0ELb1EjNS0_19identity_decomposerEEEEE10hipError_tT0_T1_T2_jT3_P12ihipStream_tbPNSt15iterator_traitsISN_E10value_typeEPNST_ISO_E10value_typeEPSP_NS1_7vsmem_tEENKUlT_SN_SO_SP_E_clISG_PjSI_PS9_EESM_S12_SN_SO_SP_EUlS12_E_NS1_11comp_targetILNS1_3genE3ELNS1_11target_archE908ELNS1_3gpuE7ELNS1_3repE0EEENS1_48merge_mergepath_partition_config_static_selectorELNS0_4arch9wavefront6targetE1EEEvSO_,"axG",@progbits,_ZN7rocprim17ROCPRIM_400000_NS6detail17trampoline_kernelINS0_14default_configENS1_38merge_sort_block_merge_config_selectorIjN6thrust23THRUST_200600_302600_NS5tupleIffNS6_9null_typeES8_S8_S8_S8_S8_S8_S8_EEEEZZNS1_27merge_sort_block_merge_implIS3_NS6_6detail15normal_iteratorINS6_10device_ptrIjEEEENSD_INSE_IS9_EEEEjNS1_19radix_merge_compareILb0ELb1EjNS0_19identity_decomposerEEEEE10hipError_tT0_T1_T2_jT3_P12ihipStream_tbPNSt15iterator_traitsISN_E10value_typeEPNST_ISO_E10value_typeEPSP_NS1_7vsmem_tEENKUlT_SN_SO_SP_E_clISG_PjSI_PS9_EESM_S12_SN_SO_SP_EUlS12_E_NS1_11comp_targetILNS1_3genE3ELNS1_11target_archE908ELNS1_3gpuE7ELNS1_3repE0EEENS1_48merge_mergepath_partition_config_static_selectorELNS0_4arch9wavefront6targetE1EEEvSO_,comdat
.Lfunc_end119:
	.size	_ZN7rocprim17ROCPRIM_400000_NS6detail17trampoline_kernelINS0_14default_configENS1_38merge_sort_block_merge_config_selectorIjN6thrust23THRUST_200600_302600_NS5tupleIffNS6_9null_typeES8_S8_S8_S8_S8_S8_S8_EEEEZZNS1_27merge_sort_block_merge_implIS3_NS6_6detail15normal_iteratorINS6_10device_ptrIjEEEENSD_INSE_IS9_EEEEjNS1_19radix_merge_compareILb0ELb1EjNS0_19identity_decomposerEEEEE10hipError_tT0_T1_T2_jT3_P12ihipStream_tbPNSt15iterator_traitsISN_E10value_typeEPNST_ISO_E10value_typeEPSP_NS1_7vsmem_tEENKUlT_SN_SO_SP_E_clISG_PjSI_PS9_EESM_S12_SN_SO_SP_EUlS12_E_NS1_11comp_targetILNS1_3genE3ELNS1_11target_archE908ELNS1_3gpuE7ELNS1_3repE0EEENS1_48merge_mergepath_partition_config_static_selectorELNS0_4arch9wavefront6targetE1EEEvSO_, .Lfunc_end119-_ZN7rocprim17ROCPRIM_400000_NS6detail17trampoline_kernelINS0_14default_configENS1_38merge_sort_block_merge_config_selectorIjN6thrust23THRUST_200600_302600_NS5tupleIffNS6_9null_typeES8_S8_S8_S8_S8_S8_S8_EEEEZZNS1_27merge_sort_block_merge_implIS3_NS6_6detail15normal_iteratorINS6_10device_ptrIjEEEENSD_INSE_IS9_EEEEjNS1_19radix_merge_compareILb0ELb1EjNS0_19identity_decomposerEEEEE10hipError_tT0_T1_T2_jT3_P12ihipStream_tbPNSt15iterator_traitsISN_E10value_typeEPNST_ISO_E10value_typeEPSP_NS1_7vsmem_tEENKUlT_SN_SO_SP_E_clISG_PjSI_PS9_EESM_S12_SN_SO_SP_EUlS12_E_NS1_11comp_targetILNS1_3genE3ELNS1_11target_archE908ELNS1_3gpuE7ELNS1_3repE0EEENS1_48merge_mergepath_partition_config_static_selectorELNS0_4arch9wavefront6targetE1EEEvSO_
                                        ; -- End function
	.section	.AMDGPU.csdata,"",@progbits
; Kernel info:
; codeLenInByte = 0
; NumSgprs: 4
; NumVgprs: 0
; NumAgprs: 0
; TotalNumVgprs: 0
; ScratchSize: 0
; MemoryBound: 0
; FloatMode: 240
; IeeeMode: 1
; LDSByteSize: 0 bytes/workgroup (compile time only)
; SGPRBlocks: 0
; VGPRBlocks: 0
; NumSGPRsForWavesPerEU: 4
; NumVGPRsForWavesPerEU: 1
; AccumOffset: 4
; Occupancy: 8
; WaveLimiterHint : 0
; COMPUTE_PGM_RSRC2:SCRATCH_EN: 0
; COMPUTE_PGM_RSRC2:USER_SGPR: 6
; COMPUTE_PGM_RSRC2:TRAP_HANDLER: 0
; COMPUTE_PGM_RSRC2:TGID_X_EN: 1
; COMPUTE_PGM_RSRC2:TGID_Y_EN: 0
; COMPUTE_PGM_RSRC2:TGID_Z_EN: 0
; COMPUTE_PGM_RSRC2:TIDIG_COMP_CNT: 0
; COMPUTE_PGM_RSRC3_GFX90A:ACCUM_OFFSET: 0
; COMPUTE_PGM_RSRC3_GFX90A:TG_SPLIT: 0
	.section	.text._ZN7rocprim17ROCPRIM_400000_NS6detail17trampoline_kernelINS0_14default_configENS1_38merge_sort_block_merge_config_selectorIjN6thrust23THRUST_200600_302600_NS5tupleIffNS6_9null_typeES8_S8_S8_S8_S8_S8_S8_EEEEZZNS1_27merge_sort_block_merge_implIS3_NS6_6detail15normal_iteratorINS6_10device_ptrIjEEEENSD_INSE_IS9_EEEEjNS1_19radix_merge_compareILb0ELb1EjNS0_19identity_decomposerEEEEE10hipError_tT0_T1_T2_jT3_P12ihipStream_tbPNSt15iterator_traitsISN_E10value_typeEPNST_ISO_E10value_typeEPSP_NS1_7vsmem_tEENKUlT_SN_SO_SP_E_clISG_PjSI_PS9_EESM_S12_SN_SO_SP_EUlS12_E_NS1_11comp_targetILNS1_3genE2ELNS1_11target_archE906ELNS1_3gpuE6ELNS1_3repE0EEENS1_48merge_mergepath_partition_config_static_selectorELNS0_4arch9wavefront6targetE1EEEvSO_,"axG",@progbits,_ZN7rocprim17ROCPRIM_400000_NS6detail17trampoline_kernelINS0_14default_configENS1_38merge_sort_block_merge_config_selectorIjN6thrust23THRUST_200600_302600_NS5tupleIffNS6_9null_typeES8_S8_S8_S8_S8_S8_S8_EEEEZZNS1_27merge_sort_block_merge_implIS3_NS6_6detail15normal_iteratorINS6_10device_ptrIjEEEENSD_INSE_IS9_EEEEjNS1_19radix_merge_compareILb0ELb1EjNS0_19identity_decomposerEEEEE10hipError_tT0_T1_T2_jT3_P12ihipStream_tbPNSt15iterator_traitsISN_E10value_typeEPNST_ISO_E10value_typeEPSP_NS1_7vsmem_tEENKUlT_SN_SO_SP_E_clISG_PjSI_PS9_EESM_S12_SN_SO_SP_EUlS12_E_NS1_11comp_targetILNS1_3genE2ELNS1_11target_archE906ELNS1_3gpuE6ELNS1_3repE0EEENS1_48merge_mergepath_partition_config_static_selectorELNS0_4arch9wavefront6targetE1EEEvSO_,comdat
	.protected	_ZN7rocprim17ROCPRIM_400000_NS6detail17trampoline_kernelINS0_14default_configENS1_38merge_sort_block_merge_config_selectorIjN6thrust23THRUST_200600_302600_NS5tupleIffNS6_9null_typeES8_S8_S8_S8_S8_S8_S8_EEEEZZNS1_27merge_sort_block_merge_implIS3_NS6_6detail15normal_iteratorINS6_10device_ptrIjEEEENSD_INSE_IS9_EEEEjNS1_19radix_merge_compareILb0ELb1EjNS0_19identity_decomposerEEEEE10hipError_tT0_T1_T2_jT3_P12ihipStream_tbPNSt15iterator_traitsISN_E10value_typeEPNST_ISO_E10value_typeEPSP_NS1_7vsmem_tEENKUlT_SN_SO_SP_E_clISG_PjSI_PS9_EESM_S12_SN_SO_SP_EUlS12_E_NS1_11comp_targetILNS1_3genE2ELNS1_11target_archE906ELNS1_3gpuE6ELNS1_3repE0EEENS1_48merge_mergepath_partition_config_static_selectorELNS0_4arch9wavefront6targetE1EEEvSO_ ; -- Begin function _ZN7rocprim17ROCPRIM_400000_NS6detail17trampoline_kernelINS0_14default_configENS1_38merge_sort_block_merge_config_selectorIjN6thrust23THRUST_200600_302600_NS5tupleIffNS6_9null_typeES8_S8_S8_S8_S8_S8_S8_EEEEZZNS1_27merge_sort_block_merge_implIS3_NS6_6detail15normal_iteratorINS6_10device_ptrIjEEEENSD_INSE_IS9_EEEEjNS1_19radix_merge_compareILb0ELb1EjNS0_19identity_decomposerEEEEE10hipError_tT0_T1_T2_jT3_P12ihipStream_tbPNSt15iterator_traitsISN_E10value_typeEPNST_ISO_E10value_typeEPSP_NS1_7vsmem_tEENKUlT_SN_SO_SP_E_clISG_PjSI_PS9_EESM_S12_SN_SO_SP_EUlS12_E_NS1_11comp_targetILNS1_3genE2ELNS1_11target_archE906ELNS1_3gpuE6ELNS1_3repE0EEENS1_48merge_mergepath_partition_config_static_selectorELNS0_4arch9wavefront6targetE1EEEvSO_
	.globl	_ZN7rocprim17ROCPRIM_400000_NS6detail17trampoline_kernelINS0_14default_configENS1_38merge_sort_block_merge_config_selectorIjN6thrust23THRUST_200600_302600_NS5tupleIffNS6_9null_typeES8_S8_S8_S8_S8_S8_S8_EEEEZZNS1_27merge_sort_block_merge_implIS3_NS6_6detail15normal_iteratorINS6_10device_ptrIjEEEENSD_INSE_IS9_EEEEjNS1_19radix_merge_compareILb0ELb1EjNS0_19identity_decomposerEEEEE10hipError_tT0_T1_T2_jT3_P12ihipStream_tbPNSt15iterator_traitsISN_E10value_typeEPNST_ISO_E10value_typeEPSP_NS1_7vsmem_tEENKUlT_SN_SO_SP_E_clISG_PjSI_PS9_EESM_S12_SN_SO_SP_EUlS12_E_NS1_11comp_targetILNS1_3genE2ELNS1_11target_archE906ELNS1_3gpuE6ELNS1_3repE0EEENS1_48merge_mergepath_partition_config_static_selectorELNS0_4arch9wavefront6targetE1EEEvSO_
	.p2align	8
	.type	_ZN7rocprim17ROCPRIM_400000_NS6detail17trampoline_kernelINS0_14default_configENS1_38merge_sort_block_merge_config_selectorIjN6thrust23THRUST_200600_302600_NS5tupleIffNS6_9null_typeES8_S8_S8_S8_S8_S8_S8_EEEEZZNS1_27merge_sort_block_merge_implIS3_NS6_6detail15normal_iteratorINS6_10device_ptrIjEEEENSD_INSE_IS9_EEEEjNS1_19radix_merge_compareILb0ELb1EjNS0_19identity_decomposerEEEEE10hipError_tT0_T1_T2_jT3_P12ihipStream_tbPNSt15iterator_traitsISN_E10value_typeEPNST_ISO_E10value_typeEPSP_NS1_7vsmem_tEENKUlT_SN_SO_SP_E_clISG_PjSI_PS9_EESM_S12_SN_SO_SP_EUlS12_E_NS1_11comp_targetILNS1_3genE2ELNS1_11target_archE906ELNS1_3gpuE6ELNS1_3repE0EEENS1_48merge_mergepath_partition_config_static_selectorELNS0_4arch9wavefront6targetE1EEEvSO_,@function
_ZN7rocprim17ROCPRIM_400000_NS6detail17trampoline_kernelINS0_14default_configENS1_38merge_sort_block_merge_config_selectorIjN6thrust23THRUST_200600_302600_NS5tupleIffNS6_9null_typeES8_S8_S8_S8_S8_S8_S8_EEEEZZNS1_27merge_sort_block_merge_implIS3_NS6_6detail15normal_iteratorINS6_10device_ptrIjEEEENSD_INSE_IS9_EEEEjNS1_19radix_merge_compareILb0ELb1EjNS0_19identity_decomposerEEEEE10hipError_tT0_T1_T2_jT3_P12ihipStream_tbPNSt15iterator_traitsISN_E10value_typeEPNST_ISO_E10value_typeEPSP_NS1_7vsmem_tEENKUlT_SN_SO_SP_E_clISG_PjSI_PS9_EESM_S12_SN_SO_SP_EUlS12_E_NS1_11comp_targetILNS1_3genE2ELNS1_11target_archE906ELNS1_3gpuE6ELNS1_3repE0EEENS1_48merge_mergepath_partition_config_static_selectorELNS0_4arch9wavefront6targetE1EEEvSO_: ; @_ZN7rocprim17ROCPRIM_400000_NS6detail17trampoline_kernelINS0_14default_configENS1_38merge_sort_block_merge_config_selectorIjN6thrust23THRUST_200600_302600_NS5tupleIffNS6_9null_typeES8_S8_S8_S8_S8_S8_S8_EEEEZZNS1_27merge_sort_block_merge_implIS3_NS6_6detail15normal_iteratorINS6_10device_ptrIjEEEENSD_INSE_IS9_EEEEjNS1_19radix_merge_compareILb0ELb1EjNS0_19identity_decomposerEEEEE10hipError_tT0_T1_T2_jT3_P12ihipStream_tbPNSt15iterator_traitsISN_E10value_typeEPNST_ISO_E10value_typeEPSP_NS1_7vsmem_tEENKUlT_SN_SO_SP_E_clISG_PjSI_PS9_EESM_S12_SN_SO_SP_EUlS12_E_NS1_11comp_targetILNS1_3genE2ELNS1_11target_archE906ELNS1_3gpuE6ELNS1_3repE0EEENS1_48merge_mergepath_partition_config_static_selectorELNS0_4arch9wavefront6targetE1EEEvSO_
; %bb.0:
	.section	.rodata,"a",@progbits
	.p2align	6, 0x0
	.amdhsa_kernel _ZN7rocprim17ROCPRIM_400000_NS6detail17trampoline_kernelINS0_14default_configENS1_38merge_sort_block_merge_config_selectorIjN6thrust23THRUST_200600_302600_NS5tupleIffNS6_9null_typeES8_S8_S8_S8_S8_S8_S8_EEEEZZNS1_27merge_sort_block_merge_implIS3_NS6_6detail15normal_iteratorINS6_10device_ptrIjEEEENSD_INSE_IS9_EEEEjNS1_19radix_merge_compareILb0ELb1EjNS0_19identity_decomposerEEEEE10hipError_tT0_T1_T2_jT3_P12ihipStream_tbPNSt15iterator_traitsISN_E10value_typeEPNST_ISO_E10value_typeEPSP_NS1_7vsmem_tEENKUlT_SN_SO_SP_E_clISG_PjSI_PS9_EESM_S12_SN_SO_SP_EUlS12_E_NS1_11comp_targetILNS1_3genE2ELNS1_11target_archE906ELNS1_3gpuE6ELNS1_3repE0EEENS1_48merge_mergepath_partition_config_static_selectorELNS0_4arch9wavefront6targetE1EEEvSO_
		.amdhsa_group_segment_fixed_size 0
		.amdhsa_private_segment_fixed_size 0
		.amdhsa_kernarg_size 40
		.amdhsa_user_sgpr_count 6
		.amdhsa_user_sgpr_private_segment_buffer 1
		.amdhsa_user_sgpr_dispatch_ptr 0
		.amdhsa_user_sgpr_queue_ptr 0
		.amdhsa_user_sgpr_kernarg_segment_ptr 1
		.amdhsa_user_sgpr_dispatch_id 0
		.amdhsa_user_sgpr_flat_scratch_init 0
		.amdhsa_user_sgpr_kernarg_preload_length 0
		.amdhsa_user_sgpr_kernarg_preload_offset 0
		.amdhsa_user_sgpr_private_segment_size 0
		.amdhsa_uses_dynamic_stack 0
		.amdhsa_system_sgpr_private_segment_wavefront_offset 0
		.amdhsa_system_sgpr_workgroup_id_x 1
		.amdhsa_system_sgpr_workgroup_id_y 0
		.amdhsa_system_sgpr_workgroup_id_z 0
		.amdhsa_system_sgpr_workgroup_info 0
		.amdhsa_system_vgpr_workitem_id 0
		.amdhsa_next_free_vgpr 1
		.amdhsa_next_free_sgpr 0
		.amdhsa_accum_offset 4
		.amdhsa_reserve_vcc 0
		.amdhsa_reserve_flat_scratch 0
		.amdhsa_float_round_mode_32 0
		.amdhsa_float_round_mode_16_64 0
		.amdhsa_float_denorm_mode_32 3
		.amdhsa_float_denorm_mode_16_64 3
		.amdhsa_dx10_clamp 1
		.amdhsa_ieee_mode 1
		.amdhsa_fp16_overflow 0
		.amdhsa_tg_split 0
		.amdhsa_exception_fp_ieee_invalid_op 0
		.amdhsa_exception_fp_denorm_src 0
		.amdhsa_exception_fp_ieee_div_zero 0
		.amdhsa_exception_fp_ieee_overflow 0
		.amdhsa_exception_fp_ieee_underflow 0
		.amdhsa_exception_fp_ieee_inexact 0
		.amdhsa_exception_int_div_zero 0
	.end_amdhsa_kernel
	.section	.text._ZN7rocprim17ROCPRIM_400000_NS6detail17trampoline_kernelINS0_14default_configENS1_38merge_sort_block_merge_config_selectorIjN6thrust23THRUST_200600_302600_NS5tupleIffNS6_9null_typeES8_S8_S8_S8_S8_S8_S8_EEEEZZNS1_27merge_sort_block_merge_implIS3_NS6_6detail15normal_iteratorINS6_10device_ptrIjEEEENSD_INSE_IS9_EEEEjNS1_19radix_merge_compareILb0ELb1EjNS0_19identity_decomposerEEEEE10hipError_tT0_T1_T2_jT3_P12ihipStream_tbPNSt15iterator_traitsISN_E10value_typeEPNST_ISO_E10value_typeEPSP_NS1_7vsmem_tEENKUlT_SN_SO_SP_E_clISG_PjSI_PS9_EESM_S12_SN_SO_SP_EUlS12_E_NS1_11comp_targetILNS1_3genE2ELNS1_11target_archE906ELNS1_3gpuE6ELNS1_3repE0EEENS1_48merge_mergepath_partition_config_static_selectorELNS0_4arch9wavefront6targetE1EEEvSO_,"axG",@progbits,_ZN7rocprim17ROCPRIM_400000_NS6detail17trampoline_kernelINS0_14default_configENS1_38merge_sort_block_merge_config_selectorIjN6thrust23THRUST_200600_302600_NS5tupleIffNS6_9null_typeES8_S8_S8_S8_S8_S8_S8_EEEEZZNS1_27merge_sort_block_merge_implIS3_NS6_6detail15normal_iteratorINS6_10device_ptrIjEEEENSD_INSE_IS9_EEEEjNS1_19radix_merge_compareILb0ELb1EjNS0_19identity_decomposerEEEEE10hipError_tT0_T1_T2_jT3_P12ihipStream_tbPNSt15iterator_traitsISN_E10value_typeEPNST_ISO_E10value_typeEPSP_NS1_7vsmem_tEENKUlT_SN_SO_SP_E_clISG_PjSI_PS9_EESM_S12_SN_SO_SP_EUlS12_E_NS1_11comp_targetILNS1_3genE2ELNS1_11target_archE906ELNS1_3gpuE6ELNS1_3repE0EEENS1_48merge_mergepath_partition_config_static_selectorELNS0_4arch9wavefront6targetE1EEEvSO_,comdat
.Lfunc_end120:
	.size	_ZN7rocprim17ROCPRIM_400000_NS6detail17trampoline_kernelINS0_14default_configENS1_38merge_sort_block_merge_config_selectorIjN6thrust23THRUST_200600_302600_NS5tupleIffNS6_9null_typeES8_S8_S8_S8_S8_S8_S8_EEEEZZNS1_27merge_sort_block_merge_implIS3_NS6_6detail15normal_iteratorINS6_10device_ptrIjEEEENSD_INSE_IS9_EEEEjNS1_19radix_merge_compareILb0ELb1EjNS0_19identity_decomposerEEEEE10hipError_tT0_T1_T2_jT3_P12ihipStream_tbPNSt15iterator_traitsISN_E10value_typeEPNST_ISO_E10value_typeEPSP_NS1_7vsmem_tEENKUlT_SN_SO_SP_E_clISG_PjSI_PS9_EESM_S12_SN_SO_SP_EUlS12_E_NS1_11comp_targetILNS1_3genE2ELNS1_11target_archE906ELNS1_3gpuE6ELNS1_3repE0EEENS1_48merge_mergepath_partition_config_static_selectorELNS0_4arch9wavefront6targetE1EEEvSO_, .Lfunc_end120-_ZN7rocprim17ROCPRIM_400000_NS6detail17trampoline_kernelINS0_14default_configENS1_38merge_sort_block_merge_config_selectorIjN6thrust23THRUST_200600_302600_NS5tupleIffNS6_9null_typeES8_S8_S8_S8_S8_S8_S8_EEEEZZNS1_27merge_sort_block_merge_implIS3_NS6_6detail15normal_iteratorINS6_10device_ptrIjEEEENSD_INSE_IS9_EEEEjNS1_19radix_merge_compareILb0ELb1EjNS0_19identity_decomposerEEEEE10hipError_tT0_T1_T2_jT3_P12ihipStream_tbPNSt15iterator_traitsISN_E10value_typeEPNST_ISO_E10value_typeEPSP_NS1_7vsmem_tEENKUlT_SN_SO_SP_E_clISG_PjSI_PS9_EESM_S12_SN_SO_SP_EUlS12_E_NS1_11comp_targetILNS1_3genE2ELNS1_11target_archE906ELNS1_3gpuE6ELNS1_3repE0EEENS1_48merge_mergepath_partition_config_static_selectorELNS0_4arch9wavefront6targetE1EEEvSO_
                                        ; -- End function
	.section	.AMDGPU.csdata,"",@progbits
; Kernel info:
; codeLenInByte = 0
; NumSgprs: 4
; NumVgprs: 0
; NumAgprs: 0
; TotalNumVgprs: 0
; ScratchSize: 0
; MemoryBound: 0
; FloatMode: 240
; IeeeMode: 1
; LDSByteSize: 0 bytes/workgroup (compile time only)
; SGPRBlocks: 0
; VGPRBlocks: 0
; NumSGPRsForWavesPerEU: 4
; NumVGPRsForWavesPerEU: 1
; AccumOffset: 4
; Occupancy: 8
; WaveLimiterHint : 0
; COMPUTE_PGM_RSRC2:SCRATCH_EN: 0
; COMPUTE_PGM_RSRC2:USER_SGPR: 6
; COMPUTE_PGM_RSRC2:TRAP_HANDLER: 0
; COMPUTE_PGM_RSRC2:TGID_X_EN: 1
; COMPUTE_PGM_RSRC2:TGID_Y_EN: 0
; COMPUTE_PGM_RSRC2:TGID_Z_EN: 0
; COMPUTE_PGM_RSRC2:TIDIG_COMP_CNT: 0
; COMPUTE_PGM_RSRC3_GFX90A:ACCUM_OFFSET: 0
; COMPUTE_PGM_RSRC3_GFX90A:TG_SPLIT: 0
	.section	.text._ZN7rocprim17ROCPRIM_400000_NS6detail17trampoline_kernelINS0_14default_configENS1_38merge_sort_block_merge_config_selectorIjN6thrust23THRUST_200600_302600_NS5tupleIffNS6_9null_typeES8_S8_S8_S8_S8_S8_S8_EEEEZZNS1_27merge_sort_block_merge_implIS3_NS6_6detail15normal_iteratorINS6_10device_ptrIjEEEENSD_INSE_IS9_EEEEjNS1_19radix_merge_compareILb0ELb1EjNS0_19identity_decomposerEEEEE10hipError_tT0_T1_T2_jT3_P12ihipStream_tbPNSt15iterator_traitsISN_E10value_typeEPNST_ISO_E10value_typeEPSP_NS1_7vsmem_tEENKUlT_SN_SO_SP_E_clISG_PjSI_PS9_EESM_S12_SN_SO_SP_EUlS12_E_NS1_11comp_targetILNS1_3genE9ELNS1_11target_archE1100ELNS1_3gpuE3ELNS1_3repE0EEENS1_48merge_mergepath_partition_config_static_selectorELNS0_4arch9wavefront6targetE1EEEvSO_,"axG",@progbits,_ZN7rocprim17ROCPRIM_400000_NS6detail17trampoline_kernelINS0_14default_configENS1_38merge_sort_block_merge_config_selectorIjN6thrust23THRUST_200600_302600_NS5tupleIffNS6_9null_typeES8_S8_S8_S8_S8_S8_S8_EEEEZZNS1_27merge_sort_block_merge_implIS3_NS6_6detail15normal_iteratorINS6_10device_ptrIjEEEENSD_INSE_IS9_EEEEjNS1_19radix_merge_compareILb0ELb1EjNS0_19identity_decomposerEEEEE10hipError_tT0_T1_T2_jT3_P12ihipStream_tbPNSt15iterator_traitsISN_E10value_typeEPNST_ISO_E10value_typeEPSP_NS1_7vsmem_tEENKUlT_SN_SO_SP_E_clISG_PjSI_PS9_EESM_S12_SN_SO_SP_EUlS12_E_NS1_11comp_targetILNS1_3genE9ELNS1_11target_archE1100ELNS1_3gpuE3ELNS1_3repE0EEENS1_48merge_mergepath_partition_config_static_selectorELNS0_4arch9wavefront6targetE1EEEvSO_,comdat
	.protected	_ZN7rocprim17ROCPRIM_400000_NS6detail17trampoline_kernelINS0_14default_configENS1_38merge_sort_block_merge_config_selectorIjN6thrust23THRUST_200600_302600_NS5tupleIffNS6_9null_typeES8_S8_S8_S8_S8_S8_S8_EEEEZZNS1_27merge_sort_block_merge_implIS3_NS6_6detail15normal_iteratorINS6_10device_ptrIjEEEENSD_INSE_IS9_EEEEjNS1_19radix_merge_compareILb0ELb1EjNS0_19identity_decomposerEEEEE10hipError_tT0_T1_T2_jT3_P12ihipStream_tbPNSt15iterator_traitsISN_E10value_typeEPNST_ISO_E10value_typeEPSP_NS1_7vsmem_tEENKUlT_SN_SO_SP_E_clISG_PjSI_PS9_EESM_S12_SN_SO_SP_EUlS12_E_NS1_11comp_targetILNS1_3genE9ELNS1_11target_archE1100ELNS1_3gpuE3ELNS1_3repE0EEENS1_48merge_mergepath_partition_config_static_selectorELNS0_4arch9wavefront6targetE1EEEvSO_ ; -- Begin function _ZN7rocprim17ROCPRIM_400000_NS6detail17trampoline_kernelINS0_14default_configENS1_38merge_sort_block_merge_config_selectorIjN6thrust23THRUST_200600_302600_NS5tupleIffNS6_9null_typeES8_S8_S8_S8_S8_S8_S8_EEEEZZNS1_27merge_sort_block_merge_implIS3_NS6_6detail15normal_iteratorINS6_10device_ptrIjEEEENSD_INSE_IS9_EEEEjNS1_19radix_merge_compareILb0ELb1EjNS0_19identity_decomposerEEEEE10hipError_tT0_T1_T2_jT3_P12ihipStream_tbPNSt15iterator_traitsISN_E10value_typeEPNST_ISO_E10value_typeEPSP_NS1_7vsmem_tEENKUlT_SN_SO_SP_E_clISG_PjSI_PS9_EESM_S12_SN_SO_SP_EUlS12_E_NS1_11comp_targetILNS1_3genE9ELNS1_11target_archE1100ELNS1_3gpuE3ELNS1_3repE0EEENS1_48merge_mergepath_partition_config_static_selectorELNS0_4arch9wavefront6targetE1EEEvSO_
	.globl	_ZN7rocprim17ROCPRIM_400000_NS6detail17trampoline_kernelINS0_14default_configENS1_38merge_sort_block_merge_config_selectorIjN6thrust23THRUST_200600_302600_NS5tupleIffNS6_9null_typeES8_S8_S8_S8_S8_S8_S8_EEEEZZNS1_27merge_sort_block_merge_implIS3_NS6_6detail15normal_iteratorINS6_10device_ptrIjEEEENSD_INSE_IS9_EEEEjNS1_19radix_merge_compareILb0ELb1EjNS0_19identity_decomposerEEEEE10hipError_tT0_T1_T2_jT3_P12ihipStream_tbPNSt15iterator_traitsISN_E10value_typeEPNST_ISO_E10value_typeEPSP_NS1_7vsmem_tEENKUlT_SN_SO_SP_E_clISG_PjSI_PS9_EESM_S12_SN_SO_SP_EUlS12_E_NS1_11comp_targetILNS1_3genE9ELNS1_11target_archE1100ELNS1_3gpuE3ELNS1_3repE0EEENS1_48merge_mergepath_partition_config_static_selectorELNS0_4arch9wavefront6targetE1EEEvSO_
	.p2align	8
	.type	_ZN7rocprim17ROCPRIM_400000_NS6detail17trampoline_kernelINS0_14default_configENS1_38merge_sort_block_merge_config_selectorIjN6thrust23THRUST_200600_302600_NS5tupleIffNS6_9null_typeES8_S8_S8_S8_S8_S8_S8_EEEEZZNS1_27merge_sort_block_merge_implIS3_NS6_6detail15normal_iteratorINS6_10device_ptrIjEEEENSD_INSE_IS9_EEEEjNS1_19radix_merge_compareILb0ELb1EjNS0_19identity_decomposerEEEEE10hipError_tT0_T1_T2_jT3_P12ihipStream_tbPNSt15iterator_traitsISN_E10value_typeEPNST_ISO_E10value_typeEPSP_NS1_7vsmem_tEENKUlT_SN_SO_SP_E_clISG_PjSI_PS9_EESM_S12_SN_SO_SP_EUlS12_E_NS1_11comp_targetILNS1_3genE9ELNS1_11target_archE1100ELNS1_3gpuE3ELNS1_3repE0EEENS1_48merge_mergepath_partition_config_static_selectorELNS0_4arch9wavefront6targetE1EEEvSO_,@function
_ZN7rocprim17ROCPRIM_400000_NS6detail17trampoline_kernelINS0_14default_configENS1_38merge_sort_block_merge_config_selectorIjN6thrust23THRUST_200600_302600_NS5tupleIffNS6_9null_typeES8_S8_S8_S8_S8_S8_S8_EEEEZZNS1_27merge_sort_block_merge_implIS3_NS6_6detail15normal_iteratorINS6_10device_ptrIjEEEENSD_INSE_IS9_EEEEjNS1_19radix_merge_compareILb0ELb1EjNS0_19identity_decomposerEEEEE10hipError_tT0_T1_T2_jT3_P12ihipStream_tbPNSt15iterator_traitsISN_E10value_typeEPNST_ISO_E10value_typeEPSP_NS1_7vsmem_tEENKUlT_SN_SO_SP_E_clISG_PjSI_PS9_EESM_S12_SN_SO_SP_EUlS12_E_NS1_11comp_targetILNS1_3genE9ELNS1_11target_archE1100ELNS1_3gpuE3ELNS1_3repE0EEENS1_48merge_mergepath_partition_config_static_selectorELNS0_4arch9wavefront6targetE1EEEvSO_: ; @_ZN7rocprim17ROCPRIM_400000_NS6detail17trampoline_kernelINS0_14default_configENS1_38merge_sort_block_merge_config_selectorIjN6thrust23THRUST_200600_302600_NS5tupleIffNS6_9null_typeES8_S8_S8_S8_S8_S8_S8_EEEEZZNS1_27merge_sort_block_merge_implIS3_NS6_6detail15normal_iteratorINS6_10device_ptrIjEEEENSD_INSE_IS9_EEEEjNS1_19radix_merge_compareILb0ELb1EjNS0_19identity_decomposerEEEEE10hipError_tT0_T1_T2_jT3_P12ihipStream_tbPNSt15iterator_traitsISN_E10value_typeEPNST_ISO_E10value_typeEPSP_NS1_7vsmem_tEENKUlT_SN_SO_SP_E_clISG_PjSI_PS9_EESM_S12_SN_SO_SP_EUlS12_E_NS1_11comp_targetILNS1_3genE9ELNS1_11target_archE1100ELNS1_3gpuE3ELNS1_3repE0EEENS1_48merge_mergepath_partition_config_static_selectorELNS0_4arch9wavefront6targetE1EEEvSO_
; %bb.0:
	.section	.rodata,"a",@progbits
	.p2align	6, 0x0
	.amdhsa_kernel _ZN7rocprim17ROCPRIM_400000_NS6detail17trampoline_kernelINS0_14default_configENS1_38merge_sort_block_merge_config_selectorIjN6thrust23THRUST_200600_302600_NS5tupleIffNS6_9null_typeES8_S8_S8_S8_S8_S8_S8_EEEEZZNS1_27merge_sort_block_merge_implIS3_NS6_6detail15normal_iteratorINS6_10device_ptrIjEEEENSD_INSE_IS9_EEEEjNS1_19radix_merge_compareILb0ELb1EjNS0_19identity_decomposerEEEEE10hipError_tT0_T1_T2_jT3_P12ihipStream_tbPNSt15iterator_traitsISN_E10value_typeEPNST_ISO_E10value_typeEPSP_NS1_7vsmem_tEENKUlT_SN_SO_SP_E_clISG_PjSI_PS9_EESM_S12_SN_SO_SP_EUlS12_E_NS1_11comp_targetILNS1_3genE9ELNS1_11target_archE1100ELNS1_3gpuE3ELNS1_3repE0EEENS1_48merge_mergepath_partition_config_static_selectorELNS0_4arch9wavefront6targetE1EEEvSO_
		.amdhsa_group_segment_fixed_size 0
		.amdhsa_private_segment_fixed_size 0
		.amdhsa_kernarg_size 40
		.amdhsa_user_sgpr_count 6
		.amdhsa_user_sgpr_private_segment_buffer 1
		.amdhsa_user_sgpr_dispatch_ptr 0
		.amdhsa_user_sgpr_queue_ptr 0
		.amdhsa_user_sgpr_kernarg_segment_ptr 1
		.amdhsa_user_sgpr_dispatch_id 0
		.amdhsa_user_sgpr_flat_scratch_init 0
		.amdhsa_user_sgpr_kernarg_preload_length 0
		.amdhsa_user_sgpr_kernarg_preload_offset 0
		.amdhsa_user_sgpr_private_segment_size 0
		.amdhsa_uses_dynamic_stack 0
		.amdhsa_system_sgpr_private_segment_wavefront_offset 0
		.amdhsa_system_sgpr_workgroup_id_x 1
		.amdhsa_system_sgpr_workgroup_id_y 0
		.amdhsa_system_sgpr_workgroup_id_z 0
		.amdhsa_system_sgpr_workgroup_info 0
		.amdhsa_system_vgpr_workitem_id 0
		.amdhsa_next_free_vgpr 1
		.amdhsa_next_free_sgpr 0
		.amdhsa_accum_offset 4
		.amdhsa_reserve_vcc 0
		.amdhsa_reserve_flat_scratch 0
		.amdhsa_float_round_mode_32 0
		.amdhsa_float_round_mode_16_64 0
		.amdhsa_float_denorm_mode_32 3
		.amdhsa_float_denorm_mode_16_64 3
		.amdhsa_dx10_clamp 1
		.amdhsa_ieee_mode 1
		.amdhsa_fp16_overflow 0
		.amdhsa_tg_split 0
		.amdhsa_exception_fp_ieee_invalid_op 0
		.amdhsa_exception_fp_denorm_src 0
		.amdhsa_exception_fp_ieee_div_zero 0
		.amdhsa_exception_fp_ieee_overflow 0
		.amdhsa_exception_fp_ieee_underflow 0
		.amdhsa_exception_fp_ieee_inexact 0
		.amdhsa_exception_int_div_zero 0
	.end_amdhsa_kernel
	.section	.text._ZN7rocprim17ROCPRIM_400000_NS6detail17trampoline_kernelINS0_14default_configENS1_38merge_sort_block_merge_config_selectorIjN6thrust23THRUST_200600_302600_NS5tupleIffNS6_9null_typeES8_S8_S8_S8_S8_S8_S8_EEEEZZNS1_27merge_sort_block_merge_implIS3_NS6_6detail15normal_iteratorINS6_10device_ptrIjEEEENSD_INSE_IS9_EEEEjNS1_19radix_merge_compareILb0ELb1EjNS0_19identity_decomposerEEEEE10hipError_tT0_T1_T2_jT3_P12ihipStream_tbPNSt15iterator_traitsISN_E10value_typeEPNST_ISO_E10value_typeEPSP_NS1_7vsmem_tEENKUlT_SN_SO_SP_E_clISG_PjSI_PS9_EESM_S12_SN_SO_SP_EUlS12_E_NS1_11comp_targetILNS1_3genE9ELNS1_11target_archE1100ELNS1_3gpuE3ELNS1_3repE0EEENS1_48merge_mergepath_partition_config_static_selectorELNS0_4arch9wavefront6targetE1EEEvSO_,"axG",@progbits,_ZN7rocprim17ROCPRIM_400000_NS6detail17trampoline_kernelINS0_14default_configENS1_38merge_sort_block_merge_config_selectorIjN6thrust23THRUST_200600_302600_NS5tupleIffNS6_9null_typeES8_S8_S8_S8_S8_S8_S8_EEEEZZNS1_27merge_sort_block_merge_implIS3_NS6_6detail15normal_iteratorINS6_10device_ptrIjEEEENSD_INSE_IS9_EEEEjNS1_19radix_merge_compareILb0ELb1EjNS0_19identity_decomposerEEEEE10hipError_tT0_T1_T2_jT3_P12ihipStream_tbPNSt15iterator_traitsISN_E10value_typeEPNST_ISO_E10value_typeEPSP_NS1_7vsmem_tEENKUlT_SN_SO_SP_E_clISG_PjSI_PS9_EESM_S12_SN_SO_SP_EUlS12_E_NS1_11comp_targetILNS1_3genE9ELNS1_11target_archE1100ELNS1_3gpuE3ELNS1_3repE0EEENS1_48merge_mergepath_partition_config_static_selectorELNS0_4arch9wavefront6targetE1EEEvSO_,comdat
.Lfunc_end121:
	.size	_ZN7rocprim17ROCPRIM_400000_NS6detail17trampoline_kernelINS0_14default_configENS1_38merge_sort_block_merge_config_selectorIjN6thrust23THRUST_200600_302600_NS5tupleIffNS6_9null_typeES8_S8_S8_S8_S8_S8_S8_EEEEZZNS1_27merge_sort_block_merge_implIS3_NS6_6detail15normal_iteratorINS6_10device_ptrIjEEEENSD_INSE_IS9_EEEEjNS1_19radix_merge_compareILb0ELb1EjNS0_19identity_decomposerEEEEE10hipError_tT0_T1_T2_jT3_P12ihipStream_tbPNSt15iterator_traitsISN_E10value_typeEPNST_ISO_E10value_typeEPSP_NS1_7vsmem_tEENKUlT_SN_SO_SP_E_clISG_PjSI_PS9_EESM_S12_SN_SO_SP_EUlS12_E_NS1_11comp_targetILNS1_3genE9ELNS1_11target_archE1100ELNS1_3gpuE3ELNS1_3repE0EEENS1_48merge_mergepath_partition_config_static_selectorELNS0_4arch9wavefront6targetE1EEEvSO_, .Lfunc_end121-_ZN7rocprim17ROCPRIM_400000_NS6detail17trampoline_kernelINS0_14default_configENS1_38merge_sort_block_merge_config_selectorIjN6thrust23THRUST_200600_302600_NS5tupleIffNS6_9null_typeES8_S8_S8_S8_S8_S8_S8_EEEEZZNS1_27merge_sort_block_merge_implIS3_NS6_6detail15normal_iteratorINS6_10device_ptrIjEEEENSD_INSE_IS9_EEEEjNS1_19radix_merge_compareILb0ELb1EjNS0_19identity_decomposerEEEEE10hipError_tT0_T1_T2_jT3_P12ihipStream_tbPNSt15iterator_traitsISN_E10value_typeEPNST_ISO_E10value_typeEPSP_NS1_7vsmem_tEENKUlT_SN_SO_SP_E_clISG_PjSI_PS9_EESM_S12_SN_SO_SP_EUlS12_E_NS1_11comp_targetILNS1_3genE9ELNS1_11target_archE1100ELNS1_3gpuE3ELNS1_3repE0EEENS1_48merge_mergepath_partition_config_static_selectorELNS0_4arch9wavefront6targetE1EEEvSO_
                                        ; -- End function
	.section	.AMDGPU.csdata,"",@progbits
; Kernel info:
; codeLenInByte = 0
; NumSgprs: 4
; NumVgprs: 0
; NumAgprs: 0
; TotalNumVgprs: 0
; ScratchSize: 0
; MemoryBound: 0
; FloatMode: 240
; IeeeMode: 1
; LDSByteSize: 0 bytes/workgroup (compile time only)
; SGPRBlocks: 0
; VGPRBlocks: 0
; NumSGPRsForWavesPerEU: 4
; NumVGPRsForWavesPerEU: 1
; AccumOffset: 4
; Occupancy: 8
; WaveLimiterHint : 0
; COMPUTE_PGM_RSRC2:SCRATCH_EN: 0
; COMPUTE_PGM_RSRC2:USER_SGPR: 6
; COMPUTE_PGM_RSRC2:TRAP_HANDLER: 0
; COMPUTE_PGM_RSRC2:TGID_X_EN: 1
; COMPUTE_PGM_RSRC2:TGID_Y_EN: 0
; COMPUTE_PGM_RSRC2:TGID_Z_EN: 0
; COMPUTE_PGM_RSRC2:TIDIG_COMP_CNT: 0
; COMPUTE_PGM_RSRC3_GFX90A:ACCUM_OFFSET: 0
; COMPUTE_PGM_RSRC3_GFX90A:TG_SPLIT: 0
	.section	.text._ZN7rocprim17ROCPRIM_400000_NS6detail17trampoline_kernelINS0_14default_configENS1_38merge_sort_block_merge_config_selectorIjN6thrust23THRUST_200600_302600_NS5tupleIffNS6_9null_typeES8_S8_S8_S8_S8_S8_S8_EEEEZZNS1_27merge_sort_block_merge_implIS3_NS6_6detail15normal_iteratorINS6_10device_ptrIjEEEENSD_INSE_IS9_EEEEjNS1_19radix_merge_compareILb0ELb1EjNS0_19identity_decomposerEEEEE10hipError_tT0_T1_T2_jT3_P12ihipStream_tbPNSt15iterator_traitsISN_E10value_typeEPNST_ISO_E10value_typeEPSP_NS1_7vsmem_tEENKUlT_SN_SO_SP_E_clISG_PjSI_PS9_EESM_S12_SN_SO_SP_EUlS12_E_NS1_11comp_targetILNS1_3genE8ELNS1_11target_archE1030ELNS1_3gpuE2ELNS1_3repE0EEENS1_48merge_mergepath_partition_config_static_selectorELNS0_4arch9wavefront6targetE1EEEvSO_,"axG",@progbits,_ZN7rocprim17ROCPRIM_400000_NS6detail17trampoline_kernelINS0_14default_configENS1_38merge_sort_block_merge_config_selectorIjN6thrust23THRUST_200600_302600_NS5tupleIffNS6_9null_typeES8_S8_S8_S8_S8_S8_S8_EEEEZZNS1_27merge_sort_block_merge_implIS3_NS6_6detail15normal_iteratorINS6_10device_ptrIjEEEENSD_INSE_IS9_EEEEjNS1_19radix_merge_compareILb0ELb1EjNS0_19identity_decomposerEEEEE10hipError_tT0_T1_T2_jT3_P12ihipStream_tbPNSt15iterator_traitsISN_E10value_typeEPNST_ISO_E10value_typeEPSP_NS1_7vsmem_tEENKUlT_SN_SO_SP_E_clISG_PjSI_PS9_EESM_S12_SN_SO_SP_EUlS12_E_NS1_11comp_targetILNS1_3genE8ELNS1_11target_archE1030ELNS1_3gpuE2ELNS1_3repE0EEENS1_48merge_mergepath_partition_config_static_selectorELNS0_4arch9wavefront6targetE1EEEvSO_,comdat
	.protected	_ZN7rocprim17ROCPRIM_400000_NS6detail17trampoline_kernelINS0_14default_configENS1_38merge_sort_block_merge_config_selectorIjN6thrust23THRUST_200600_302600_NS5tupleIffNS6_9null_typeES8_S8_S8_S8_S8_S8_S8_EEEEZZNS1_27merge_sort_block_merge_implIS3_NS6_6detail15normal_iteratorINS6_10device_ptrIjEEEENSD_INSE_IS9_EEEEjNS1_19radix_merge_compareILb0ELb1EjNS0_19identity_decomposerEEEEE10hipError_tT0_T1_T2_jT3_P12ihipStream_tbPNSt15iterator_traitsISN_E10value_typeEPNST_ISO_E10value_typeEPSP_NS1_7vsmem_tEENKUlT_SN_SO_SP_E_clISG_PjSI_PS9_EESM_S12_SN_SO_SP_EUlS12_E_NS1_11comp_targetILNS1_3genE8ELNS1_11target_archE1030ELNS1_3gpuE2ELNS1_3repE0EEENS1_48merge_mergepath_partition_config_static_selectorELNS0_4arch9wavefront6targetE1EEEvSO_ ; -- Begin function _ZN7rocprim17ROCPRIM_400000_NS6detail17trampoline_kernelINS0_14default_configENS1_38merge_sort_block_merge_config_selectorIjN6thrust23THRUST_200600_302600_NS5tupleIffNS6_9null_typeES8_S8_S8_S8_S8_S8_S8_EEEEZZNS1_27merge_sort_block_merge_implIS3_NS6_6detail15normal_iteratorINS6_10device_ptrIjEEEENSD_INSE_IS9_EEEEjNS1_19radix_merge_compareILb0ELb1EjNS0_19identity_decomposerEEEEE10hipError_tT0_T1_T2_jT3_P12ihipStream_tbPNSt15iterator_traitsISN_E10value_typeEPNST_ISO_E10value_typeEPSP_NS1_7vsmem_tEENKUlT_SN_SO_SP_E_clISG_PjSI_PS9_EESM_S12_SN_SO_SP_EUlS12_E_NS1_11comp_targetILNS1_3genE8ELNS1_11target_archE1030ELNS1_3gpuE2ELNS1_3repE0EEENS1_48merge_mergepath_partition_config_static_selectorELNS0_4arch9wavefront6targetE1EEEvSO_
	.globl	_ZN7rocprim17ROCPRIM_400000_NS6detail17trampoline_kernelINS0_14default_configENS1_38merge_sort_block_merge_config_selectorIjN6thrust23THRUST_200600_302600_NS5tupleIffNS6_9null_typeES8_S8_S8_S8_S8_S8_S8_EEEEZZNS1_27merge_sort_block_merge_implIS3_NS6_6detail15normal_iteratorINS6_10device_ptrIjEEEENSD_INSE_IS9_EEEEjNS1_19radix_merge_compareILb0ELb1EjNS0_19identity_decomposerEEEEE10hipError_tT0_T1_T2_jT3_P12ihipStream_tbPNSt15iterator_traitsISN_E10value_typeEPNST_ISO_E10value_typeEPSP_NS1_7vsmem_tEENKUlT_SN_SO_SP_E_clISG_PjSI_PS9_EESM_S12_SN_SO_SP_EUlS12_E_NS1_11comp_targetILNS1_3genE8ELNS1_11target_archE1030ELNS1_3gpuE2ELNS1_3repE0EEENS1_48merge_mergepath_partition_config_static_selectorELNS0_4arch9wavefront6targetE1EEEvSO_
	.p2align	8
	.type	_ZN7rocprim17ROCPRIM_400000_NS6detail17trampoline_kernelINS0_14default_configENS1_38merge_sort_block_merge_config_selectorIjN6thrust23THRUST_200600_302600_NS5tupleIffNS6_9null_typeES8_S8_S8_S8_S8_S8_S8_EEEEZZNS1_27merge_sort_block_merge_implIS3_NS6_6detail15normal_iteratorINS6_10device_ptrIjEEEENSD_INSE_IS9_EEEEjNS1_19radix_merge_compareILb0ELb1EjNS0_19identity_decomposerEEEEE10hipError_tT0_T1_T2_jT3_P12ihipStream_tbPNSt15iterator_traitsISN_E10value_typeEPNST_ISO_E10value_typeEPSP_NS1_7vsmem_tEENKUlT_SN_SO_SP_E_clISG_PjSI_PS9_EESM_S12_SN_SO_SP_EUlS12_E_NS1_11comp_targetILNS1_3genE8ELNS1_11target_archE1030ELNS1_3gpuE2ELNS1_3repE0EEENS1_48merge_mergepath_partition_config_static_selectorELNS0_4arch9wavefront6targetE1EEEvSO_,@function
_ZN7rocprim17ROCPRIM_400000_NS6detail17trampoline_kernelINS0_14default_configENS1_38merge_sort_block_merge_config_selectorIjN6thrust23THRUST_200600_302600_NS5tupleIffNS6_9null_typeES8_S8_S8_S8_S8_S8_S8_EEEEZZNS1_27merge_sort_block_merge_implIS3_NS6_6detail15normal_iteratorINS6_10device_ptrIjEEEENSD_INSE_IS9_EEEEjNS1_19radix_merge_compareILb0ELb1EjNS0_19identity_decomposerEEEEE10hipError_tT0_T1_T2_jT3_P12ihipStream_tbPNSt15iterator_traitsISN_E10value_typeEPNST_ISO_E10value_typeEPSP_NS1_7vsmem_tEENKUlT_SN_SO_SP_E_clISG_PjSI_PS9_EESM_S12_SN_SO_SP_EUlS12_E_NS1_11comp_targetILNS1_3genE8ELNS1_11target_archE1030ELNS1_3gpuE2ELNS1_3repE0EEENS1_48merge_mergepath_partition_config_static_selectorELNS0_4arch9wavefront6targetE1EEEvSO_: ; @_ZN7rocprim17ROCPRIM_400000_NS6detail17trampoline_kernelINS0_14default_configENS1_38merge_sort_block_merge_config_selectorIjN6thrust23THRUST_200600_302600_NS5tupleIffNS6_9null_typeES8_S8_S8_S8_S8_S8_S8_EEEEZZNS1_27merge_sort_block_merge_implIS3_NS6_6detail15normal_iteratorINS6_10device_ptrIjEEEENSD_INSE_IS9_EEEEjNS1_19radix_merge_compareILb0ELb1EjNS0_19identity_decomposerEEEEE10hipError_tT0_T1_T2_jT3_P12ihipStream_tbPNSt15iterator_traitsISN_E10value_typeEPNST_ISO_E10value_typeEPSP_NS1_7vsmem_tEENKUlT_SN_SO_SP_E_clISG_PjSI_PS9_EESM_S12_SN_SO_SP_EUlS12_E_NS1_11comp_targetILNS1_3genE8ELNS1_11target_archE1030ELNS1_3gpuE2ELNS1_3repE0EEENS1_48merge_mergepath_partition_config_static_selectorELNS0_4arch9wavefront6targetE1EEEvSO_
; %bb.0:
	.section	.rodata,"a",@progbits
	.p2align	6, 0x0
	.amdhsa_kernel _ZN7rocprim17ROCPRIM_400000_NS6detail17trampoline_kernelINS0_14default_configENS1_38merge_sort_block_merge_config_selectorIjN6thrust23THRUST_200600_302600_NS5tupleIffNS6_9null_typeES8_S8_S8_S8_S8_S8_S8_EEEEZZNS1_27merge_sort_block_merge_implIS3_NS6_6detail15normal_iteratorINS6_10device_ptrIjEEEENSD_INSE_IS9_EEEEjNS1_19radix_merge_compareILb0ELb1EjNS0_19identity_decomposerEEEEE10hipError_tT0_T1_T2_jT3_P12ihipStream_tbPNSt15iterator_traitsISN_E10value_typeEPNST_ISO_E10value_typeEPSP_NS1_7vsmem_tEENKUlT_SN_SO_SP_E_clISG_PjSI_PS9_EESM_S12_SN_SO_SP_EUlS12_E_NS1_11comp_targetILNS1_3genE8ELNS1_11target_archE1030ELNS1_3gpuE2ELNS1_3repE0EEENS1_48merge_mergepath_partition_config_static_selectorELNS0_4arch9wavefront6targetE1EEEvSO_
		.amdhsa_group_segment_fixed_size 0
		.amdhsa_private_segment_fixed_size 0
		.amdhsa_kernarg_size 40
		.amdhsa_user_sgpr_count 6
		.amdhsa_user_sgpr_private_segment_buffer 1
		.amdhsa_user_sgpr_dispatch_ptr 0
		.amdhsa_user_sgpr_queue_ptr 0
		.amdhsa_user_sgpr_kernarg_segment_ptr 1
		.amdhsa_user_sgpr_dispatch_id 0
		.amdhsa_user_sgpr_flat_scratch_init 0
		.amdhsa_user_sgpr_kernarg_preload_length 0
		.amdhsa_user_sgpr_kernarg_preload_offset 0
		.amdhsa_user_sgpr_private_segment_size 0
		.amdhsa_uses_dynamic_stack 0
		.amdhsa_system_sgpr_private_segment_wavefront_offset 0
		.amdhsa_system_sgpr_workgroup_id_x 1
		.amdhsa_system_sgpr_workgroup_id_y 0
		.amdhsa_system_sgpr_workgroup_id_z 0
		.amdhsa_system_sgpr_workgroup_info 0
		.amdhsa_system_vgpr_workitem_id 0
		.amdhsa_next_free_vgpr 1
		.amdhsa_next_free_sgpr 0
		.amdhsa_accum_offset 4
		.amdhsa_reserve_vcc 0
		.amdhsa_reserve_flat_scratch 0
		.amdhsa_float_round_mode_32 0
		.amdhsa_float_round_mode_16_64 0
		.amdhsa_float_denorm_mode_32 3
		.amdhsa_float_denorm_mode_16_64 3
		.amdhsa_dx10_clamp 1
		.amdhsa_ieee_mode 1
		.amdhsa_fp16_overflow 0
		.amdhsa_tg_split 0
		.amdhsa_exception_fp_ieee_invalid_op 0
		.amdhsa_exception_fp_denorm_src 0
		.amdhsa_exception_fp_ieee_div_zero 0
		.amdhsa_exception_fp_ieee_overflow 0
		.amdhsa_exception_fp_ieee_underflow 0
		.amdhsa_exception_fp_ieee_inexact 0
		.amdhsa_exception_int_div_zero 0
	.end_amdhsa_kernel
	.section	.text._ZN7rocprim17ROCPRIM_400000_NS6detail17trampoline_kernelINS0_14default_configENS1_38merge_sort_block_merge_config_selectorIjN6thrust23THRUST_200600_302600_NS5tupleIffNS6_9null_typeES8_S8_S8_S8_S8_S8_S8_EEEEZZNS1_27merge_sort_block_merge_implIS3_NS6_6detail15normal_iteratorINS6_10device_ptrIjEEEENSD_INSE_IS9_EEEEjNS1_19radix_merge_compareILb0ELb1EjNS0_19identity_decomposerEEEEE10hipError_tT0_T1_T2_jT3_P12ihipStream_tbPNSt15iterator_traitsISN_E10value_typeEPNST_ISO_E10value_typeEPSP_NS1_7vsmem_tEENKUlT_SN_SO_SP_E_clISG_PjSI_PS9_EESM_S12_SN_SO_SP_EUlS12_E_NS1_11comp_targetILNS1_3genE8ELNS1_11target_archE1030ELNS1_3gpuE2ELNS1_3repE0EEENS1_48merge_mergepath_partition_config_static_selectorELNS0_4arch9wavefront6targetE1EEEvSO_,"axG",@progbits,_ZN7rocprim17ROCPRIM_400000_NS6detail17trampoline_kernelINS0_14default_configENS1_38merge_sort_block_merge_config_selectorIjN6thrust23THRUST_200600_302600_NS5tupleIffNS6_9null_typeES8_S8_S8_S8_S8_S8_S8_EEEEZZNS1_27merge_sort_block_merge_implIS3_NS6_6detail15normal_iteratorINS6_10device_ptrIjEEEENSD_INSE_IS9_EEEEjNS1_19radix_merge_compareILb0ELb1EjNS0_19identity_decomposerEEEEE10hipError_tT0_T1_T2_jT3_P12ihipStream_tbPNSt15iterator_traitsISN_E10value_typeEPNST_ISO_E10value_typeEPSP_NS1_7vsmem_tEENKUlT_SN_SO_SP_E_clISG_PjSI_PS9_EESM_S12_SN_SO_SP_EUlS12_E_NS1_11comp_targetILNS1_3genE8ELNS1_11target_archE1030ELNS1_3gpuE2ELNS1_3repE0EEENS1_48merge_mergepath_partition_config_static_selectorELNS0_4arch9wavefront6targetE1EEEvSO_,comdat
.Lfunc_end122:
	.size	_ZN7rocprim17ROCPRIM_400000_NS6detail17trampoline_kernelINS0_14default_configENS1_38merge_sort_block_merge_config_selectorIjN6thrust23THRUST_200600_302600_NS5tupleIffNS6_9null_typeES8_S8_S8_S8_S8_S8_S8_EEEEZZNS1_27merge_sort_block_merge_implIS3_NS6_6detail15normal_iteratorINS6_10device_ptrIjEEEENSD_INSE_IS9_EEEEjNS1_19radix_merge_compareILb0ELb1EjNS0_19identity_decomposerEEEEE10hipError_tT0_T1_T2_jT3_P12ihipStream_tbPNSt15iterator_traitsISN_E10value_typeEPNST_ISO_E10value_typeEPSP_NS1_7vsmem_tEENKUlT_SN_SO_SP_E_clISG_PjSI_PS9_EESM_S12_SN_SO_SP_EUlS12_E_NS1_11comp_targetILNS1_3genE8ELNS1_11target_archE1030ELNS1_3gpuE2ELNS1_3repE0EEENS1_48merge_mergepath_partition_config_static_selectorELNS0_4arch9wavefront6targetE1EEEvSO_, .Lfunc_end122-_ZN7rocprim17ROCPRIM_400000_NS6detail17trampoline_kernelINS0_14default_configENS1_38merge_sort_block_merge_config_selectorIjN6thrust23THRUST_200600_302600_NS5tupleIffNS6_9null_typeES8_S8_S8_S8_S8_S8_S8_EEEEZZNS1_27merge_sort_block_merge_implIS3_NS6_6detail15normal_iteratorINS6_10device_ptrIjEEEENSD_INSE_IS9_EEEEjNS1_19radix_merge_compareILb0ELb1EjNS0_19identity_decomposerEEEEE10hipError_tT0_T1_T2_jT3_P12ihipStream_tbPNSt15iterator_traitsISN_E10value_typeEPNST_ISO_E10value_typeEPSP_NS1_7vsmem_tEENKUlT_SN_SO_SP_E_clISG_PjSI_PS9_EESM_S12_SN_SO_SP_EUlS12_E_NS1_11comp_targetILNS1_3genE8ELNS1_11target_archE1030ELNS1_3gpuE2ELNS1_3repE0EEENS1_48merge_mergepath_partition_config_static_selectorELNS0_4arch9wavefront6targetE1EEEvSO_
                                        ; -- End function
	.section	.AMDGPU.csdata,"",@progbits
; Kernel info:
; codeLenInByte = 0
; NumSgprs: 4
; NumVgprs: 0
; NumAgprs: 0
; TotalNumVgprs: 0
; ScratchSize: 0
; MemoryBound: 0
; FloatMode: 240
; IeeeMode: 1
; LDSByteSize: 0 bytes/workgroup (compile time only)
; SGPRBlocks: 0
; VGPRBlocks: 0
; NumSGPRsForWavesPerEU: 4
; NumVGPRsForWavesPerEU: 1
; AccumOffset: 4
; Occupancy: 8
; WaveLimiterHint : 0
; COMPUTE_PGM_RSRC2:SCRATCH_EN: 0
; COMPUTE_PGM_RSRC2:USER_SGPR: 6
; COMPUTE_PGM_RSRC2:TRAP_HANDLER: 0
; COMPUTE_PGM_RSRC2:TGID_X_EN: 1
; COMPUTE_PGM_RSRC2:TGID_Y_EN: 0
; COMPUTE_PGM_RSRC2:TGID_Z_EN: 0
; COMPUTE_PGM_RSRC2:TIDIG_COMP_CNT: 0
; COMPUTE_PGM_RSRC3_GFX90A:ACCUM_OFFSET: 0
; COMPUTE_PGM_RSRC3_GFX90A:TG_SPLIT: 0
	.section	.text._ZN7rocprim17ROCPRIM_400000_NS6detail17trampoline_kernelINS0_14default_configENS1_38merge_sort_block_merge_config_selectorIjN6thrust23THRUST_200600_302600_NS5tupleIffNS6_9null_typeES8_S8_S8_S8_S8_S8_S8_EEEEZZNS1_27merge_sort_block_merge_implIS3_NS6_6detail15normal_iteratorINS6_10device_ptrIjEEEENSD_INSE_IS9_EEEEjNS1_19radix_merge_compareILb0ELb1EjNS0_19identity_decomposerEEEEE10hipError_tT0_T1_T2_jT3_P12ihipStream_tbPNSt15iterator_traitsISN_E10value_typeEPNST_ISO_E10value_typeEPSP_NS1_7vsmem_tEENKUlT_SN_SO_SP_E_clISG_PjSI_PS9_EESM_S12_SN_SO_SP_EUlS12_E0_NS1_11comp_targetILNS1_3genE0ELNS1_11target_archE4294967295ELNS1_3gpuE0ELNS1_3repE0EEENS1_38merge_mergepath_config_static_selectorELNS0_4arch9wavefront6targetE1EEEvSO_,"axG",@progbits,_ZN7rocprim17ROCPRIM_400000_NS6detail17trampoline_kernelINS0_14default_configENS1_38merge_sort_block_merge_config_selectorIjN6thrust23THRUST_200600_302600_NS5tupleIffNS6_9null_typeES8_S8_S8_S8_S8_S8_S8_EEEEZZNS1_27merge_sort_block_merge_implIS3_NS6_6detail15normal_iteratorINS6_10device_ptrIjEEEENSD_INSE_IS9_EEEEjNS1_19radix_merge_compareILb0ELb1EjNS0_19identity_decomposerEEEEE10hipError_tT0_T1_T2_jT3_P12ihipStream_tbPNSt15iterator_traitsISN_E10value_typeEPNST_ISO_E10value_typeEPSP_NS1_7vsmem_tEENKUlT_SN_SO_SP_E_clISG_PjSI_PS9_EESM_S12_SN_SO_SP_EUlS12_E0_NS1_11comp_targetILNS1_3genE0ELNS1_11target_archE4294967295ELNS1_3gpuE0ELNS1_3repE0EEENS1_38merge_mergepath_config_static_selectorELNS0_4arch9wavefront6targetE1EEEvSO_,comdat
	.protected	_ZN7rocprim17ROCPRIM_400000_NS6detail17trampoline_kernelINS0_14default_configENS1_38merge_sort_block_merge_config_selectorIjN6thrust23THRUST_200600_302600_NS5tupleIffNS6_9null_typeES8_S8_S8_S8_S8_S8_S8_EEEEZZNS1_27merge_sort_block_merge_implIS3_NS6_6detail15normal_iteratorINS6_10device_ptrIjEEEENSD_INSE_IS9_EEEEjNS1_19radix_merge_compareILb0ELb1EjNS0_19identity_decomposerEEEEE10hipError_tT0_T1_T2_jT3_P12ihipStream_tbPNSt15iterator_traitsISN_E10value_typeEPNST_ISO_E10value_typeEPSP_NS1_7vsmem_tEENKUlT_SN_SO_SP_E_clISG_PjSI_PS9_EESM_S12_SN_SO_SP_EUlS12_E0_NS1_11comp_targetILNS1_3genE0ELNS1_11target_archE4294967295ELNS1_3gpuE0ELNS1_3repE0EEENS1_38merge_mergepath_config_static_selectorELNS0_4arch9wavefront6targetE1EEEvSO_ ; -- Begin function _ZN7rocprim17ROCPRIM_400000_NS6detail17trampoline_kernelINS0_14default_configENS1_38merge_sort_block_merge_config_selectorIjN6thrust23THRUST_200600_302600_NS5tupleIffNS6_9null_typeES8_S8_S8_S8_S8_S8_S8_EEEEZZNS1_27merge_sort_block_merge_implIS3_NS6_6detail15normal_iteratorINS6_10device_ptrIjEEEENSD_INSE_IS9_EEEEjNS1_19radix_merge_compareILb0ELb1EjNS0_19identity_decomposerEEEEE10hipError_tT0_T1_T2_jT3_P12ihipStream_tbPNSt15iterator_traitsISN_E10value_typeEPNST_ISO_E10value_typeEPSP_NS1_7vsmem_tEENKUlT_SN_SO_SP_E_clISG_PjSI_PS9_EESM_S12_SN_SO_SP_EUlS12_E0_NS1_11comp_targetILNS1_3genE0ELNS1_11target_archE4294967295ELNS1_3gpuE0ELNS1_3repE0EEENS1_38merge_mergepath_config_static_selectorELNS0_4arch9wavefront6targetE1EEEvSO_
	.globl	_ZN7rocprim17ROCPRIM_400000_NS6detail17trampoline_kernelINS0_14default_configENS1_38merge_sort_block_merge_config_selectorIjN6thrust23THRUST_200600_302600_NS5tupleIffNS6_9null_typeES8_S8_S8_S8_S8_S8_S8_EEEEZZNS1_27merge_sort_block_merge_implIS3_NS6_6detail15normal_iteratorINS6_10device_ptrIjEEEENSD_INSE_IS9_EEEEjNS1_19radix_merge_compareILb0ELb1EjNS0_19identity_decomposerEEEEE10hipError_tT0_T1_T2_jT3_P12ihipStream_tbPNSt15iterator_traitsISN_E10value_typeEPNST_ISO_E10value_typeEPSP_NS1_7vsmem_tEENKUlT_SN_SO_SP_E_clISG_PjSI_PS9_EESM_S12_SN_SO_SP_EUlS12_E0_NS1_11comp_targetILNS1_3genE0ELNS1_11target_archE4294967295ELNS1_3gpuE0ELNS1_3repE0EEENS1_38merge_mergepath_config_static_selectorELNS0_4arch9wavefront6targetE1EEEvSO_
	.p2align	8
	.type	_ZN7rocprim17ROCPRIM_400000_NS6detail17trampoline_kernelINS0_14default_configENS1_38merge_sort_block_merge_config_selectorIjN6thrust23THRUST_200600_302600_NS5tupleIffNS6_9null_typeES8_S8_S8_S8_S8_S8_S8_EEEEZZNS1_27merge_sort_block_merge_implIS3_NS6_6detail15normal_iteratorINS6_10device_ptrIjEEEENSD_INSE_IS9_EEEEjNS1_19radix_merge_compareILb0ELb1EjNS0_19identity_decomposerEEEEE10hipError_tT0_T1_T2_jT3_P12ihipStream_tbPNSt15iterator_traitsISN_E10value_typeEPNST_ISO_E10value_typeEPSP_NS1_7vsmem_tEENKUlT_SN_SO_SP_E_clISG_PjSI_PS9_EESM_S12_SN_SO_SP_EUlS12_E0_NS1_11comp_targetILNS1_3genE0ELNS1_11target_archE4294967295ELNS1_3gpuE0ELNS1_3repE0EEENS1_38merge_mergepath_config_static_selectorELNS0_4arch9wavefront6targetE1EEEvSO_,@function
_ZN7rocprim17ROCPRIM_400000_NS6detail17trampoline_kernelINS0_14default_configENS1_38merge_sort_block_merge_config_selectorIjN6thrust23THRUST_200600_302600_NS5tupleIffNS6_9null_typeES8_S8_S8_S8_S8_S8_S8_EEEEZZNS1_27merge_sort_block_merge_implIS3_NS6_6detail15normal_iteratorINS6_10device_ptrIjEEEENSD_INSE_IS9_EEEEjNS1_19radix_merge_compareILb0ELb1EjNS0_19identity_decomposerEEEEE10hipError_tT0_T1_T2_jT3_P12ihipStream_tbPNSt15iterator_traitsISN_E10value_typeEPNST_ISO_E10value_typeEPSP_NS1_7vsmem_tEENKUlT_SN_SO_SP_E_clISG_PjSI_PS9_EESM_S12_SN_SO_SP_EUlS12_E0_NS1_11comp_targetILNS1_3genE0ELNS1_11target_archE4294967295ELNS1_3gpuE0ELNS1_3repE0EEENS1_38merge_mergepath_config_static_selectorELNS0_4arch9wavefront6targetE1EEEvSO_: ; @_ZN7rocprim17ROCPRIM_400000_NS6detail17trampoline_kernelINS0_14default_configENS1_38merge_sort_block_merge_config_selectorIjN6thrust23THRUST_200600_302600_NS5tupleIffNS6_9null_typeES8_S8_S8_S8_S8_S8_S8_EEEEZZNS1_27merge_sort_block_merge_implIS3_NS6_6detail15normal_iteratorINS6_10device_ptrIjEEEENSD_INSE_IS9_EEEEjNS1_19radix_merge_compareILb0ELb1EjNS0_19identity_decomposerEEEEE10hipError_tT0_T1_T2_jT3_P12ihipStream_tbPNSt15iterator_traitsISN_E10value_typeEPNST_ISO_E10value_typeEPSP_NS1_7vsmem_tEENKUlT_SN_SO_SP_E_clISG_PjSI_PS9_EESM_S12_SN_SO_SP_EUlS12_E0_NS1_11comp_targetILNS1_3genE0ELNS1_11target_archE4294967295ELNS1_3gpuE0ELNS1_3repE0EEENS1_38merge_mergepath_config_static_selectorELNS0_4arch9wavefront6targetE1EEEvSO_
; %bb.0:
	.section	.rodata,"a",@progbits
	.p2align	6, 0x0
	.amdhsa_kernel _ZN7rocprim17ROCPRIM_400000_NS6detail17trampoline_kernelINS0_14default_configENS1_38merge_sort_block_merge_config_selectorIjN6thrust23THRUST_200600_302600_NS5tupleIffNS6_9null_typeES8_S8_S8_S8_S8_S8_S8_EEEEZZNS1_27merge_sort_block_merge_implIS3_NS6_6detail15normal_iteratorINS6_10device_ptrIjEEEENSD_INSE_IS9_EEEEjNS1_19radix_merge_compareILb0ELb1EjNS0_19identity_decomposerEEEEE10hipError_tT0_T1_T2_jT3_P12ihipStream_tbPNSt15iterator_traitsISN_E10value_typeEPNST_ISO_E10value_typeEPSP_NS1_7vsmem_tEENKUlT_SN_SO_SP_E_clISG_PjSI_PS9_EESM_S12_SN_SO_SP_EUlS12_E0_NS1_11comp_targetILNS1_3genE0ELNS1_11target_archE4294967295ELNS1_3gpuE0ELNS1_3repE0EEENS1_38merge_mergepath_config_static_selectorELNS0_4arch9wavefront6targetE1EEEvSO_
		.amdhsa_group_segment_fixed_size 0
		.amdhsa_private_segment_fixed_size 0
		.amdhsa_kernarg_size 64
		.amdhsa_user_sgpr_count 6
		.amdhsa_user_sgpr_private_segment_buffer 1
		.amdhsa_user_sgpr_dispatch_ptr 0
		.amdhsa_user_sgpr_queue_ptr 0
		.amdhsa_user_sgpr_kernarg_segment_ptr 1
		.amdhsa_user_sgpr_dispatch_id 0
		.amdhsa_user_sgpr_flat_scratch_init 0
		.amdhsa_user_sgpr_kernarg_preload_length 0
		.amdhsa_user_sgpr_kernarg_preload_offset 0
		.amdhsa_user_sgpr_private_segment_size 0
		.amdhsa_uses_dynamic_stack 0
		.amdhsa_system_sgpr_private_segment_wavefront_offset 0
		.amdhsa_system_sgpr_workgroup_id_x 1
		.amdhsa_system_sgpr_workgroup_id_y 0
		.amdhsa_system_sgpr_workgroup_id_z 0
		.amdhsa_system_sgpr_workgroup_info 0
		.amdhsa_system_vgpr_workitem_id 0
		.amdhsa_next_free_vgpr 1
		.amdhsa_next_free_sgpr 0
		.amdhsa_accum_offset 4
		.amdhsa_reserve_vcc 0
		.amdhsa_reserve_flat_scratch 0
		.amdhsa_float_round_mode_32 0
		.amdhsa_float_round_mode_16_64 0
		.amdhsa_float_denorm_mode_32 3
		.amdhsa_float_denorm_mode_16_64 3
		.amdhsa_dx10_clamp 1
		.amdhsa_ieee_mode 1
		.amdhsa_fp16_overflow 0
		.amdhsa_tg_split 0
		.amdhsa_exception_fp_ieee_invalid_op 0
		.amdhsa_exception_fp_denorm_src 0
		.amdhsa_exception_fp_ieee_div_zero 0
		.amdhsa_exception_fp_ieee_overflow 0
		.amdhsa_exception_fp_ieee_underflow 0
		.amdhsa_exception_fp_ieee_inexact 0
		.amdhsa_exception_int_div_zero 0
	.end_amdhsa_kernel
	.section	.text._ZN7rocprim17ROCPRIM_400000_NS6detail17trampoline_kernelINS0_14default_configENS1_38merge_sort_block_merge_config_selectorIjN6thrust23THRUST_200600_302600_NS5tupleIffNS6_9null_typeES8_S8_S8_S8_S8_S8_S8_EEEEZZNS1_27merge_sort_block_merge_implIS3_NS6_6detail15normal_iteratorINS6_10device_ptrIjEEEENSD_INSE_IS9_EEEEjNS1_19radix_merge_compareILb0ELb1EjNS0_19identity_decomposerEEEEE10hipError_tT0_T1_T2_jT3_P12ihipStream_tbPNSt15iterator_traitsISN_E10value_typeEPNST_ISO_E10value_typeEPSP_NS1_7vsmem_tEENKUlT_SN_SO_SP_E_clISG_PjSI_PS9_EESM_S12_SN_SO_SP_EUlS12_E0_NS1_11comp_targetILNS1_3genE0ELNS1_11target_archE4294967295ELNS1_3gpuE0ELNS1_3repE0EEENS1_38merge_mergepath_config_static_selectorELNS0_4arch9wavefront6targetE1EEEvSO_,"axG",@progbits,_ZN7rocprim17ROCPRIM_400000_NS6detail17trampoline_kernelINS0_14default_configENS1_38merge_sort_block_merge_config_selectorIjN6thrust23THRUST_200600_302600_NS5tupleIffNS6_9null_typeES8_S8_S8_S8_S8_S8_S8_EEEEZZNS1_27merge_sort_block_merge_implIS3_NS6_6detail15normal_iteratorINS6_10device_ptrIjEEEENSD_INSE_IS9_EEEEjNS1_19radix_merge_compareILb0ELb1EjNS0_19identity_decomposerEEEEE10hipError_tT0_T1_T2_jT3_P12ihipStream_tbPNSt15iterator_traitsISN_E10value_typeEPNST_ISO_E10value_typeEPSP_NS1_7vsmem_tEENKUlT_SN_SO_SP_E_clISG_PjSI_PS9_EESM_S12_SN_SO_SP_EUlS12_E0_NS1_11comp_targetILNS1_3genE0ELNS1_11target_archE4294967295ELNS1_3gpuE0ELNS1_3repE0EEENS1_38merge_mergepath_config_static_selectorELNS0_4arch9wavefront6targetE1EEEvSO_,comdat
.Lfunc_end123:
	.size	_ZN7rocprim17ROCPRIM_400000_NS6detail17trampoline_kernelINS0_14default_configENS1_38merge_sort_block_merge_config_selectorIjN6thrust23THRUST_200600_302600_NS5tupleIffNS6_9null_typeES8_S8_S8_S8_S8_S8_S8_EEEEZZNS1_27merge_sort_block_merge_implIS3_NS6_6detail15normal_iteratorINS6_10device_ptrIjEEEENSD_INSE_IS9_EEEEjNS1_19radix_merge_compareILb0ELb1EjNS0_19identity_decomposerEEEEE10hipError_tT0_T1_T2_jT3_P12ihipStream_tbPNSt15iterator_traitsISN_E10value_typeEPNST_ISO_E10value_typeEPSP_NS1_7vsmem_tEENKUlT_SN_SO_SP_E_clISG_PjSI_PS9_EESM_S12_SN_SO_SP_EUlS12_E0_NS1_11comp_targetILNS1_3genE0ELNS1_11target_archE4294967295ELNS1_3gpuE0ELNS1_3repE0EEENS1_38merge_mergepath_config_static_selectorELNS0_4arch9wavefront6targetE1EEEvSO_, .Lfunc_end123-_ZN7rocprim17ROCPRIM_400000_NS6detail17trampoline_kernelINS0_14default_configENS1_38merge_sort_block_merge_config_selectorIjN6thrust23THRUST_200600_302600_NS5tupleIffNS6_9null_typeES8_S8_S8_S8_S8_S8_S8_EEEEZZNS1_27merge_sort_block_merge_implIS3_NS6_6detail15normal_iteratorINS6_10device_ptrIjEEEENSD_INSE_IS9_EEEEjNS1_19radix_merge_compareILb0ELb1EjNS0_19identity_decomposerEEEEE10hipError_tT0_T1_T2_jT3_P12ihipStream_tbPNSt15iterator_traitsISN_E10value_typeEPNST_ISO_E10value_typeEPSP_NS1_7vsmem_tEENKUlT_SN_SO_SP_E_clISG_PjSI_PS9_EESM_S12_SN_SO_SP_EUlS12_E0_NS1_11comp_targetILNS1_3genE0ELNS1_11target_archE4294967295ELNS1_3gpuE0ELNS1_3repE0EEENS1_38merge_mergepath_config_static_selectorELNS0_4arch9wavefront6targetE1EEEvSO_
                                        ; -- End function
	.section	.AMDGPU.csdata,"",@progbits
; Kernel info:
; codeLenInByte = 0
; NumSgprs: 4
; NumVgprs: 0
; NumAgprs: 0
; TotalNumVgprs: 0
; ScratchSize: 0
; MemoryBound: 0
; FloatMode: 240
; IeeeMode: 1
; LDSByteSize: 0 bytes/workgroup (compile time only)
; SGPRBlocks: 0
; VGPRBlocks: 0
; NumSGPRsForWavesPerEU: 4
; NumVGPRsForWavesPerEU: 1
; AccumOffset: 4
; Occupancy: 8
; WaveLimiterHint : 0
; COMPUTE_PGM_RSRC2:SCRATCH_EN: 0
; COMPUTE_PGM_RSRC2:USER_SGPR: 6
; COMPUTE_PGM_RSRC2:TRAP_HANDLER: 0
; COMPUTE_PGM_RSRC2:TGID_X_EN: 1
; COMPUTE_PGM_RSRC2:TGID_Y_EN: 0
; COMPUTE_PGM_RSRC2:TGID_Z_EN: 0
; COMPUTE_PGM_RSRC2:TIDIG_COMP_CNT: 0
; COMPUTE_PGM_RSRC3_GFX90A:ACCUM_OFFSET: 0
; COMPUTE_PGM_RSRC3_GFX90A:TG_SPLIT: 0
	.section	.text._ZN7rocprim17ROCPRIM_400000_NS6detail17trampoline_kernelINS0_14default_configENS1_38merge_sort_block_merge_config_selectorIjN6thrust23THRUST_200600_302600_NS5tupleIffNS6_9null_typeES8_S8_S8_S8_S8_S8_S8_EEEEZZNS1_27merge_sort_block_merge_implIS3_NS6_6detail15normal_iteratorINS6_10device_ptrIjEEEENSD_INSE_IS9_EEEEjNS1_19radix_merge_compareILb0ELb1EjNS0_19identity_decomposerEEEEE10hipError_tT0_T1_T2_jT3_P12ihipStream_tbPNSt15iterator_traitsISN_E10value_typeEPNST_ISO_E10value_typeEPSP_NS1_7vsmem_tEENKUlT_SN_SO_SP_E_clISG_PjSI_PS9_EESM_S12_SN_SO_SP_EUlS12_E0_NS1_11comp_targetILNS1_3genE10ELNS1_11target_archE1201ELNS1_3gpuE5ELNS1_3repE0EEENS1_38merge_mergepath_config_static_selectorELNS0_4arch9wavefront6targetE1EEEvSO_,"axG",@progbits,_ZN7rocprim17ROCPRIM_400000_NS6detail17trampoline_kernelINS0_14default_configENS1_38merge_sort_block_merge_config_selectorIjN6thrust23THRUST_200600_302600_NS5tupleIffNS6_9null_typeES8_S8_S8_S8_S8_S8_S8_EEEEZZNS1_27merge_sort_block_merge_implIS3_NS6_6detail15normal_iteratorINS6_10device_ptrIjEEEENSD_INSE_IS9_EEEEjNS1_19radix_merge_compareILb0ELb1EjNS0_19identity_decomposerEEEEE10hipError_tT0_T1_T2_jT3_P12ihipStream_tbPNSt15iterator_traitsISN_E10value_typeEPNST_ISO_E10value_typeEPSP_NS1_7vsmem_tEENKUlT_SN_SO_SP_E_clISG_PjSI_PS9_EESM_S12_SN_SO_SP_EUlS12_E0_NS1_11comp_targetILNS1_3genE10ELNS1_11target_archE1201ELNS1_3gpuE5ELNS1_3repE0EEENS1_38merge_mergepath_config_static_selectorELNS0_4arch9wavefront6targetE1EEEvSO_,comdat
	.protected	_ZN7rocprim17ROCPRIM_400000_NS6detail17trampoline_kernelINS0_14default_configENS1_38merge_sort_block_merge_config_selectorIjN6thrust23THRUST_200600_302600_NS5tupleIffNS6_9null_typeES8_S8_S8_S8_S8_S8_S8_EEEEZZNS1_27merge_sort_block_merge_implIS3_NS6_6detail15normal_iteratorINS6_10device_ptrIjEEEENSD_INSE_IS9_EEEEjNS1_19radix_merge_compareILb0ELb1EjNS0_19identity_decomposerEEEEE10hipError_tT0_T1_T2_jT3_P12ihipStream_tbPNSt15iterator_traitsISN_E10value_typeEPNST_ISO_E10value_typeEPSP_NS1_7vsmem_tEENKUlT_SN_SO_SP_E_clISG_PjSI_PS9_EESM_S12_SN_SO_SP_EUlS12_E0_NS1_11comp_targetILNS1_3genE10ELNS1_11target_archE1201ELNS1_3gpuE5ELNS1_3repE0EEENS1_38merge_mergepath_config_static_selectorELNS0_4arch9wavefront6targetE1EEEvSO_ ; -- Begin function _ZN7rocprim17ROCPRIM_400000_NS6detail17trampoline_kernelINS0_14default_configENS1_38merge_sort_block_merge_config_selectorIjN6thrust23THRUST_200600_302600_NS5tupleIffNS6_9null_typeES8_S8_S8_S8_S8_S8_S8_EEEEZZNS1_27merge_sort_block_merge_implIS3_NS6_6detail15normal_iteratorINS6_10device_ptrIjEEEENSD_INSE_IS9_EEEEjNS1_19radix_merge_compareILb0ELb1EjNS0_19identity_decomposerEEEEE10hipError_tT0_T1_T2_jT3_P12ihipStream_tbPNSt15iterator_traitsISN_E10value_typeEPNST_ISO_E10value_typeEPSP_NS1_7vsmem_tEENKUlT_SN_SO_SP_E_clISG_PjSI_PS9_EESM_S12_SN_SO_SP_EUlS12_E0_NS1_11comp_targetILNS1_3genE10ELNS1_11target_archE1201ELNS1_3gpuE5ELNS1_3repE0EEENS1_38merge_mergepath_config_static_selectorELNS0_4arch9wavefront6targetE1EEEvSO_
	.globl	_ZN7rocprim17ROCPRIM_400000_NS6detail17trampoline_kernelINS0_14default_configENS1_38merge_sort_block_merge_config_selectorIjN6thrust23THRUST_200600_302600_NS5tupleIffNS6_9null_typeES8_S8_S8_S8_S8_S8_S8_EEEEZZNS1_27merge_sort_block_merge_implIS3_NS6_6detail15normal_iteratorINS6_10device_ptrIjEEEENSD_INSE_IS9_EEEEjNS1_19radix_merge_compareILb0ELb1EjNS0_19identity_decomposerEEEEE10hipError_tT0_T1_T2_jT3_P12ihipStream_tbPNSt15iterator_traitsISN_E10value_typeEPNST_ISO_E10value_typeEPSP_NS1_7vsmem_tEENKUlT_SN_SO_SP_E_clISG_PjSI_PS9_EESM_S12_SN_SO_SP_EUlS12_E0_NS1_11comp_targetILNS1_3genE10ELNS1_11target_archE1201ELNS1_3gpuE5ELNS1_3repE0EEENS1_38merge_mergepath_config_static_selectorELNS0_4arch9wavefront6targetE1EEEvSO_
	.p2align	8
	.type	_ZN7rocprim17ROCPRIM_400000_NS6detail17trampoline_kernelINS0_14default_configENS1_38merge_sort_block_merge_config_selectorIjN6thrust23THRUST_200600_302600_NS5tupleIffNS6_9null_typeES8_S8_S8_S8_S8_S8_S8_EEEEZZNS1_27merge_sort_block_merge_implIS3_NS6_6detail15normal_iteratorINS6_10device_ptrIjEEEENSD_INSE_IS9_EEEEjNS1_19radix_merge_compareILb0ELb1EjNS0_19identity_decomposerEEEEE10hipError_tT0_T1_T2_jT3_P12ihipStream_tbPNSt15iterator_traitsISN_E10value_typeEPNST_ISO_E10value_typeEPSP_NS1_7vsmem_tEENKUlT_SN_SO_SP_E_clISG_PjSI_PS9_EESM_S12_SN_SO_SP_EUlS12_E0_NS1_11comp_targetILNS1_3genE10ELNS1_11target_archE1201ELNS1_3gpuE5ELNS1_3repE0EEENS1_38merge_mergepath_config_static_selectorELNS0_4arch9wavefront6targetE1EEEvSO_,@function
_ZN7rocprim17ROCPRIM_400000_NS6detail17trampoline_kernelINS0_14default_configENS1_38merge_sort_block_merge_config_selectorIjN6thrust23THRUST_200600_302600_NS5tupleIffNS6_9null_typeES8_S8_S8_S8_S8_S8_S8_EEEEZZNS1_27merge_sort_block_merge_implIS3_NS6_6detail15normal_iteratorINS6_10device_ptrIjEEEENSD_INSE_IS9_EEEEjNS1_19radix_merge_compareILb0ELb1EjNS0_19identity_decomposerEEEEE10hipError_tT0_T1_T2_jT3_P12ihipStream_tbPNSt15iterator_traitsISN_E10value_typeEPNST_ISO_E10value_typeEPSP_NS1_7vsmem_tEENKUlT_SN_SO_SP_E_clISG_PjSI_PS9_EESM_S12_SN_SO_SP_EUlS12_E0_NS1_11comp_targetILNS1_3genE10ELNS1_11target_archE1201ELNS1_3gpuE5ELNS1_3repE0EEENS1_38merge_mergepath_config_static_selectorELNS0_4arch9wavefront6targetE1EEEvSO_: ; @_ZN7rocprim17ROCPRIM_400000_NS6detail17trampoline_kernelINS0_14default_configENS1_38merge_sort_block_merge_config_selectorIjN6thrust23THRUST_200600_302600_NS5tupleIffNS6_9null_typeES8_S8_S8_S8_S8_S8_S8_EEEEZZNS1_27merge_sort_block_merge_implIS3_NS6_6detail15normal_iteratorINS6_10device_ptrIjEEEENSD_INSE_IS9_EEEEjNS1_19radix_merge_compareILb0ELb1EjNS0_19identity_decomposerEEEEE10hipError_tT0_T1_T2_jT3_P12ihipStream_tbPNSt15iterator_traitsISN_E10value_typeEPNST_ISO_E10value_typeEPSP_NS1_7vsmem_tEENKUlT_SN_SO_SP_E_clISG_PjSI_PS9_EESM_S12_SN_SO_SP_EUlS12_E0_NS1_11comp_targetILNS1_3genE10ELNS1_11target_archE1201ELNS1_3gpuE5ELNS1_3repE0EEENS1_38merge_mergepath_config_static_selectorELNS0_4arch9wavefront6targetE1EEEvSO_
; %bb.0:
	.section	.rodata,"a",@progbits
	.p2align	6, 0x0
	.amdhsa_kernel _ZN7rocprim17ROCPRIM_400000_NS6detail17trampoline_kernelINS0_14default_configENS1_38merge_sort_block_merge_config_selectorIjN6thrust23THRUST_200600_302600_NS5tupleIffNS6_9null_typeES8_S8_S8_S8_S8_S8_S8_EEEEZZNS1_27merge_sort_block_merge_implIS3_NS6_6detail15normal_iteratorINS6_10device_ptrIjEEEENSD_INSE_IS9_EEEEjNS1_19radix_merge_compareILb0ELb1EjNS0_19identity_decomposerEEEEE10hipError_tT0_T1_T2_jT3_P12ihipStream_tbPNSt15iterator_traitsISN_E10value_typeEPNST_ISO_E10value_typeEPSP_NS1_7vsmem_tEENKUlT_SN_SO_SP_E_clISG_PjSI_PS9_EESM_S12_SN_SO_SP_EUlS12_E0_NS1_11comp_targetILNS1_3genE10ELNS1_11target_archE1201ELNS1_3gpuE5ELNS1_3repE0EEENS1_38merge_mergepath_config_static_selectorELNS0_4arch9wavefront6targetE1EEEvSO_
		.amdhsa_group_segment_fixed_size 0
		.amdhsa_private_segment_fixed_size 0
		.amdhsa_kernarg_size 64
		.amdhsa_user_sgpr_count 6
		.amdhsa_user_sgpr_private_segment_buffer 1
		.amdhsa_user_sgpr_dispatch_ptr 0
		.amdhsa_user_sgpr_queue_ptr 0
		.amdhsa_user_sgpr_kernarg_segment_ptr 1
		.amdhsa_user_sgpr_dispatch_id 0
		.amdhsa_user_sgpr_flat_scratch_init 0
		.amdhsa_user_sgpr_kernarg_preload_length 0
		.amdhsa_user_sgpr_kernarg_preload_offset 0
		.amdhsa_user_sgpr_private_segment_size 0
		.amdhsa_uses_dynamic_stack 0
		.amdhsa_system_sgpr_private_segment_wavefront_offset 0
		.amdhsa_system_sgpr_workgroup_id_x 1
		.amdhsa_system_sgpr_workgroup_id_y 0
		.amdhsa_system_sgpr_workgroup_id_z 0
		.amdhsa_system_sgpr_workgroup_info 0
		.amdhsa_system_vgpr_workitem_id 0
		.amdhsa_next_free_vgpr 1
		.amdhsa_next_free_sgpr 0
		.amdhsa_accum_offset 4
		.amdhsa_reserve_vcc 0
		.amdhsa_reserve_flat_scratch 0
		.amdhsa_float_round_mode_32 0
		.amdhsa_float_round_mode_16_64 0
		.amdhsa_float_denorm_mode_32 3
		.amdhsa_float_denorm_mode_16_64 3
		.amdhsa_dx10_clamp 1
		.amdhsa_ieee_mode 1
		.amdhsa_fp16_overflow 0
		.amdhsa_tg_split 0
		.amdhsa_exception_fp_ieee_invalid_op 0
		.amdhsa_exception_fp_denorm_src 0
		.amdhsa_exception_fp_ieee_div_zero 0
		.amdhsa_exception_fp_ieee_overflow 0
		.amdhsa_exception_fp_ieee_underflow 0
		.amdhsa_exception_fp_ieee_inexact 0
		.amdhsa_exception_int_div_zero 0
	.end_amdhsa_kernel
	.section	.text._ZN7rocprim17ROCPRIM_400000_NS6detail17trampoline_kernelINS0_14default_configENS1_38merge_sort_block_merge_config_selectorIjN6thrust23THRUST_200600_302600_NS5tupleIffNS6_9null_typeES8_S8_S8_S8_S8_S8_S8_EEEEZZNS1_27merge_sort_block_merge_implIS3_NS6_6detail15normal_iteratorINS6_10device_ptrIjEEEENSD_INSE_IS9_EEEEjNS1_19radix_merge_compareILb0ELb1EjNS0_19identity_decomposerEEEEE10hipError_tT0_T1_T2_jT3_P12ihipStream_tbPNSt15iterator_traitsISN_E10value_typeEPNST_ISO_E10value_typeEPSP_NS1_7vsmem_tEENKUlT_SN_SO_SP_E_clISG_PjSI_PS9_EESM_S12_SN_SO_SP_EUlS12_E0_NS1_11comp_targetILNS1_3genE10ELNS1_11target_archE1201ELNS1_3gpuE5ELNS1_3repE0EEENS1_38merge_mergepath_config_static_selectorELNS0_4arch9wavefront6targetE1EEEvSO_,"axG",@progbits,_ZN7rocprim17ROCPRIM_400000_NS6detail17trampoline_kernelINS0_14default_configENS1_38merge_sort_block_merge_config_selectorIjN6thrust23THRUST_200600_302600_NS5tupleIffNS6_9null_typeES8_S8_S8_S8_S8_S8_S8_EEEEZZNS1_27merge_sort_block_merge_implIS3_NS6_6detail15normal_iteratorINS6_10device_ptrIjEEEENSD_INSE_IS9_EEEEjNS1_19radix_merge_compareILb0ELb1EjNS0_19identity_decomposerEEEEE10hipError_tT0_T1_T2_jT3_P12ihipStream_tbPNSt15iterator_traitsISN_E10value_typeEPNST_ISO_E10value_typeEPSP_NS1_7vsmem_tEENKUlT_SN_SO_SP_E_clISG_PjSI_PS9_EESM_S12_SN_SO_SP_EUlS12_E0_NS1_11comp_targetILNS1_3genE10ELNS1_11target_archE1201ELNS1_3gpuE5ELNS1_3repE0EEENS1_38merge_mergepath_config_static_selectorELNS0_4arch9wavefront6targetE1EEEvSO_,comdat
.Lfunc_end124:
	.size	_ZN7rocprim17ROCPRIM_400000_NS6detail17trampoline_kernelINS0_14default_configENS1_38merge_sort_block_merge_config_selectorIjN6thrust23THRUST_200600_302600_NS5tupleIffNS6_9null_typeES8_S8_S8_S8_S8_S8_S8_EEEEZZNS1_27merge_sort_block_merge_implIS3_NS6_6detail15normal_iteratorINS6_10device_ptrIjEEEENSD_INSE_IS9_EEEEjNS1_19radix_merge_compareILb0ELb1EjNS0_19identity_decomposerEEEEE10hipError_tT0_T1_T2_jT3_P12ihipStream_tbPNSt15iterator_traitsISN_E10value_typeEPNST_ISO_E10value_typeEPSP_NS1_7vsmem_tEENKUlT_SN_SO_SP_E_clISG_PjSI_PS9_EESM_S12_SN_SO_SP_EUlS12_E0_NS1_11comp_targetILNS1_3genE10ELNS1_11target_archE1201ELNS1_3gpuE5ELNS1_3repE0EEENS1_38merge_mergepath_config_static_selectorELNS0_4arch9wavefront6targetE1EEEvSO_, .Lfunc_end124-_ZN7rocprim17ROCPRIM_400000_NS6detail17trampoline_kernelINS0_14default_configENS1_38merge_sort_block_merge_config_selectorIjN6thrust23THRUST_200600_302600_NS5tupleIffNS6_9null_typeES8_S8_S8_S8_S8_S8_S8_EEEEZZNS1_27merge_sort_block_merge_implIS3_NS6_6detail15normal_iteratorINS6_10device_ptrIjEEEENSD_INSE_IS9_EEEEjNS1_19radix_merge_compareILb0ELb1EjNS0_19identity_decomposerEEEEE10hipError_tT0_T1_T2_jT3_P12ihipStream_tbPNSt15iterator_traitsISN_E10value_typeEPNST_ISO_E10value_typeEPSP_NS1_7vsmem_tEENKUlT_SN_SO_SP_E_clISG_PjSI_PS9_EESM_S12_SN_SO_SP_EUlS12_E0_NS1_11comp_targetILNS1_3genE10ELNS1_11target_archE1201ELNS1_3gpuE5ELNS1_3repE0EEENS1_38merge_mergepath_config_static_selectorELNS0_4arch9wavefront6targetE1EEEvSO_
                                        ; -- End function
	.section	.AMDGPU.csdata,"",@progbits
; Kernel info:
; codeLenInByte = 0
; NumSgprs: 4
; NumVgprs: 0
; NumAgprs: 0
; TotalNumVgprs: 0
; ScratchSize: 0
; MemoryBound: 0
; FloatMode: 240
; IeeeMode: 1
; LDSByteSize: 0 bytes/workgroup (compile time only)
; SGPRBlocks: 0
; VGPRBlocks: 0
; NumSGPRsForWavesPerEU: 4
; NumVGPRsForWavesPerEU: 1
; AccumOffset: 4
; Occupancy: 8
; WaveLimiterHint : 0
; COMPUTE_PGM_RSRC2:SCRATCH_EN: 0
; COMPUTE_PGM_RSRC2:USER_SGPR: 6
; COMPUTE_PGM_RSRC2:TRAP_HANDLER: 0
; COMPUTE_PGM_RSRC2:TGID_X_EN: 1
; COMPUTE_PGM_RSRC2:TGID_Y_EN: 0
; COMPUTE_PGM_RSRC2:TGID_Z_EN: 0
; COMPUTE_PGM_RSRC2:TIDIG_COMP_CNT: 0
; COMPUTE_PGM_RSRC3_GFX90A:ACCUM_OFFSET: 0
; COMPUTE_PGM_RSRC3_GFX90A:TG_SPLIT: 0
	.section	.text._ZN7rocprim17ROCPRIM_400000_NS6detail17trampoline_kernelINS0_14default_configENS1_38merge_sort_block_merge_config_selectorIjN6thrust23THRUST_200600_302600_NS5tupleIffNS6_9null_typeES8_S8_S8_S8_S8_S8_S8_EEEEZZNS1_27merge_sort_block_merge_implIS3_NS6_6detail15normal_iteratorINS6_10device_ptrIjEEEENSD_INSE_IS9_EEEEjNS1_19radix_merge_compareILb0ELb1EjNS0_19identity_decomposerEEEEE10hipError_tT0_T1_T2_jT3_P12ihipStream_tbPNSt15iterator_traitsISN_E10value_typeEPNST_ISO_E10value_typeEPSP_NS1_7vsmem_tEENKUlT_SN_SO_SP_E_clISG_PjSI_PS9_EESM_S12_SN_SO_SP_EUlS12_E0_NS1_11comp_targetILNS1_3genE5ELNS1_11target_archE942ELNS1_3gpuE9ELNS1_3repE0EEENS1_38merge_mergepath_config_static_selectorELNS0_4arch9wavefront6targetE1EEEvSO_,"axG",@progbits,_ZN7rocprim17ROCPRIM_400000_NS6detail17trampoline_kernelINS0_14default_configENS1_38merge_sort_block_merge_config_selectorIjN6thrust23THRUST_200600_302600_NS5tupleIffNS6_9null_typeES8_S8_S8_S8_S8_S8_S8_EEEEZZNS1_27merge_sort_block_merge_implIS3_NS6_6detail15normal_iteratorINS6_10device_ptrIjEEEENSD_INSE_IS9_EEEEjNS1_19radix_merge_compareILb0ELb1EjNS0_19identity_decomposerEEEEE10hipError_tT0_T1_T2_jT3_P12ihipStream_tbPNSt15iterator_traitsISN_E10value_typeEPNST_ISO_E10value_typeEPSP_NS1_7vsmem_tEENKUlT_SN_SO_SP_E_clISG_PjSI_PS9_EESM_S12_SN_SO_SP_EUlS12_E0_NS1_11comp_targetILNS1_3genE5ELNS1_11target_archE942ELNS1_3gpuE9ELNS1_3repE0EEENS1_38merge_mergepath_config_static_selectorELNS0_4arch9wavefront6targetE1EEEvSO_,comdat
	.protected	_ZN7rocprim17ROCPRIM_400000_NS6detail17trampoline_kernelINS0_14default_configENS1_38merge_sort_block_merge_config_selectorIjN6thrust23THRUST_200600_302600_NS5tupleIffNS6_9null_typeES8_S8_S8_S8_S8_S8_S8_EEEEZZNS1_27merge_sort_block_merge_implIS3_NS6_6detail15normal_iteratorINS6_10device_ptrIjEEEENSD_INSE_IS9_EEEEjNS1_19radix_merge_compareILb0ELb1EjNS0_19identity_decomposerEEEEE10hipError_tT0_T1_T2_jT3_P12ihipStream_tbPNSt15iterator_traitsISN_E10value_typeEPNST_ISO_E10value_typeEPSP_NS1_7vsmem_tEENKUlT_SN_SO_SP_E_clISG_PjSI_PS9_EESM_S12_SN_SO_SP_EUlS12_E0_NS1_11comp_targetILNS1_3genE5ELNS1_11target_archE942ELNS1_3gpuE9ELNS1_3repE0EEENS1_38merge_mergepath_config_static_selectorELNS0_4arch9wavefront6targetE1EEEvSO_ ; -- Begin function _ZN7rocprim17ROCPRIM_400000_NS6detail17trampoline_kernelINS0_14default_configENS1_38merge_sort_block_merge_config_selectorIjN6thrust23THRUST_200600_302600_NS5tupleIffNS6_9null_typeES8_S8_S8_S8_S8_S8_S8_EEEEZZNS1_27merge_sort_block_merge_implIS3_NS6_6detail15normal_iteratorINS6_10device_ptrIjEEEENSD_INSE_IS9_EEEEjNS1_19radix_merge_compareILb0ELb1EjNS0_19identity_decomposerEEEEE10hipError_tT0_T1_T2_jT3_P12ihipStream_tbPNSt15iterator_traitsISN_E10value_typeEPNST_ISO_E10value_typeEPSP_NS1_7vsmem_tEENKUlT_SN_SO_SP_E_clISG_PjSI_PS9_EESM_S12_SN_SO_SP_EUlS12_E0_NS1_11comp_targetILNS1_3genE5ELNS1_11target_archE942ELNS1_3gpuE9ELNS1_3repE0EEENS1_38merge_mergepath_config_static_selectorELNS0_4arch9wavefront6targetE1EEEvSO_
	.globl	_ZN7rocprim17ROCPRIM_400000_NS6detail17trampoline_kernelINS0_14default_configENS1_38merge_sort_block_merge_config_selectorIjN6thrust23THRUST_200600_302600_NS5tupleIffNS6_9null_typeES8_S8_S8_S8_S8_S8_S8_EEEEZZNS1_27merge_sort_block_merge_implIS3_NS6_6detail15normal_iteratorINS6_10device_ptrIjEEEENSD_INSE_IS9_EEEEjNS1_19radix_merge_compareILb0ELb1EjNS0_19identity_decomposerEEEEE10hipError_tT0_T1_T2_jT3_P12ihipStream_tbPNSt15iterator_traitsISN_E10value_typeEPNST_ISO_E10value_typeEPSP_NS1_7vsmem_tEENKUlT_SN_SO_SP_E_clISG_PjSI_PS9_EESM_S12_SN_SO_SP_EUlS12_E0_NS1_11comp_targetILNS1_3genE5ELNS1_11target_archE942ELNS1_3gpuE9ELNS1_3repE0EEENS1_38merge_mergepath_config_static_selectorELNS0_4arch9wavefront6targetE1EEEvSO_
	.p2align	8
	.type	_ZN7rocprim17ROCPRIM_400000_NS6detail17trampoline_kernelINS0_14default_configENS1_38merge_sort_block_merge_config_selectorIjN6thrust23THRUST_200600_302600_NS5tupleIffNS6_9null_typeES8_S8_S8_S8_S8_S8_S8_EEEEZZNS1_27merge_sort_block_merge_implIS3_NS6_6detail15normal_iteratorINS6_10device_ptrIjEEEENSD_INSE_IS9_EEEEjNS1_19radix_merge_compareILb0ELb1EjNS0_19identity_decomposerEEEEE10hipError_tT0_T1_T2_jT3_P12ihipStream_tbPNSt15iterator_traitsISN_E10value_typeEPNST_ISO_E10value_typeEPSP_NS1_7vsmem_tEENKUlT_SN_SO_SP_E_clISG_PjSI_PS9_EESM_S12_SN_SO_SP_EUlS12_E0_NS1_11comp_targetILNS1_3genE5ELNS1_11target_archE942ELNS1_3gpuE9ELNS1_3repE0EEENS1_38merge_mergepath_config_static_selectorELNS0_4arch9wavefront6targetE1EEEvSO_,@function
_ZN7rocprim17ROCPRIM_400000_NS6detail17trampoline_kernelINS0_14default_configENS1_38merge_sort_block_merge_config_selectorIjN6thrust23THRUST_200600_302600_NS5tupleIffNS6_9null_typeES8_S8_S8_S8_S8_S8_S8_EEEEZZNS1_27merge_sort_block_merge_implIS3_NS6_6detail15normal_iteratorINS6_10device_ptrIjEEEENSD_INSE_IS9_EEEEjNS1_19radix_merge_compareILb0ELb1EjNS0_19identity_decomposerEEEEE10hipError_tT0_T1_T2_jT3_P12ihipStream_tbPNSt15iterator_traitsISN_E10value_typeEPNST_ISO_E10value_typeEPSP_NS1_7vsmem_tEENKUlT_SN_SO_SP_E_clISG_PjSI_PS9_EESM_S12_SN_SO_SP_EUlS12_E0_NS1_11comp_targetILNS1_3genE5ELNS1_11target_archE942ELNS1_3gpuE9ELNS1_3repE0EEENS1_38merge_mergepath_config_static_selectorELNS0_4arch9wavefront6targetE1EEEvSO_: ; @_ZN7rocprim17ROCPRIM_400000_NS6detail17trampoline_kernelINS0_14default_configENS1_38merge_sort_block_merge_config_selectorIjN6thrust23THRUST_200600_302600_NS5tupleIffNS6_9null_typeES8_S8_S8_S8_S8_S8_S8_EEEEZZNS1_27merge_sort_block_merge_implIS3_NS6_6detail15normal_iteratorINS6_10device_ptrIjEEEENSD_INSE_IS9_EEEEjNS1_19radix_merge_compareILb0ELb1EjNS0_19identity_decomposerEEEEE10hipError_tT0_T1_T2_jT3_P12ihipStream_tbPNSt15iterator_traitsISN_E10value_typeEPNST_ISO_E10value_typeEPSP_NS1_7vsmem_tEENKUlT_SN_SO_SP_E_clISG_PjSI_PS9_EESM_S12_SN_SO_SP_EUlS12_E0_NS1_11comp_targetILNS1_3genE5ELNS1_11target_archE942ELNS1_3gpuE9ELNS1_3repE0EEENS1_38merge_mergepath_config_static_selectorELNS0_4arch9wavefront6targetE1EEEvSO_
; %bb.0:
	.section	.rodata,"a",@progbits
	.p2align	6, 0x0
	.amdhsa_kernel _ZN7rocprim17ROCPRIM_400000_NS6detail17trampoline_kernelINS0_14default_configENS1_38merge_sort_block_merge_config_selectorIjN6thrust23THRUST_200600_302600_NS5tupleIffNS6_9null_typeES8_S8_S8_S8_S8_S8_S8_EEEEZZNS1_27merge_sort_block_merge_implIS3_NS6_6detail15normal_iteratorINS6_10device_ptrIjEEEENSD_INSE_IS9_EEEEjNS1_19radix_merge_compareILb0ELb1EjNS0_19identity_decomposerEEEEE10hipError_tT0_T1_T2_jT3_P12ihipStream_tbPNSt15iterator_traitsISN_E10value_typeEPNST_ISO_E10value_typeEPSP_NS1_7vsmem_tEENKUlT_SN_SO_SP_E_clISG_PjSI_PS9_EESM_S12_SN_SO_SP_EUlS12_E0_NS1_11comp_targetILNS1_3genE5ELNS1_11target_archE942ELNS1_3gpuE9ELNS1_3repE0EEENS1_38merge_mergepath_config_static_selectorELNS0_4arch9wavefront6targetE1EEEvSO_
		.amdhsa_group_segment_fixed_size 0
		.amdhsa_private_segment_fixed_size 0
		.amdhsa_kernarg_size 64
		.amdhsa_user_sgpr_count 6
		.amdhsa_user_sgpr_private_segment_buffer 1
		.amdhsa_user_sgpr_dispatch_ptr 0
		.amdhsa_user_sgpr_queue_ptr 0
		.amdhsa_user_sgpr_kernarg_segment_ptr 1
		.amdhsa_user_sgpr_dispatch_id 0
		.amdhsa_user_sgpr_flat_scratch_init 0
		.amdhsa_user_sgpr_kernarg_preload_length 0
		.amdhsa_user_sgpr_kernarg_preload_offset 0
		.amdhsa_user_sgpr_private_segment_size 0
		.amdhsa_uses_dynamic_stack 0
		.amdhsa_system_sgpr_private_segment_wavefront_offset 0
		.amdhsa_system_sgpr_workgroup_id_x 1
		.amdhsa_system_sgpr_workgroup_id_y 0
		.amdhsa_system_sgpr_workgroup_id_z 0
		.amdhsa_system_sgpr_workgroup_info 0
		.amdhsa_system_vgpr_workitem_id 0
		.amdhsa_next_free_vgpr 1
		.amdhsa_next_free_sgpr 0
		.amdhsa_accum_offset 4
		.amdhsa_reserve_vcc 0
		.amdhsa_reserve_flat_scratch 0
		.amdhsa_float_round_mode_32 0
		.amdhsa_float_round_mode_16_64 0
		.amdhsa_float_denorm_mode_32 3
		.amdhsa_float_denorm_mode_16_64 3
		.amdhsa_dx10_clamp 1
		.amdhsa_ieee_mode 1
		.amdhsa_fp16_overflow 0
		.amdhsa_tg_split 0
		.amdhsa_exception_fp_ieee_invalid_op 0
		.amdhsa_exception_fp_denorm_src 0
		.amdhsa_exception_fp_ieee_div_zero 0
		.amdhsa_exception_fp_ieee_overflow 0
		.amdhsa_exception_fp_ieee_underflow 0
		.amdhsa_exception_fp_ieee_inexact 0
		.amdhsa_exception_int_div_zero 0
	.end_amdhsa_kernel
	.section	.text._ZN7rocprim17ROCPRIM_400000_NS6detail17trampoline_kernelINS0_14default_configENS1_38merge_sort_block_merge_config_selectorIjN6thrust23THRUST_200600_302600_NS5tupleIffNS6_9null_typeES8_S8_S8_S8_S8_S8_S8_EEEEZZNS1_27merge_sort_block_merge_implIS3_NS6_6detail15normal_iteratorINS6_10device_ptrIjEEEENSD_INSE_IS9_EEEEjNS1_19radix_merge_compareILb0ELb1EjNS0_19identity_decomposerEEEEE10hipError_tT0_T1_T2_jT3_P12ihipStream_tbPNSt15iterator_traitsISN_E10value_typeEPNST_ISO_E10value_typeEPSP_NS1_7vsmem_tEENKUlT_SN_SO_SP_E_clISG_PjSI_PS9_EESM_S12_SN_SO_SP_EUlS12_E0_NS1_11comp_targetILNS1_3genE5ELNS1_11target_archE942ELNS1_3gpuE9ELNS1_3repE0EEENS1_38merge_mergepath_config_static_selectorELNS0_4arch9wavefront6targetE1EEEvSO_,"axG",@progbits,_ZN7rocprim17ROCPRIM_400000_NS6detail17trampoline_kernelINS0_14default_configENS1_38merge_sort_block_merge_config_selectorIjN6thrust23THRUST_200600_302600_NS5tupleIffNS6_9null_typeES8_S8_S8_S8_S8_S8_S8_EEEEZZNS1_27merge_sort_block_merge_implIS3_NS6_6detail15normal_iteratorINS6_10device_ptrIjEEEENSD_INSE_IS9_EEEEjNS1_19radix_merge_compareILb0ELb1EjNS0_19identity_decomposerEEEEE10hipError_tT0_T1_T2_jT3_P12ihipStream_tbPNSt15iterator_traitsISN_E10value_typeEPNST_ISO_E10value_typeEPSP_NS1_7vsmem_tEENKUlT_SN_SO_SP_E_clISG_PjSI_PS9_EESM_S12_SN_SO_SP_EUlS12_E0_NS1_11comp_targetILNS1_3genE5ELNS1_11target_archE942ELNS1_3gpuE9ELNS1_3repE0EEENS1_38merge_mergepath_config_static_selectorELNS0_4arch9wavefront6targetE1EEEvSO_,comdat
.Lfunc_end125:
	.size	_ZN7rocprim17ROCPRIM_400000_NS6detail17trampoline_kernelINS0_14default_configENS1_38merge_sort_block_merge_config_selectorIjN6thrust23THRUST_200600_302600_NS5tupleIffNS6_9null_typeES8_S8_S8_S8_S8_S8_S8_EEEEZZNS1_27merge_sort_block_merge_implIS3_NS6_6detail15normal_iteratorINS6_10device_ptrIjEEEENSD_INSE_IS9_EEEEjNS1_19radix_merge_compareILb0ELb1EjNS0_19identity_decomposerEEEEE10hipError_tT0_T1_T2_jT3_P12ihipStream_tbPNSt15iterator_traitsISN_E10value_typeEPNST_ISO_E10value_typeEPSP_NS1_7vsmem_tEENKUlT_SN_SO_SP_E_clISG_PjSI_PS9_EESM_S12_SN_SO_SP_EUlS12_E0_NS1_11comp_targetILNS1_3genE5ELNS1_11target_archE942ELNS1_3gpuE9ELNS1_3repE0EEENS1_38merge_mergepath_config_static_selectorELNS0_4arch9wavefront6targetE1EEEvSO_, .Lfunc_end125-_ZN7rocprim17ROCPRIM_400000_NS6detail17trampoline_kernelINS0_14default_configENS1_38merge_sort_block_merge_config_selectorIjN6thrust23THRUST_200600_302600_NS5tupleIffNS6_9null_typeES8_S8_S8_S8_S8_S8_S8_EEEEZZNS1_27merge_sort_block_merge_implIS3_NS6_6detail15normal_iteratorINS6_10device_ptrIjEEEENSD_INSE_IS9_EEEEjNS1_19radix_merge_compareILb0ELb1EjNS0_19identity_decomposerEEEEE10hipError_tT0_T1_T2_jT3_P12ihipStream_tbPNSt15iterator_traitsISN_E10value_typeEPNST_ISO_E10value_typeEPSP_NS1_7vsmem_tEENKUlT_SN_SO_SP_E_clISG_PjSI_PS9_EESM_S12_SN_SO_SP_EUlS12_E0_NS1_11comp_targetILNS1_3genE5ELNS1_11target_archE942ELNS1_3gpuE9ELNS1_3repE0EEENS1_38merge_mergepath_config_static_selectorELNS0_4arch9wavefront6targetE1EEEvSO_
                                        ; -- End function
	.section	.AMDGPU.csdata,"",@progbits
; Kernel info:
; codeLenInByte = 0
; NumSgprs: 4
; NumVgprs: 0
; NumAgprs: 0
; TotalNumVgprs: 0
; ScratchSize: 0
; MemoryBound: 0
; FloatMode: 240
; IeeeMode: 1
; LDSByteSize: 0 bytes/workgroup (compile time only)
; SGPRBlocks: 0
; VGPRBlocks: 0
; NumSGPRsForWavesPerEU: 4
; NumVGPRsForWavesPerEU: 1
; AccumOffset: 4
; Occupancy: 8
; WaveLimiterHint : 0
; COMPUTE_PGM_RSRC2:SCRATCH_EN: 0
; COMPUTE_PGM_RSRC2:USER_SGPR: 6
; COMPUTE_PGM_RSRC2:TRAP_HANDLER: 0
; COMPUTE_PGM_RSRC2:TGID_X_EN: 1
; COMPUTE_PGM_RSRC2:TGID_Y_EN: 0
; COMPUTE_PGM_RSRC2:TGID_Z_EN: 0
; COMPUTE_PGM_RSRC2:TIDIG_COMP_CNT: 0
; COMPUTE_PGM_RSRC3_GFX90A:ACCUM_OFFSET: 0
; COMPUTE_PGM_RSRC3_GFX90A:TG_SPLIT: 0
	.section	.text._ZN7rocprim17ROCPRIM_400000_NS6detail17trampoline_kernelINS0_14default_configENS1_38merge_sort_block_merge_config_selectorIjN6thrust23THRUST_200600_302600_NS5tupleIffNS6_9null_typeES8_S8_S8_S8_S8_S8_S8_EEEEZZNS1_27merge_sort_block_merge_implIS3_NS6_6detail15normal_iteratorINS6_10device_ptrIjEEEENSD_INSE_IS9_EEEEjNS1_19radix_merge_compareILb0ELb1EjNS0_19identity_decomposerEEEEE10hipError_tT0_T1_T2_jT3_P12ihipStream_tbPNSt15iterator_traitsISN_E10value_typeEPNST_ISO_E10value_typeEPSP_NS1_7vsmem_tEENKUlT_SN_SO_SP_E_clISG_PjSI_PS9_EESM_S12_SN_SO_SP_EUlS12_E0_NS1_11comp_targetILNS1_3genE4ELNS1_11target_archE910ELNS1_3gpuE8ELNS1_3repE0EEENS1_38merge_mergepath_config_static_selectorELNS0_4arch9wavefront6targetE1EEEvSO_,"axG",@progbits,_ZN7rocprim17ROCPRIM_400000_NS6detail17trampoline_kernelINS0_14default_configENS1_38merge_sort_block_merge_config_selectorIjN6thrust23THRUST_200600_302600_NS5tupleIffNS6_9null_typeES8_S8_S8_S8_S8_S8_S8_EEEEZZNS1_27merge_sort_block_merge_implIS3_NS6_6detail15normal_iteratorINS6_10device_ptrIjEEEENSD_INSE_IS9_EEEEjNS1_19radix_merge_compareILb0ELb1EjNS0_19identity_decomposerEEEEE10hipError_tT0_T1_T2_jT3_P12ihipStream_tbPNSt15iterator_traitsISN_E10value_typeEPNST_ISO_E10value_typeEPSP_NS1_7vsmem_tEENKUlT_SN_SO_SP_E_clISG_PjSI_PS9_EESM_S12_SN_SO_SP_EUlS12_E0_NS1_11comp_targetILNS1_3genE4ELNS1_11target_archE910ELNS1_3gpuE8ELNS1_3repE0EEENS1_38merge_mergepath_config_static_selectorELNS0_4arch9wavefront6targetE1EEEvSO_,comdat
	.protected	_ZN7rocprim17ROCPRIM_400000_NS6detail17trampoline_kernelINS0_14default_configENS1_38merge_sort_block_merge_config_selectorIjN6thrust23THRUST_200600_302600_NS5tupleIffNS6_9null_typeES8_S8_S8_S8_S8_S8_S8_EEEEZZNS1_27merge_sort_block_merge_implIS3_NS6_6detail15normal_iteratorINS6_10device_ptrIjEEEENSD_INSE_IS9_EEEEjNS1_19radix_merge_compareILb0ELb1EjNS0_19identity_decomposerEEEEE10hipError_tT0_T1_T2_jT3_P12ihipStream_tbPNSt15iterator_traitsISN_E10value_typeEPNST_ISO_E10value_typeEPSP_NS1_7vsmem_tEENKUlT_SN_SO_SP_E_clISG_PjSI_PS9_EESM_S12_SN_SO_SP_EUlS12_E0_NS1_11comp_targetILNS1_3genE4ELNS1_11target_archE910ELNS1_3gpuE8ELNS1_3repE0EEENS1_38merge_mergepath_config_static_selectorELNS0_4arch9wavefront6targetE1EEEvSO_ ; -- Begin function _ZN7rocprim17ROCPRIM_400000_NS6detail17trampoline_kernelINS0_14default_configENS1_38merge_sort_block_merge_config_selectorIjN6thrust23THRUST_200600_302600_NS5tupleIffNS6_9null_typeES8_S8_S8_S8_S8_S8_S8_EEEEZZNS1_27merge_sort_block_merge_implIS3_NS6_6detail15normal_iteratorINS6_10device_ptrIjEEEENSD_INSE_IS9_EEEEjNS1_19radix_merge_compareILb0ELb1EjNS0_19identity_decomposerEEEEE10hipError_tT0_T1_T2_jT3_P12ihipStream_tbPNSt15iterator_traitsISN_E10value_typeEPNST_ISO_E10value_typeEPSP_NS1_7vsmem_tEENKUlT_SN_SO_SP_E_clISG_PjSI_PS9_EESM_S12_SN_SO_SP_EUlS12_E0_NS1_11comp_targetILNS1_3genE4ELNS1_11target_archE910ELNS1_3gpuE8ELNS1_3repE0EEENS1_38merge_mergepath_config_static_selectorELNS0_4arch9wavefront6targetE1EEEvSO_
	.globl	_ZN7rocprim17ROCPRIM_400000_NS6detail17trampoline_kernelINS0_14default_configENS1_38merge_sort_block_merge_config_selectorIjN6thrust23THRUST_200600_302600_NS5tupleIffNS6_9null_typeES8_S8_S8_S8_S8_S8_S8_EEEEZZNS1_27merge_sort_block_merge_implIS3_NS6_6detail15normal_iteratorINS6_10device_ptrIjEEEENSD_INSE_IS9_EEEEjNS1_19radix_merge_compareILb0ELb1EjNS0_19identity_decomposerEEEEE10hipError_tT0_T1_T2_jT3_P12ihipStream_tbPNSt15iterator_traitsISN_E10value_typeEPNST_ISO_E10value_typeEPSP_NS1_7vsmem_tEENKUlT_SN_SO_SP_E_clISG_PjSI_PS9_EESM_S12_SN_SO_SP_EUlS12_E0_NS1_11comp_targetILNS1_3genE4ELNS1_11target_archE910ELNS1_3gpuE8ELNS1_3repE0EEENS1_38merge_mergepath_config_static_selectorELNS0_4arch9wavefront6targetE1EEEvSO_
	.p2align	8
	.type	_ZN7rocprim17ROCPRIM_400000_NS6detail17trampoline_kernelINS0_14default_configENS1_38merge_sort_block_merge_config_selectorIjN6thrust23THRUST_200600_302600_NS5tupleIffNS6_9null_typeES8_S8_S8_S8_S8_S8_S8_EEEEZZNS1_27merge_sort_block_merge_implIS3_NS6_6detail15normal_iteratorINS6_10device_ptrIjEEEENSD_INSE_IS9_EEEEjNS1_19radix_merge_compareILb0ELb1EjNS0_19identity_decomposerEEEEE10hipError_tT0_T1_T2_jT3_P12ihipStream_tbPNSt15iterator_traitsISN_E10value_typeEPNST_ISO_E10value_typeEPSP_NS1_7vsmem_tEENKUlT_SN_SO_SP_E_clISG_PjSI_PS9_EESM_S12_SN_SO_SP_EUlS12_E0_NS1_11comp_targetILNS1_3genE4ELNS1_11target_archE910ELNS1_3gpuE8ELNS1_3repE0EEENS1_38merge_mergepath_config_static_selectorELNS0_4arch9wavefront6targetE1EEEvSO_,@function
_ZN7rocprim17ROCPRIM_400000_NS6detail17trampoline_kernelINS0_14default_configENS1_38merge_sort_block_merge_config_selectorIjN6thrust23THRUST_200600_302600_NS5tupleIffNS6_9null_typeES8_S8_S8_S8_S8_S8_S8_EEEEZZNS1_27merge_sort_block_merge_implIS3_NS6_6detail15normal_iteratorINS6_10device_ptrIjEEEENSD_INSE_IS9_EEEEjNS1_19radix_merge_compareILb0ELb1EjNS0_19identity_decomposerEEEEE10hipError_tT0_T1_T2_jT3_P12ihipStream_tbPNSt15iterator_traitsISN_E10value_typeEPNST_ISO_E10value_typeEPSP_NS1_7vsmem_tEENKUlT_SN_SO_SP_E_clISG_PjSI_PS9_EESM_S12_SN_SO_SP_EUlS12_E0_NS1_11comp_targetILNS1_3genE4ELNS1_11target_archE910ELNS1_3gpuE8ELNS1_3repE0EEENS1_38merge_mergepath_config_static_selectorELNS0_4arch9wavefront6targetE1EEEvSO_: ; @_ZN7rocprim17ROCPRIM_400000_NS6detail17trampoline_kernelINS0_14default_configENS1_38merge_sort_block_merge_config_selectorIjN6thrust23THRUST_200600_302600_NS5tupleIffNS6_9null_typeES8_S8_S8_S8_S8_S8_S8_EEEEZZNS1_27merge_sort_block_merge_implIS3_NS6_6detail15normal_iteratorINS6_10device_ptrIjEEEENSD_INSE_IS9_EEEEjNS1_19radix_merge_compareILb0ELb1EjNS0_19identity_decomposerEEEEE10hipError_tT0_T1_T2_jT3_P12ihipStream_tbPNSt15iterator_traitsISN_E10value_typeEPNST_ISO_E10value_typeEPSP_NS1_7vsmem_tEENKUlT_SN_SO_SP_E_clISG_PjSI_PS9_EESM_S12_SN_SO_SP_EUlS12_E0_NS1_11comp_targetILNS1_3genE4ELNS1_11target_archE910ELNS1_3gpuE8ELNS1_3repE0EEENS1_38merge_mergepath_config_static_selectorELNS0_4arch9wavefront6targetE1EEEvSO_
; %bb.0:
	s_load_dwordx2 s[24:25], s[4:5], 0x40
	s_load_dwordx2 s[16:17], s[4:5], 0x30
	s_add_u32 s20, s4, 64
	s_addc_u32 s21, s5, 0
	s_waitcnt lgkmcnt(0)
	s_mul_i32 s0, s25, s8
	s_add_i32 s0, s0, s7
	s_mul_i32 s0, s0, s24
	s_add_i32 s22, s0, s6
	s_cmp_ge_u32 s22, s16
	s_cbranch_scc1 .LBB126_47
; %bb.1:
	s_load_dwordx8 s[8:15], s[4:5], 0x10
	s_load_dwordx2 s[30:31], s[4:5], 0x8
	s_load_dwordx2 s[0:1], s[4:5], 0x38
	s_mov_b32 s23, 0
	v_mov_b32_e32 v5, 0
	s_waitcnt lgkmcnt(0)
	s_lshr_b32 s7, s14, 10
	s_cmp_lg_u32 s22, s7
	s_cselect_b64 s[18:19], -1, 0
	s_lshl_b64 s[2:3], s[22:23], 2
	s_add_u32 s0, s0, s2
	s_addc_u32 s1, s1, s3
	s_lshr_b32 s2, s15, 9
	s_and_b32 s2, s2, 0x7ffffe
	s_load_dwordx2 s[0:1], s[0:1], 0x0
	s_sub_i32 s3, 0, s2
	s_and_b32 s2, s22, s3
	s_lshl_b32 s4, s2, 10
	s_lshl_b32 s16, s22, 10
	;; [unrolled: 1-line block ×3, first 2 shown]
	s_sub_i32 s5, s16, s4
	s_add_i32 s25, s2, s15
	s_add_i32 s5, s25, s5
	s_waitcnt lgkmcnt(0)
	s_sub_i32 s2, s5, s0
	s_sub_i32 s5, s5, s1
	;; [unrolled: 1-line block ×3, first 2 shown]
	s_min_u32 s2, s14, s2
	s_addk_i32 s5, 0x400
	s_or_b32 s3, s22, s3
	s_min_u32 s25, s14, s4
	s_add_i32 s4, s4, s15
	s_cmp_eq_u32 s3, -1
	s_cselect_b32 s1, s25, s1
	s_cselect_b32 s3, s4, s5
	s_sub_i32 s15, s1, s0
	s_mov_b32 s1, s23
	s_min_u32 s28, s3, s14
	s_lshl_b64 s[4:5], s[0:1], 2
	s_add_u32 s25, s30, s4
	s_mov_b32 s3, s23
	s_addc_u32 s26, s31, s5
	s_lshl_b64 s[4:5], s[2:3], 2
	s_add_u32 s23, s30, s4
	s_addc_u32 s27, s31, s5
	s_cmp_lt_u32 s6, s24
	s_cselect_b32 s4, 12, 18
	global_load_dword v1, v5, s[20:21] offset:14
	s_add_u32 s4, s20, s4
	s_addc_u32 s5, s21, 0
	global_load_ushort v2, v5, s[4:5]
	s_cmp_eq_u32 s22, s7
	s_waitcnt vmcnt(1)
	v_lshrrev_b32_e32 v3, 16, v1
	v_and_b32_e32 v1, 0xffff, v1
	v_mul_lo_u32 v1, v1, v3
	s_waitcnt vmcnt(0)
	v_mul_lo_u32 v17, v1, v2
	v_add_u32_e32 v10, v17, v0
	v_lshlrev_b32_e32 v1, 2, v0
	v_add_u32_e32 v6, v10, v17
	s_cbranch_scc1 .LBB126_3
; %bb.2:
	v_subrev_u32_e32 v4, s15, v0
	v_lshlrev_b64 v[2:3], 2, v[4:5]
	v_mov_b32_e32 v4, s27
	v_add_co_u32_e32 v2, vcc, s23, v2
	v_addc_co_u32_e32 v3, vcc, v4, v3, vcc
	v_mov_b32_e32 v4, s26
	v_add_co_u32_e32 v7, vcc, s25, v1
	v_addc_co_u32_e32 v4, vcc, 0, v4, vcc
	v_cmp_gt_u32_e32 vcc, s15, v0
	v_cndmask_b32_e32 v3, v3, v4, vcc
	v_subrev_u32_e32 v4, s15, v10
	v_cndmask_b32_e32 v2, v2, v7, vcc
	v_lshlrev_b64 v[8:9], 2, v[4:5]
	global_load_dword v2, v[2:3], off
	v_mov_b32_e32 v3, s27
	v_add_co_u32_e32 v4, vcc, s23, v8
	v_mov_b32_e32 v11, v5
	v_addc_co_u32_e32 v3, vcc, v3, v9, vcc
	v_lshlrev_b64 v[8:9], 2, v[10:11]
	v_mov_b32_e32 v7, s26
	v_add_co_u32_e32 v8, vcc, s25, v8
	v_addc_co_u32_e32 v7, vcc, v7, v9, vcc
	v_cmp_gt_u32_e32 vcc, s15, v10
	v_cndmask_b32_e32 v9, v3, v7, vcc
	v_cndmask_b32_e32 v8, v4, v8, vcc
	v_subrev_u32_e32 v4, s15, v6
	global_load_dword v3, v[8:9], off
	v_lshlrev_b64 v[8:9], 2, v[4:5]
	v_mov_b32_e32 v4, s27
	v_add_co_u32_e32 v8, vcc, s23, v8
	v_mov_b32_e32 v7, v5
	v_addc_co_u32_e32 v9, vcc, v4, v9, vcc
	v_lshlrev_b64 v[4:5], 2, v[6:7]
	v_mov_b32_e32 v7, s26
	v_add_co_u32_e32 v4, vcc, s25, v4
	v_addc_co_u32_e32 v5, vcc, v7, v5, vcc
	v_cmp_gt_u32_e32 vcc, s15, v6
	v_cndmask_b32_e32 v5, v9, v5, vcc
	v_cndmask_b32_e32 v4, v8, v4, vcc
	global_load_dword v4, v[4:5], off
	v_add_u32_e32 v8, v6, v17
	s_mov_b64 s[4:5], -1
	s_sub_i32 s20, s28, s2
	s_cbranch_execz .LBB126_4
	s_branch .LBB126_9
.LBB126_3:
	s_mov_b64 s[4:5], 0
                                        ; implicit-def: $vgpr8
                                        ; implicit-def: $vgpr2_vgpr3_vgpr4_vgpr5
	s_sub_i32 s20, s28, s2
.LBB126_4:
	s_add_i32 s6, s20, s15
	v_cmp_gt_u32_e32 vcc, s6, v0
                                        ; implicit-def: $vgpr2_vgpr3_vgpr4_vgpr5
	s_and_saveexec_b64 s[4:5], vcc
	s_cbranch_execnz .LBB126_48
; %bb.5:
	s_or_b64 exec, exec, s[4:5]
	v_cmp_gt_u32_e32 vcc, s6, v10
	s_and_saveexec_b64 s[4:5], vcc
	s_cbranch_execnz .LBB126_49
.LBB126_6:
	s_or_b64 exec, exec, s[4:5]
	v_cmp_gt_u32_e32 vcc, s6, v6
	s_and_saveexec_b64 s[4:5], vcc
	s_cbranch_execz .LBB126_8
.LBB126_7:
	v_mov_b32_e32 v7, 0
	v_lshlrev_b64 v[8:9], 2, v[6:7]
	s_waitcnt vmcnt(0)
	v_mov_b32_e32 v4, s26
	v_add_co_u32_e32 v11, vcc, s25, v8
	v_addc_co_u32_e32 v4, vcc, v4, v9, vcc
	v_subrev_u32_e32 v8, s15, v6
	v_mov_b32_e32 v9, v7
	v_lshlrev_b64 v[8:9], 2, v[8:9]
	v_mov_b32_e32 v7, s27
	v_add_co_u32_e32 v8, vcc, s23, v8
	v_addc_co_u32_e32 v7, vcc, v7, v9, vcc
	v_cmp_gt_u32_e32 vcc, s15, v6
	v_cndmask_b32_e32 v9, v7, v4, vcc
	v_cndmask_b32_e32 v8, v8, v11, vcc
	global_load_dword v4, v[8:9], off
.LBB126_8:
	s_or_b64 exec, exec, s[4:5]
	v_add_u32_e32 v8, v6, v17
	v_cmp_gt_u32_e64 s[4:5], s6, v8
.LBB126_9:
	s_and_saveexec_b64 s[6:7], s[4:5]
	s_cbranch_execz .LBB126_11
; %bb.10:
	v_subrev_u32_e32 v12, s15, v8
	v_mov_b32_e32 v13, 0
	v_lshlrev_b64 v[14:15], 2, v[12:13]
	v_mov_b32_e32 v5, s27
	v_add_co_u32_e32 v7, vcc, s23, v14
	v_mov_b32_e32 v9, v13
	v_addc_co_u32_e32 v5, vcc, v5, v15, vcc
	v_lshlrev_b64 v[12:13], 2, v[8:9]
	v_mov_b32_e32 v9, s26
	v_add_co_u32_e32 v11, vcc, s25, v12
	v_addc_co_u32_e32 v9, vcc, v9, v13, vcc
	v_cmp_gt_u32_e32 vcc, s15, v8
	v_cndmask_b32_e32 v9, v5, v9, vcc
	v_cndmask_b32_e32 v8, v7, v11, vcc
	global_load_dword v5, v[8:9], off
.LBB126_11:
	s_or_b64 exec, exec, s[6:7]
	s_lshl_b64 s[0:1], s[0:1], 3
	s_add_u32 s4, s10, s0
	s_addc_u32 s5, s11, s1
	s_lshl_b64 s[0:1], s[2:3], 3
	s_add_u32 s6, s10, s0
	s_addc_u32 s7, s11, s1
	s_andn2_b64 vcc, exec, s[18:19]
	v_lshlrev_b32_e32 v18, 3, v0
	s_waitcnt vmcnt(0)
	ds_write2st64_b32 v1, v2, v3 offset1:4
	ds_write2st64_b32 v1, v4, v5 offset0:8 offset1:12
	s_cbranch_vccnz .LBB126_14
; %bb.12:
	v_subrev_u32_e32 v14, s15, v0
	v_mov_b32_e32 v15, 0
	v_lshlrev_b64 v[8:9], 3, v[14:15]
	v_mov_b32_e32 v7, s7
	v_add_co_u32_e32 v8, vcc, s6, v8
	v_addc_co_u32_e32 v7, vcc, v7, v9, vcc
	v_mov_b32_e32 v9, s5
	v_add_co_u32_e32 v11, vcc, s4, v18
	v_addc_co_u32_e32 v9, vcc, 0, v9, vcc
	v_subrev_u32_e32 v14, s15, v10
	v_cmp_gt_u32_e32 vcc, s15, v0
	v_lshlrev_b64 v[12:13], 3, v[14:15]
	v_cndmask_b32_e32 v9, v7, v9, vcc
	v_cndmask_b32_e32 v8, v8, v11, vcc
	v_mov_b32_e32 v7, s7
	v_add_co_u32_e32 v14, vcc, s6, v12
	v_mov_b32_e32 v11, v15
	v_addc_co_u32_e32 v7, vcc, v7, v13, vcc
	v_lshlrev_b64 v[12:13], 3, v[10:11]
	v_mov_b32_e32 v11, s5
	v_add_co_u32_e32 v12, vcc, s4, v12
	v_addc_co_u32_e32 v11, vcc, v11, v13, vcc
	v_cmp_gt_u32_e32 vcc, s15, v10
	v_cndmask_b32_e32 v12, v14, v12, vcc
	v_subrev_u32_e32 v14, s15, v6
	v_lshlrev_b64 v[20:21], 3, v[14:15]
	v_cndmask_b32_e32 v13, v7, v11, vcc
	v_mov_b32_e32 v7, s7
	v_add_co_u32_e32 v11, vcc, s6, v20
	v_addc_co_u32_e32 v16, vcc, v7, v21, vcc
	v_mov_b32_e32 v7, v15
	v_lshlrev_b64 v[14:15], 3, v[6:7]
	v_mov_b32_e32 v7, s5
	v_add_co_u32_e32 v14, vcc, s4, v14
	v_addc_co_u32_e32 v7, vcc, v7, v15, vcc
	v_cmp_gt_u32_e32 vcc, s15, v6
	v_cndmask_b32_e32 v15, v16, v7, vcc
	v_cndmask_b32_e32 v14, v11, v14, vcc
	global_load_dwordx2 v[8:9], v[8:9], off
	v_add_u32_e32 v16, v6, v17
	global_load_dwordx2 v[12:13], v[12:13], off
	s_add_i32 s10, s20, s15
	global_load_dwordx2 v[14:15], v[14:15], off
	s_mov_b64 s[0:1], -1
	s_cbranch_execz .LBB126_15
; %bb.13:
                                        ; implicit-def: $sgpr2
	s_branch .LBB126_22
.LBB126_14:
	s_mov_b64 s[0:1], 0
                                        ; implicit-def: $vgpr14_vgpr15
                                        ; implicit-def: $vgpr12_vgpr13
                                        ; implicit-def: $vgpr8_vgpr9
                                        ; implicit-def: $vgpr16
                                        ; implicit-def: $sgpr10
.LBB126_15:
	s_mov_b32 s0, 0
	s_add_i32 s10, s20, s15
	s_mov_b32 s1, s0
	v_cmp_gt_u32_e32 vcc, s10, v0
	s_waitcnt vmcnt(2)
	v_pk_mov_b32 v[8:9], s[0:1], s[0:1] op_sel:[0,1]
	s_and_saveexec_b64 s[2:3], vcc
	s_cbranch_execz .LBB126_17
; %bb.16:
	v_mov_b32_e32 v9, 0
	v_mov_b32_e32 v7, s5
	v_add_co_u32_e32 v11, vcc, s4, v18
	v_subrev_u32_e32 v8, s15, v0
	v_addc_co_u32_e32 v7, vcc, 0, v7, vcc
	v_lshlrev_b64 v[8:9], 3, v[8:9]
	s_waitcnt vmcnt(1)
	v_mov_b32_e32 v12, s7
	v_add_co_u32_e32 v8, vcc, s6, v8
	v_addc_co_u32_e32 v9, vcc, v12, v9, vcc
	v_cmp_gt_u32_e32 vcc, s15, v0
	v_cndmask_b32_e32 v9, v9, v7, vcc
	v_cndmask_b32_e32 v8, v8, v11, vcc
	global_load_dwordx2 v[8:9], v[8:9], off
.LBB126_17:
	s_or_b64 exec, exec, s[2:3]
	v_cmp_gt_u32_e32 vcc, s10, v10
	s_waitcnt vmcnt(1)
	v_pk_mov_b32 v[12:13], s[0:1], s[0:1] op_sel:[0,1]
	s_and_saveexec_b64 s[2:3], vcc
	s_cbranch_execz .LBB126_19
; %bb.18:
	v_mov_b32_e32 v11, 0
	v_lshlrev_b64 v[12:13], 3, v[10:11]
	v_mov_b32_e32 v7, s5
	v_add_co_u32_e32 v12, vcc, s4, v12
	v_addc_co_u32_e32 v7, vcc, v7, v13, vcc
	v_cmp_gt_u32_e32 vcc, s15, v10
	v_subrev_u32_e32 v10, s15, v10
	v_lshlrev_b64 v[10:11], 3, v[10:11]
	v_mov_b32_e32 v13, s7
	v_add_co_u32_e64 v10, s[0:1], s6, v10
	v_addc_co_u32_e64 v11, s[0:1], v13, v11, s[0:1]
	v_cndmask_b32_e32 v11, v11, v7, vcc
	v_cndmask_b32_e32 v10, v10, v12, vcc
	global_load_dwordx2 v[12:13], v[10:11], off
.LBB126_19:
	s_or_b64 exec, exec, s[2:3]
	s_mov_b32 s2, 0
	s_mov_b32 s3, s2
	v_cmp_gt_u32_e32 vcc, s10, v6
	s_waitcnt vmcnt(0)
	v_pk_mov_b32 v[14:15], s[2:3], s[2:3] op_sel:[0,1]
	s_and_saveexec_b64 s[0:1], vcc
	s_cbranch_execz .LBB126_21
; %bb.20:
	v_mov_b32_e32 v7, 0
	v_lshlrev_b64 v[10:11], 3, v[6:7]
	v_mov_b32_e32 v14, s5
	v_add_co_u32_e32 v15, vcc, s4, v10
	v_addc_co_u32_e32 v14, vcc, v14, v11, vcc
	v_subrev_u32_e32 v10, s15, v6
	v_mov_b32_e32 v11, v7
	v_lshlrev_b64 v[10:11], 3, v[10:11]
	v_mov_b32_e32 v7, s7
	v_add_co_u32_e32 v10, vcc, s6, v10
	v_addc_co_u32_e32 v7, vcc, v7, v11, vcc
	v_cmp_gt_u32_e32 vcc, s15, v6
	v_cndmask_b32_e32 v11, v7, v14, vcc
	v_cndmask_b32_e32 v10, v10, v15, vcc
	global_load_dwordx2 v[14:15], v[10:11], off
.LBB126_21:
	s_or_b64 exec, exec, s[0:1]
	v_add_u32_e32 v16, v6, v17
	v_cmp_gt_u32_e64 s[0:1], s10, v16
.LBB126_22:
	v_mov_b32_e32 v10, s10
	v_mov_b32_e32 v6, s2
	;; [unrolled: 1-line block ×3, first 2 shown]
	s_and_saveexec_b64 s[2:3], s[0:1]
	s_cbranch_execz .LBB126_24
; %bb.23:
	v_subrev_u32_e32 v6, s15, v16
	v_mov_b32_e32 v7, 0
	v_lshlrev_b64 v[10:11], 3, v[6:7]
	v_mov_b32_e32 v6, s7
	v_add_co_u32_e32 v10, vcc, s6, v10
	v_mov_b32_e32 v17, v7
	v_addc_co_u32_e32 v11, vcc, v6, v11, vcc
	v_lshlrev_b64 v[6:7], 3, v[16:17]
	v_mov_b32_e32 v17, s5
	v_add_co_u32_e32 v6, vcc, s4, v6
	v_addc_co_u32_e32 v7, vcc, v17, v7, vcc
	v_cmp_gt_u32_e32 vcc, s15, v16
	v_cndmask_b32_e32 v7, v11, v7, vcc
	v_cndmask_b32_e32 v6, v10, v6, vcc
	global_load_dwordx2 v[6:7], v[6:7], off
	v_mov_b32_e32 v10, s10
.LBB126_24:
	s_or_b64 exec, exec, s[2:3]
	v_min_u32_e32 v16, v10, v1
	v_sub_u32_e64 v11, v16, s20 clamp
	v_min_u32_e32 v17, s15, v16
	v_cmp_lt_u32_e32 vcc, v11, v17
	s_waitcnt lgkmcnt(0)
	s_barrier
	s_and_saveexec_b64 s[0:1], vcc
	s_cbranch_execz .LBB126_28
; %bb.25:
	v_lshlrev_b32_e32 v19, 2, v16
	v_lshl_add_u32 v19, s15, 2, v19
	s_mov_b64 s[2:3], 0
.LBB126_26:                             ; =>This Inner Loop Header: Depth=1
	v_add_u32_e32 v20, v17, v11
	v_lshrrev_b32_e32 v20, 1, v20
	v_not_b32_e32 v21, v20
	v_lshlrev_b32_e32 v22, 2, v20
	v_lshl_add_u32 v21, v21, 2, v19
	ds_read_b32 v22, v22
	ds_read_b32 v21, v21
	v_add_u32_e32 v23, 1, v20
	s_waitcnt lgkmcnt(1)
	v_and_b32_e32 v22, s17, v22
	s_waitcnt lgkmcnt(0)
	v_and_b32_e32 v21, s17, v21
	v_cmp_gt_u32_e32 vcc, v22, v21
	v_cndmask_b32_e32 v17, v17, v20, vcc
	v_cndmask_b32_e32 v11, v23, v11, vcc
	v_cmp_ge_u32_e32 vcc, v11, v17
	s_or_b64 s[2:3], vcc, s[2:3]
	s_andn2_b64 exec, exec, s[2:3]
	s_cbranch_execnz .LBB126_26
; %bb.27:
	s_or_b64 exec, exec, s[2:3]
.LBB126_28:
	s_or_b64 exec, exec, s[0:1]
	v_sub_u32_e32 v16, v16, v11
	v_add_u32_e32 v20, s15, v16
	v_cmp_ge_u32_e32 vcc, s15, v11
	v_cmp_le_u32_e64 s[0:1], v20, v10
	s_or_b64 s[0:1], vcc, s[0:1]
                                        ; implicit-def: $vgpr21
                                        ; implicit-def: $vgpr19
                                        ; implicit-def: $vgpr17
                                        ; implicit-def: $vgpr16
	s_and_saveexec_b64 s[10:11], s[0:1]
	s_cbranch_execz .LBB126_34
; %bb.29:
	v_cmp_gt_u32_e32 vcc, s15, v11
                                        ; implicit-def: $vgpr2
	s_and_saveexec_b64 s[0:1], vcc
	s_cbranch_execz .LBB126_31
; %bb.30:
	v_lshlrev_b32_e32 v2, 2, v11
	ds_read_b32 v2, v2
.LBB126_31:
	s_or_b64 exec, exec, s[0:1]
	v_cmp_ge_u32_e64 s[0:1], v20, v10
	v_cmp_lt_u32_e64 s[2:3], v20, v10
                                        ; implicit-def: $vgpr3
	s_and_saveexec_b64 s[4:5], s[2:3]
	s_cbranch_execz .LBB126_33
; %bb.32:
	v_lshlrev_b32_e32 v3, 2, v20
	ds_read_b32 v3, v3
.LBB126_33:
	s_or_b64 exec, exec, s[4:5]
	s_waitcnt lgkmcnt(0)
	v_and_b32_e32 v4, s17, v3
	v_and_b32_e32 v5, s17, v2
	v_cmp_le_u32_e64 s[2:3], v5, v4
	s_and_b64 s[2:3], vcc, s[2:3]
	s_or_b64 vcc, s[0:1], s[2:3]
	v_mov_b32_e32 v4, s15
	v_cndmask_b32_e32 v16, v20, v11, vcc
	v_cndmask_b32_e32 v5, v10, v4, vcc
	v_add_u32_e32 v17, 1, v16
	v_add_u32_e32 v5, -1, v5
	v_min_u32_e32 v5, v17, v5
	v_lshlrev_b32_e32 v5, 2, v5
	ds_read_b32 v5, v5
	v_cndmask_b32_e32 v19, v17, v20, vcc
	v_cndmask_b32_e32 v11, v11, v17, vcc
	v_cmp_gt_u32_e64 s[2:3], s15, v11
	v_cmp_ge_u32_e64 s[0:1], v19, v10
	s_waitcnt lgkmcnt(0)
	v_cndmask_b32_e32 v21, v5, v3, vcc
	v_cndmask_b32_e32 v5, v2, v5, vcc
	v_and_b32_e32 v17, s17, v21
	v_and_b32_e32 v20, s17, v5
	v_cmp_le_u32_e64 s[4:5], v20, v17
	s_and_b64 s[2:3], s[2:3], s[4:5]
	s_or_b64 s[0:1], s[0:1], s[2:3]
	v_cndmask_b32_e64 v17, v19, v11, s[0:1]
	v_cndmask_b32_e64 v20, v10, v4, s[0:1]
	v_add_u32_e32 v22, 1, v17
	v_add_u32_e32 v20, -1, v20
	v_min_u32_e32 v20, v22, v20
	v_lshlrev_b32_e32 v20, 2, v20
	ds_read_b32 v20, v20
	v_cndmask_b32_e64 v24, v22, v19, s[0:1]
	v_cndmask_b32_e64 v11, v11, v22, s[0:1]
	v_cmp_gt_u32_e64 s[4:5], s15, v11
	v_cmp_ge_u32_e64 s[2:3], v24, v10
	s_waitcnt lgkmcnt(0)
	v_cndmask_b32_e64 v23, v20, v21, s[0:1]
	v_cndmask_b32_e64 v20, v5, v20, s[0:1]
	v_and_b32_e32 v19, s17, v23
	v_and_b32_e32 v22, s17, v20
	v_cmp_le_u32_e64 s[6:7], v22, v19
	s_and_b64 s[4:5], s[4:5], s[6:7]
	s_or_b64 s[2:3], s[2:3], s[4:5]
	v_cndmask_b32_e64 v19, v24, v11, s[2:3]
	v_cndmask_b32_e64 v4, v10, v4, s[2:3]
	v_add_u32_e32 v22, 1, v19
	v_add_u32_e32 v4, -1, v4
	v_min_u32_e32 v4, v22, v4
	v_lshlrev_b32_e32 v4, 2, v4
	ds_read_b32 v25, v4
	v_cndmask_b32_e32 v2, v3, v2, vcc
	v_cndmask_b32_e64 v3, v21, v5, s[0:1]
	v_cndmask_b32_e64 v4, v23, v20, s[2:3]
	;; [unrolled: 1-line block ×3, first 2 shown]
	s_waitcnt lgkmcnt(0)
	v_cndmask_b32_e64 v5, v25, v23, s[2:3]
	v_cndmask_b32_e64 v20, v20, v25, s[2:3]
	;; [unrolled: 1-line block ×3, first 2 shown]
	v_cmp_ge_u32_e32 vcc, v21, v10
	v_and_b32_e32 v10, s17, v5
	v_and_b32_e32 v22, s17, v20
	v_cmp_gt_u32_e64 s[0:1], s15, v11
	v_cmp_le_u32_e64 s[2:3], v22, v10
	s_and_b64 s[0:1], s[0:1], s[2:3]
	s_or_b64 vcc, vcc, s[0:1]
	v_cndmask_b32_e32 v21, v21, v11, vcc
	v_cndmask_b32_e32 v5, v5, v20, vcc
.LBB126_34:
	s_or_b64 exec, exec, s[10:11]
	v_add_u32_e32 v22, v1, v1
	s_barrier
	s_waitcnt vmcnt(1)
	ds_write2st64_b64 v22, v[8:9], v[12:13] offset1:4
	s_waitcnt vmcnt(0)
	ds_write2st64_b64 v22, v[14:15], v[6:7] offset0:8 offset1:12
	v_lshlrev_b32_e32 v6, 3, v16
	v_lshlrev_b32_e32 v7, 3, v17
	;; [unrolled: 1-line block ×4, first 2 shown]
	s_waitcnt lgkmcnt(0)
	s_barrier
	ds_read_b64 v[10:11], v6
	ds_read_b64 v[12:13], v7
	;; [unrolled: 1-line block ×4, first 2 shown]
	s_mov_b32 s17, 0
	s_lshl_b64 s[0:1], s[16:17], 2
	v_lshrrev_b32_e32 v14, 3, v0
	s_add_u32 s0, s8, s0
	v_add_u32_e32 v16, v14, v1
	s_addc_u32 s1, s9, s1
	v_lshlrev_b32_e32 v17, 2, v16
	s_waitcnt lgkmcnt(0)
	s_barrier
	s_barrier
	ds_write2_b32 v17, v2, v3 offset1:1
	ds_write2_b32 v17, v4, v5 offset0:2 offset1:3
	v_or_b32_e32 v21, 0x100, v0
	v_or_b32_e32 v20, 0x200, v0
	;; [unrolled: 1-line block ×3, first 2 shown]
	v_mov_b32_e32 v3, s1
	v_add_co_u32_e32 v2, vcc, s0, v1
	v_lshrrev_b32_e32 v14, 5, v0
	v_lshrrev_b32_e32 v4, 5, v21
	;; [unrolled: 1-line block ×4, first 2 shown]
	v_addc_co_u32_e32 v3, vcc, 0, v3, vcc
	v_lshl_add_u32 v15, v14, 2, v1
	v_lshl_add_u32 v23, v4, 2, v1
	v_lshl_add_u32 v24, v5, 2, v1
	v_lshl_add_u32 v25, v26, 2, v1
	s_mov_b64 s[0:1], -1
	s_and_b64 vcc, exec, s[18:19]
	v_lshl_add_u32 v1, v4, 3, v22
	v_lshl_add_u32 v4, v5, 3, v22
	;; [unrolled: 1-line block ×3, first 2 shown]
	s_waitcnt lgkmcnt(0)
	s_cbranch_vccz .LBB126_36
; %bb.35:
	s_barrier
	ds_read_b32 v26, v15
	ds_read_b32 v27, v23 offset:1024
	ds_read_b32 v28, v24 offset:2048
	;; [unrolled: 1-line block ×3, first 2 shown]
	s_lshl_b64 s[0:1], s[16:17], 3
	s_add_u32 s0, s12, s0
	s_waitcnt lgkmcnt(3)
	global_store_dword v[2:3], v26, off
	s_waitcnt lgkmcnt(2)
	global_store_dword v[2:3], v27, off offset:1024
	s_waitcnt lgkmcnt(1)
	global_store_dword v[2:3], v28, off offset:2048
	;; [unrolled: 2-line block ×3, first 2 shown]
	v_lshlrev_b32_e32 v26, 3, v16
	v_lshl_add_u32 v22, v14, 3, v22
	s_barrier
	s_addc_u32 s1, s13, s1
	ds_write2_b64 v26, v[10:11], v[12:13] offset1:1
	ds_write2_b64 v26, v[6:7], v[8:9] offset0:2 offset1:3
	s_waitcnt lgkmcnt(0)
	s_barrier
	ds_read_b64 v[26:27], v22
	ds_read_b64 v[28:29], v1 offset:2048
	v_mov_b32_e32 v30, s1
	v_add_co_u32_e32 v22, vcc, s0, v18
	v_addc_co_u32_e32 v34, vcc, 0, v30, vcc
	ds_read_b64 v[30:31], v4 offset:4096
	ds_read_b64 v[32:33], v5 offset:6144
	s_waitcnt lgkmcnt(3)
	global_store_dwordx2 v18, v[26:27], s[0:1]
	s_waitcnt lgkmcnt(2)
	global_store_dwordx2 v18, v[28:29], s[0:1] offset:2048
	v_add_co_u32_e32 v26, vcc, 0x1000, v22
	v_addc_co_u32_e32 v27, vcc, 0, v34, vcc
	s_waitcnt lgkmcnt(1)
	global_store_dwordx2 v[26:27], v[30:31], off
	s_waitcnt lgkmcnt(0)
	global_store_dwordx2 v[26:27], v[32:33], off offset:2048
	s_mov_b64 s[0:1], 0
.LBB126_36:
	s_andn2_b64 vcc, exec, s[0:1]
	s_cbranch_vccnz .LBB126_47
; %bb.37:
	s_barrier
	ds_read_b32 v26, v23 offset:1024
	ds_read_b32 v23, v24 offset:2048
	ds_read_b32 v22, v25 offset:3072
	s_sub_i32 s6, s14, s16
	v_cmp_gt_u32_e32 vcc, s6, v0
	s_and_saveexec_b64 s[0:1], vcc
	s_cbranch_execnz .LBB126_50
; %bb.38:
	s_or_b64 exec, exec, s[0:1]
	v_cmp_gt_u32_e64 s[2:3], s6, v21
	s_and_saveexec_b64 s[0:1], s[2:3]
	s_cbranch_execnz .LBB126_51
.LBB126_39:
	s_or_b64 exec, exec, s[0:1]
	v_cmp_gt_u32_e64 s[4:5], s6, v20
	s_and_saveexec_b64 s[0:1], s[4:5]
	s_cbranch_execnz .LBB126_52
.LBB126_40:
	s_or_b64 exec, exec, s[0:1]
	v_cmp_gt_u32_e64 s[0:1], s6, v19
	s_and_saveexec_b64 s[6:7], s[0:1]
	s_cbranch_execz .LBB126_42
.LBB126_41:
	s_waitcnt lgkmcnt(0)
	global_store_dword v[2:3], v22, off offset:3072
.LBB126_42:
	s_or_b64 exec, exec, s[6:7]
	v_lshl_add_u32 v2, v16, 2, v17
	s_waitcnt lgkmcnt(0)
	s_barrier
	ds_write2_b64 v2, v[10:11], v[12:13] offset1:1
	ds_write2_b64 v2, v[6:7], v[8:9] offset0:2 offset1:3
	s_waitcnt lgkmcnt(0)
	s_barrier
	ds_read_b64 v[8:9], v1 offset:2048
	ds_read_b64 v[6:7], v4 offset:4096
	;; [unrolled: 1-line block ×3, first 2 shown]
	s_lshl_b64 s[6:7], s[16:17], 3
	s_add_u32 s6, s12, s6
	s_addc_u32 s7, s13, s7
	v_mov_b32_e32 v1, s7
	v_add_co_u32_e64 v4, s[6:7], s6, v18
	v_addc_co_u32_e64 v5, s[6:7], 0, v1, s[6:7]
	s_and_saveexec_b64 s[6:7], vcc
	s_cbranch_execnz .LBB126_53
; %bb.43:
	s_or_b64 exec, exec, s[6:7]
	s_and_saveexec_b64 s[6:7], s[2:3]
	s_cbranch_execnz .LBB126_54
.LBB126_44:
	s_or_b64 exec, exec, s[6:7]
	s_and_saveexec_b64 s[2:3], s[4:5]
	s_cbranch_execnz .LBB126_55
.LBB126_45:
	s_or_b64 exec, exec, s[2:3]
	s_and_saveexec_b64 s[2:3], s[0:1]
	s_cbranch_execz .LBB126_47
.LBB126_46:
	v_add_co_u32_e32 v0, vcc, 0x1000, v4
	v_addc_co_u32_e32 v1, vcc, 0, v5, vcc
	s_waitcnt lgkmcnt(0)
	global_store_dwordx2 v[0:1], v[2:3], off offset:2048
.LBB126_47:
	s_endpgm
.LBB126_48:
	s_waitcnt vmcnt(2)
	v_mov_b32_e32 v2, s26
	s_waitcnt vmcnt(0)
	v_add_co_u32_e32 v4, vcc, s25, v1
	v_mov_b32_e32 v3, 0
	v_addc_co_u32_e32 v5, vcc, 0, v2, vcc
	v_subrev_u32_e32 v2, s15, v0
	v_lshlrev_b64 v[2:3], 2, v[2:3]
	v_mov_b32_e32 v7, s27
	v_add_co_u32_e32 v2, vcc, s23, v2
	v_addc_co_u32_e32 v3, vcc, v7, v3, vcc
	v_cmp_gt_u32_e32 vcc, s15, v0
	v_cndmask_b32_e32 v3, v3, v5, vcc
	v_cndmask_b32_e32 v2, v2, v4, vcc
	global_load_dword v2, v[2:3], off
	s_or_b64 exec, exec, s[4:5]
	v_cmp_gt_u32_e32 vcc, s6, v10
	s_and_saveexec_b64 s[4:5], vcc
	s_cbranch_execz .LBB126_6
.LBB126_49:
	v_mov_b32_e32 v11, 0
	v_lshlrev_b64 v[8:9], 2, v[10:11]
	s_waitcnt vmcnt(1)
	v_mov_b32_e32 v3, s26
	v_add_co_u32_e32 v7, vcc, s25, v8
	v_addc_co_u32_e32 v3, vcc, v3, v9, vcc
	v_subrev_u32_e32 v8, s15, v10
	v_mov_b32_e32 v9, v11
	v_lshlrev_b64 v[8:9], 2, v[8:9]
	v_mov_b32_e32 v11, s27
	v_add_co_u32_e32 v8, vcc, s23, v8
	v_addc_co_u32_e32 v9, vcc, v11, v9, vcc
	v_cmp_gt_u32_e32 vcc, s15, v10
	v_cndmask_b32_e32 v9, v9, v3, vcc
	v_cndmask_b32_e32 v8, v8, v7, vcc
	global_load_dword v3, v[8:9], off
	s_or_b64 exec, exec, s[4:5]
	v_cmp_gt_u32_e32 vcc, s6, v6
	s_and_saveexec_b64 s[4:5], vcc
	s_cbranch_execnz .LBB126_7
	s_branch .LBB126_8
.LBB126_50:
	ds_read_b32 v24, v15
	s_waitcnt lgkmcnt(0)
	global_store_dword v[2:3], v24, off
	s_or_b64 exec, exec, s[0:1]
	v_cmp_gt_u32_e64 s[2:3], s6, v21
	s_and_saveexec_b64 s[0:1], s[2:3]
	s_cbranch_execz .LBB126_39
.LBB126_51:
	s_waitcnt lgkmcnt(2)
	global_store_dword v[2:3], v26, off offset:1024
	s_or_b64 exec, exec, s[0:1]
	v_cmp_gt_u32_e64 s[4:5], s6, v20
	s_and_saveexec_b64 s[0:1], s[4:5]
	s_cbranch_execz .LBB126_40
.LBB126_52:
	s_waitcnt lgkmcnt(1)
	global_store_dword v[2:3], v23, off offset:2048
	s_or_b64 exec, exec, s[0:1]
	v_cmp_gt_u32_e64 s[0:1], s6, v19
	s_and_saveexec_b64 s[6:7], s[0:1]
	s_cbranch_execnz .LBB126_41
	s_branch .LBB126_42
.LBB126_53:
	v_add_u32_e32 v0, v14, v0
	v_lshl_add_u32 v0, v0, 2, v15
	ds_read_b64 v[0:1], v0
	s_waitcnt lgkmcnt(0)
	global_store_dwordx2 v[4:5], v[0:1], off
	s_or_b64 exec, exec, s[6:7]
	s_and_saveexec_b64 s[6:7], s[2:3]
	s_cbranch_execz .LBB126_44
.LBB126_54:
	s_waitcnt lgkmcnt(2)
	global_store_dwordx2 v[4:5], v[8:9], off offset:2048
	s_or_b64 exec, exec, s[6:7]
	s_and_saveexec_b64 s[2:3], s[4:5]
	s_cbranch_execz .LBB126_45
.LBB126_55:
	v_add_co_u32_e32 v0, vcc, 0x1000, v4
	v_addc_co_u32_e32 v1, vcc, 0, v5, vcc
	s_waitcnt lgkmcnt(1)
	global_store_dwordx2 v[0:1], v[6:7], off
	s_or_b64 exec, exec, s[2:3]
	s_and_saveexec_b64 s[2:3], s[0:1]
	s_cbranch_execnz .LBB126_46
	s_branch .LBB126_47
	.section	.rodata,"a",@progbits
	.p2align	6, 0x0
	.amdhsa_kernel _ZN7rocprim17ROCPRIM_400000_NS6detail17trampoline_kernelINS0_14default_configENS1_38merge_sort_block_merge_config_selectorIjN6thrust23THRUST_200600_302600_NS5tupleIffNS6_9null_typeES8_S8_S8_S8_S8_S8_S8_EEEEZZNS1_27merge_sort_block_merge_implIS3_NS6_6detail15normal_iteratorINS6_10device_ptrIjEEEENSD_INSE_IS9_EEEEjNS1_19radix_merge_compareILb0ELb1EjNS0_19identity_decomposerEEEEE10hipError_tT0_T1_T2_jT3_P12ihipStream_tbPNSt15iterator_traitsISN_E10value_typeEPNST_ISO_E10value_typeEPSP_NS1_7vsmem_tEENKUlT_SN_SO_SP_E_clISG_PjSI_PS9_EESM_S12_SN_SO_SP_EUlS12_E0_NS1_11comp_targetILNS1_3genE4ELNS1_11target_archE910ELNS1_3gpuE8ELNS1_3repE0EEENS1_38merge_mergepath_config_static_selectorELNS0_4arch9wavefront6targetE1EEEvSO_
		.amdhsa_group_segment_fixed_size 8448
		.amdhsa_private_segment_fixed_size 0
		.amdhsa_kernarg_size 320
		.amdhsa_user_sgpr_count 6
		.amdhsa_user_sgpr_private_segment_buffer 1
		.amdhsa_user_sgpr_dispatch_ptr 0
		.amdhsa_user_sgpr_queue_ptr 0
		.amdhsa_user_sgpr_kernarg_segment_ptr 1
		.amdhsa_user_sgpr_dispatch_id 0
		.amdhsa_user_sgpr_flat_scratch_init 0
		.amdhsa_user_sgpr_kernarg_preload_length 0
		.amdhsa_user_sgpr_kernarg_preload_offset 0
		.amdhsa_user_sgpr_private_segment_size 0
		.amdhsa_uses_dynamic_stack 0
		.amdhsa_system_sgpr_private_segment_wavefront_offset 0
		.amdhsa_system_sgpr_workgroup_id_x 1
		.amdhsa_system_sgpr_workgroup_id_y 1
		.amdhsa_system_sgpr_workgroup_id_z 1
		.amdhsa_system_sgpr_workgroup_info 0
		.amdhsa_system_vgpr_workitem_id 0
		.amdhsa_next_free_vgpr 35
		.amdhsa_next_free_sgpr 32
		.amdhsa_accum_offset 36
		.amdhsa_reserve_vcc 1
		.amdhsa_reserve_flat_scratch 0
		.amdhsa_float_round_mode_32 0
		.amdhsa_float_round_mode_16_64 0
		.amdhsa_float_denorm_mode_32 3
		.amdhsa_float_denorm_mode_16_64 3
		.amdhsa_dx10_clamp 1
		.amdhsa_ieee_mode 1
		.amdhsa_fp16_overflow 0
		.amdhsa_tg_split 0
		.amdhsa_exception_fp_ieee_invalid_op 0
		.amdhsa_exception_fp_denorm_src 0
		.amdhsa_exception_fp_ieee_div_zero 0
		.amdhsa_exception_fp_ieee_overflow 0
		.amdhsa_exception_fp_ieee_underflow 0
		.amdhsa_exception_fp_ieee_inexact 0
		.amdhsa_exception_int_div_zero 0
	.end_amdhsa_kernel
	.section	.text._ZN7rocprim17ROCPRIM_400000_NS6detail17trampoline_kernelINS0_14default_configENS1_38merge_sort_block_merge_config_selectorIjN6thrust23THRUST_200600_302600_NS5tupleIffNS6_9null_typeES8_S8_S8_S8_S8_S8_S8_EEEEZZNS1_27merge_sort_block_merge_implIS3_NS6_6detail15normal_iteratorINS6_10device_ptrIjEEEENSD_INSE_IS9_EEEEjNS1_19radix_merge_compareILb0ELb1EjNS0_19identity_decomposerEEEEE10hipError_tT0_T1_T2_jT3_P12ihipStream_tbPNSt15iterator_traitsISN_E10value_typeEPNST_ISO_E10value_typeEPSP_NS1_7vsmem_tEENKUlT_SN_SO_SP_E_clISG_PjSI_PS9_EESM_S12_SN_SO_SP_EUlS12_E0_NS1_11comp_targetILNS1_3genE4ELNS1_11target_archE910ELNS1_3gpuE8ELNS1_3repE0EEENS1_38merge_mergepath_config_static_selectorELNS0_4arch9wavefront6targetE1EEEvSO_,"axG",@progbits,_ZN7rocprim17ROCPRIM_400000_NS6detail17trampoline_kernelINS0_14default_configENS1_38merge_sort_block_merge_config_selectorIjN6thrust23THRUST_200600_302600_NS5tupleIffNS6_9null_typeES8_S8_S8_S8_S8_S8_S8_EEEEZZNS1_27merge_sort_block_merge_implIS3_NS6_6detail15normal_iteratorINS6_10device_ptrIjEEEENSD_INSE_IS9_EEEEjNS1_19radix_merge_compareILb0ELb1EjNS0_19identity_decomposerEEEEE10hipError_tT0_T1_T2_jT3_P12ihipStream_tbPNSt15iterator_traitsISN_E10value_typeEPNST_ISO_E10value_typeEPSP_NS1_7vsmem_tEENKUlT_SN_SO_SP_E_clISG_PjSI_PS9_EESM_S12_SN_SO_SP_EUlS12_E0_NS1_11comp_targetILNS1_3genE4ELNS1_11target_archE910ELNS1_3gpuE8ELNS1_3repE0EEENS1_38merge_mergepath_config_static_selectorELNS0_4arch9wavefront6targetE1EEEvSO_,comdat
.Lfunc_end126:
	.size	_ZN7rocprim17ROCPRIM_400000_NS6detail17trampoline_kernelINS0_14default_configENS1_38merge_sort_block_merge_config_selectorIjN6thrust23THRUST_200600_302600_NS5tupleIffNS6_9null_typeES8_S8_S8_S8_S8_S8_S8_EEEEZZNS1_27merge_sort_block_merge_implIS3_NS6_6detail15normal_iteratorINS6_10device_ptrIjEEEENSD_INSE_IS9_EEEEjNS1_19radix_merge_compareILb0ELb1EjNS0_19identity_decomposerEEEEE10hipError_tT0_T1_T2_jT3_P12ihipStream_tbPNSt15iterator_traitsISN_E10value_typeEPNST_ISO_E10value_typeEPSP_NS1_7vsmem_tEENKUlT_SN_SO_SP_E_clISG_PjSI_PS9_EESM_S12_SN_SO_SP_EUlS12_E0_NS1_11comp_targetILNS1_3genE4ELNS1_11target_archE910ELNS1_3gpuE8ELNS1_3repE0EEENS1_38merge_mergepath_config_static_selectorELNS0_4arch9wavefront6targetE1EEEvSO_, .Lfunc_end126-_ZN7rocprim17ROCPRIM_400000_NS6detail17trampoline_kernelINS0_14default_configENS1_38merge_sort_block_merge_config_selectorIjN6thrust23THRUST_200600_302600_NS5tupleIffNS6_9null_typeES8_S8_S8_S8_S8_S8_S8_EEEEZZNS1_27merge_sort_block_merge_implIS3_NS6_6detail15normal_iteratorINS6_10device_ptrIjEEEENSD_INSE_IS9_EEEEjNS1_19radix_merge_compareILb0ELb1EjNS0_19identity_decomposerEEEEE10hipError_tT0_T1_T2_jT3_P12ihipStream_tbPNSt15iterator_traitsISN_E10value_typeEPNST_ISO_E10value_typeEPSP_NS1_7vsmem_tEENKUlT_SN_SO_SP_E_clISG_PjSI_PS9_EESM_S12_SN_SO_SP_EUlS12_E0_NS1_11comp_targetILNS1_3genE4ELNS1_11target_archE910ELNS1_3gpuE8ELNS1_3repE0EEENS1_38merge_mergepath_config_static_selectorELNS0_4arch9wavefront6targetE1EEEvSO_
                                        ; -- End function
	.section	.AMDGPU.csdata,"",@progbits
; Kernel info:
; codeLenInByte = 3324
; NumSgprs: 36
; NumVgprs: 35
; NumAgprs: 0
; TotalNumVgprs: 35
; ScratchSize: 0
; MemoryBound: 0
; FloatMode: 240
; IeeeMode: 1
; LDSByteSize: 8448 bytes/workgroup (compile time only)
; SGPRBlocks: 4
; VGPRBlocks: 4
; NumSGPRsForWavesPerEU: 36
; NumVGPRsForWavesPerEU: 35
; AccumOffset: 36
; Occupancy: 7
; WaveLimiterHint : 1
; COMPUTE_PGM_RSRC2:SCRATCH_EN: 0
; COMPUTE_PGM_RSRC2:USER_SGPR: 6
; COMPUTE_PGM_RSRC2:TRAP_HANDLER: 0
; COMPUTE_PGM_RSRC2:TGID_X_EN: 1
; COMPUTE_PGM_RSRC2:TGID_Y_EN: 1
; COMPUTE_PGM_RSRC2:TGID_Z_EN: 1
; COMPUTE_PGM_RSRC2:TIDIG_COMP_CNT: 0
; COMPUTE_PGM_RSRC3_GFX90A:ACCUM_OFFSET: 8
; COMPUTE_PGM_RSRC3_GFX90A:TG_SPLIT: 0
	.section	.text._ZN7rocprim17ROCPRIM_400000_NS6detail17trampoline_kernelINS0_14default_configENS1_38merge_sort_block_merge_config_selectorIjN6thrust23THRUST_200600_302600_NS5tupleIffNS6_9null_typeES8_S8_S8_S8_S8_S8_S8_EEEEZZNS1_27merge_sort_block_merge_implIS3_NS6_6detail15normal_iteratorINS6_10device_ptrIjEEEENSD_INSE_IS9_EEEEjNS1_19radix_merge_compareILb0ELb1EjNS0_19identity_decomposerEEEEE10hipError_tT0_T1_T2_jT3_P12ihipStream_tbPNSt15iterator_traitsISN_E10value_typeEPNST_ISO_E10value_typeEPSP_NS1_7vsmem_tEENKUlT_SN_SO_SP_E_clISG_PjSI_PS9_EESM_S12_SN_SO_SP_EUlS12_E0_NS1_11comp_targetILNS1_3genE3ELNS1_11target_archE908ELNS1_3gpuE7ELNS1_3repE0EEENS1_38merge_mergepath_config_static_selectorELNS0_4arch9wavefront6targetE1EEEvSO_,"axG",@progbits,_ZN7rocprim17ROCPRIM_400000_NS6detail17trampoline_kernelINS0_14default_configENS1_38merge_sort_block_merge_config_selectorIjN6thrust23THRUST_200600_302600_NS5tupleIffNS6_9null_typeES8_S8_S8_S8_S8_S8_S8_EEEEZZNS1_27merge_sort_block_merge_implIS3_NS6_6detail15normal_iteratorINS6_10device_ptrIjEEEENSD_INSE_IS9_EEEEjNS1_19radix_merge_compareILb0ELb1EjNS0_19identity_decomposerEEEEE10hipError_tT0_T1_T2_jT3_P12ihipStream_tbPNSt15iterator_traitsISN_E10value_typeEPNST_ISO_E10value_typeEPSP_NS1_7vsmem_tEENKUlT_SN_SO_SP_E_clISG_PjSI_PS9_EESM_S12_SN_SO_SP_EUlS12_E0_NS1_11comp_targetILNS1_3genE3ELNS1_11target_archE908ELNS1_3gpuE7ELNS1_3repE0EEENS1_38merge_mergepath_config_static_selectorELNS0_4arch9wavefront6targetE1EEEvSO_,comdat
	.protected	_ZN7rocprim17ROCPRIM_400000_NS6detail17trampoline_kernelINS0_14default_configENS1_38merge_sort_block_merge_config_selectorIjN6thrust23THRUST_200600_302600_NS5tupleIffNS6_9null_typeES8_S8_S8_S8_S8_S8_S8_EEEEZZNS1_27merge_sort_block_merge_implIS3_NS6_6detail15normal_iteratorINS6_10device_ptrIjEEEENSD_INSE_IS9_EEEEjNS1_19radix_merge_compareILb0ELb1EjNS0_19identity_decomposerEEEEE10hipError_tT0_T1_T2_jT3_P12ihipStream_tbPNSt15iterator_traitsISN_E10value_typeEPNST_ISO_E10value_typeEPSP_NS1_7vsmem_tEENKUlT_SN_SO_SP_E_clISG_PjSI_PS9_EESM_S12_SN_SO_SP_EUlS12_E0_NS1_11comp_targetILNS1_3genE3ELNS1_11target_archE908ELNS1_3gpuE7ELNS1_3repE0EEENS1_38merge_mergepath_config_static_selectorELNS0_4arch9wavefront6targetE1EEEvSO_ ; -- Begin function _ZN7rocprim17ROCPRIM_400000_NS6detail17trampoline_kernelINS0_14default_configENS1_38merge_sort_block_merge_config_selectorIjN6thrust23THRUST_200600_302600_NS5tupleIffNS6_9null_typeES8_S8_S8_S8_S8_S8_S8_EEEEZZNS1_27merge_sort_block_merge_implIS3_NS6_6detail15normal_iteratorINS6_10device_ptrIjEEEENSD_INSE_IS9_EEEEjNS1_19radix_merge_compareILb0ELb1EjNS0_19identity_decomposerEEEEE10hipError_tT0_T1_T2_jT3_P12ihipStream_tbPNSt15iterator_traitsISN_E10value_typeEPNST_ISO_E10value_typeEPSP_NS1_7vsmem_tEENKUlT_SN_SO_SP_E_clISG_PjSI_PS9_EESM_S12_SN_SO_SP_EUlS12_E0_NS1_11comp_targetILNS1_3genE3ELNS1_11target_archE908ELNS1_3gpuE7ELNS1_3repE0EEENS1_38merge_mergepath_config_static_selectorELNS0_4arch9wavefront6targetE1EEEvSO_
	.globl	_ZN7rocprim17ROCPRIM_400000_NS6detail17trampoline_kernelINS0_14default_configENS1_38merge_sort_block_merge_config_selectorIjN6thrust23THRUST_200600_302600_NS5tupleIffNS6_9null_typeES8_S8_S8_S8_S8_S8_S8_EEEEZZNS1_27merge_sort_block_merge_implIS3_NS6_6detail15normal_iteratorINS6_10device_ptrIjEEEENSD_INSE_IS9_EEEEjNS1_19radix_merge_compareILb0ELb1EjNS0_19identity_decomposerEEEEE10hipError_tT0_T1_T2_jT3_P12ihipStream_tbPNSt15iterator_traitsISN_E10value_typeEPNST_ISO_E10value_typeEPSP_NS1_7vsmem_tEENKUlT_SN_SO_SP_E_clISG_PjSI_PS9_EESM_S12_SN_SO_SP_EUlS12_E0_NS1_11comp_targetILNS1_3genE3ELNS1_11target_archE908ELNS1_3gpuE7ELNS1_3repE0EEENS1_38merge_mergepath_config_static_selectorELNS0_4arch9wavefront6targetE1EEEvSO_
	.p2align	8
	.type	_ZN7rocprim17ROCPRIM_400000_NS6detail17trampoline_kernelINS0_14default_configENS1_38merge_sort_block_merge_config_selectorIjN6thrust23THRUST_200600_302600_NS5tupleIffNS6_9null_typeES8_S8_S8_S8_S8_S8_S8_EEEEZZNS1_27merge_sort_block_merge_implIS3_NS6_6detail15normal_iteratorINS6_10device_ptrIjEEEENSD_INSE_IS9_EEEEjNS1_19radix_merge_compareILb0ELb1EjNS0_19identity_decomposerEEEEE10hipError_tT0_T1_T2_jT3_P12ihipStream_tbPNSt15iterator_traitsISN_E10value_typeEPNST_ISO_E10value_typeEPSP_NS1_7vsmem_tEENKUlT_SN_SO_SP_E_clISG_PjSI_PS9_EESM_S12_SN_SO_SP_EUlS12_E0_NS1_11comp_targetILNS1_3genE3ELNS1_11target_archE908ELNS1_3gpuE7ELNS1_3repE0EEENS1_38merge_mergepath_config_static_selectorELNS0_4arch9wavefront6targetE1EEEvSO_,@function
_ZN7rocprim17ROCPRIM_400000_NS6detail17trampoline_kernelINS0_14default_configENS1_38merge_sort_block_merge_config_selectorIjN6thrust23THRUST_200600_302600_NS5tupleIffNS6_9null_typeES8_S8_S8_S8_S8_S8_S8_EEEEZZNS1_27merge_sort_block_merge_implIS3_NS6_6detail15normal_iteratorINS6_10device_ptrIjEEEENSD_INSE_IS9_EEEEjNS1_19radix_merge_compareILb0ELb1EjNS0_19identity_decomposerEEEEE10hipError_tT0_T1_T2_jT3_P12ihipStream_tbPNSt15iterator_traitsISN_E10value_typeEPNST_ISO_E10value_typeEPSP_NS1_7vsmem_tEENKUlT_SN_SO_SP_E_clISG_PjSI_PS9_EESM_S12_SN_SO_SP_EUlS12_E0_NS1_11comp_targetILNS1_3genE3ELNS1_11target_archE908ELNS1_3gpuE7ELNS1_3repE0EEENS1_38merge_mergepath_config_static_selectorELNS0_4arch9wavefront6targetE1EEEvSO_: ; @_ZN7rocprim17ROCPRIM_400000_NS6detail17trampoline_kernelINS0_14default_configENS1_38merge_sort_block_merge_config_selectorIjN6thrust23THRUST_200600_302600_NS5tupleIffNS6_9null_typeES8_S8_S8_S8_S8_S8_S8_EEEEZZNS1_27merge_sort_block_merge_implIS3_NS6_6detail15normal_iteratorINS6_10device_ptrIjEEEENSD_INSE_IS9_EEEEjNS1_19radix_merge_compareILb0ELb1EjNS0_19identity_decomposerEEEEE10hipError_tT0_T1_T2_jT3_P12ihipStream_tbPNSt15iterator_traitsISN_E10value_typeEPNST_ISO_E10value_typeEPSP_NS1_7vsmem_tEENKUlT_SN_SO_SP_E_clISG_PjSI_PS9_EESM_S12_SN_SO_SP_EUlS12_E0_NS1_11comp_targetILNS1_3genE3ELNS1_11target_archE908ELNS1_3gpuE7ELNS1_3repE0EEENS1_38merge_mergepath_config_static_selectorELNS0_4arch9wavefront6targetE1EEEvSO_
; %bb.0:
	.section	.rodata,"a",@progbits
	.p2align	6, 0x0
	.amdhsa_kernel _ZN7rocprim17ROCPRIM_400000_NS6detail17trampoline_kernelINS0_14default_configENS1_38merge_sort_block_merge_config_selectorIjN6thrust23THRUST_200600_302600_NS5tupleIffNS6_9null_typeES8_S8_S8_S8_S8_S8_S8_EEEEZZNS1_27merge_sort_block_merge_implIS3_NS6_6detail15normal_iteratorINS6_10device_ptrIjEEEENSD_INSE_IS9_EEEEjNS1_19radix_merge_compareILb0ELb1EjNS0_19identity_decomposerEEEEE10hipError_tT0_T1_T2_jT3_P12ihipStream_tbPNSt15iterator_traitsISN_E10value_typeEPNST_ISO_E10value_typeEPSP_NS1_7vsmem_tEENKUlT_SN_SO_SP_E_clISG_PjSI_PS9_EESM_S12_SN_SO_SP_EUlS12_E0_NS1_11comp_targetILNS1_3genE3ELNS1_11target_archE908ELNS1_3gpuE7ELNS1_3repE0EEENS1_38merge_mergepath_config_static_selectorELNS0_4arch9wavefront6targetE1EEEvSO_
		.amdhsa_group_segment_fixed_size 0
		.amdhsa_private_segment_fixed_size 0
		.amdhsa_kernarg_size 64
		.amdhsa_user_sgpr_count 6
		.amdhsa_user_sgpr_private_segment_buffer 1
		.amdhsa_user_sgpr_dispatch_ptr 0
		.amdhsa_user_sgpr_queue_ptr 0
		.amdhsa_user_sgpr_kernarg_segment_ptr 1
		.amdhsa_user_sgpr_dispatch_id 0
		.amdhsa_user_sgpr_flat_scratch_init 0
		.amdhsa_user_sgpr_kernarg_preload_length 0
		.amdhsa_user_sgpr_kernarg_preload_offset 0
		.amdhsa_user_sgpr_private_segment_size 0
		.amdhsa_uses_dynamic_stack 0
		.amdhsa_system_sgpr_private_segment_wavefront_offset 0
		.amdhsa_system_sgpr_workgroup_id_x 1
		.amdhsa_system_sgpr_workgroup_id_y 0
		.amdhsa_system_sgpr_workgroup_id_z 0
		.amdhsa_system_sgpr_workgroup_info 0
		.amdhsa_system_vgpr_workitem_id 0
		.amdhsa_next_free_vgpr 1
		.amdhsa_next_free_sgpr 0
		.amdhsa_accum_offset 4
		.amdhsa_reserve_vcc 0
		.amdhsa_reserve_flat_scratch 0
		.amdhsa_float_round_mode_32 0
		.amdhsa_float_round_mode_16_64 0
		.amdhsa_float_denorm_mode_32 3
		.amdhsa_float_denorm_mode_16_64 3
		.amdhsa_dx10_clamp 1
		.amdhsa_ieee_mode 1
		.amdhsa_fp16_overflow 0
		.amdhsa_tg_split 0
		.amdhsa_exception_fp_ieee_invalid_op 0
		.amdhsa_exception_fp_denorm_src 0
		.amdhsa_exception_fp_ieee_div_zero 0
		.amdhsa_exception_fp_ieee_overflow 0
		.amdhsa_exception_fp_ieee_underflow 0
		.amdhsa_exception_fp_ieee_inexact 0
		.amdhsa_exception_int_div_zero 0
	.end_amdhsa_kernel
	.section	.text._ZN7rocprim17ROCPRIM_400000_NS6detail17trampoline_kernelINS0_14default_configENS1_38merge_sort_block_merge_config_selectorIjN6thrust23THRUST_200600_302600_NS5tupleIffNS6_9null_typeES8_S8_S8_S8_S8_S8_S8_EEEEZZNS1_27merge_sort_block_merge_implIS3_NS6_6detail15normal_iteratorINS6_10device_ptrIjEEEENSD_INSE_IS9_EEEEjNS1_19radix_merge_compareILb0ELb1EjNS0_19identity_decomposerEEEEE10hipError_tT0_T1_T2_jT3_P12ihipStream_tbPNSt15iterator_traitsISN_E10value_typeEPNST_ISO_E10value_typeEPSP_NS1_7vsmem_tEENKUlT_SN_SO_SP_E_clISG_PjSI_PS9_EESM_S12_SN_SO_SP_EUlS12_E0_NS1_11comp_targetILNS1_3genE3ELNS1_11target_archE908ELNS1_3gpuE7ELNS1_3repE0EEENS1_38merge_mergepath_config_static_selectorELNS0_4arch9wavefront6targetE1EEEvSO_,"axG",@progbits,_ZN7rocprim17ROCPRIM_400000_NS6detail17trampoline_kernelINS0_14default_configENS1_38merge_sort_block_merge_config_selectorIjN6thrust23THRUST_200600_302600_NS5tupleIffNS6_9null_typeES8_S8_S8_S8_S8_S8_S8_EEEEZZNS1_27merge_sort_block_merge_implIS3_NS6_6detail15normal_iteratorINS6_10device_ptrIjEEEENSD_INSE_IS9_EEEEjNS1_19radix_merge_compareILb0ELb1EjNS0_19identity_decomposerEEEEE10hipError_tT0_T1_T2_jT3_P12ihipStream_tbPNSt15iterator_traitsISN_E10value_typeEPNST_ISO_E10value_typeEPSP_NS1_7vsmem_tEENKUlT_SN_SO_SP_E_clISG_PjSI_PS9_EESM_S12_SN_SO_SP_EUlS12_E0_NS1_11comp_targetILNS1_3genE3ELNS1_11target_archE908ELNS1_3gpuE7ELNS1_3repE0EEENS1_38merge_mergepath_config_static_selectorELNS0_4arch9wavefront6targetE1EEEvSO_,comdat
.Lfunc_end127:
	.size	_ZN7rocprim17ROCPRIM_400000_NS6detail17trampoline_kernelINS0_14default_configENS1_38merge_sort_block_merge_config_selectorIjN6thrust23THRUST_200600_302600_NS5tupleIffNS6_9null_typeES8_S8_S8_S8_S8_S8_S8_EEEEZZNS1_27merge_sort_block_merge_implIS3_NS6_6detail15normal_iteratorINS6_10device_ptrIjEEEENSD_INSE_IS9_EEEEjNS1_19radix_merge_compareILb0ELb1EjNS0_19identity_decomposerEEEEE10hipError_tT0_T1_T2_jT3_P12ihipStream_tbPNSt15iterator_traitsISN_E10value_typeEPNST_ISO_E10value_typeEPSP_NS1_7vsmem_tEENKUlT_SN_SO_SP_E_clISG_PjSI_PS9_EESM_S12_SN_SO_SP_EUlS12_E0_NS1_11comp_targetILNS1_3genE3ELNS1_11target_archE908ELNS1_3gpuE7ELNS1_3repE0EEENS1_38merge_mergepath_config_static_selectorELNS0_4arch9wavefront6targetE1EEEvSO_, .Lfunc_end127-_ZN7rocprim17ROCPRIM_400000_NS6detail17trampoline_kernelINS0_14default_configENS1_38merge_sort_block_merge_config_selectorIjN6thrust23THRUST_200600_302600_NS5tupleIffNS6_9null_typeES8_S8_S8_S8_S8_S8_S8_EEEEZZNS1_27merge_sort_block_merge_implIS3_NS6_6detail15normal_iteratorINS6_10device_ptrIjEEEENSD_INSE_IS9_EEEEjNS1_19radix_merge_compareILb0ELb1EjNS0_19identity_decomposerEEEEE10hipError_tT0_T1_T2_jT3_P12ihipStream_tbPNSt15iterator_traitsISN_E10value_typeEPNST_ISO_E10value_typeEPSP_NS1_7vsmem_tEENKUlT_SN_SO_SP_E_clISG_PjSI_PS9_EESM_S12_SN_SO_SP_EUlS12_E0_NS1_11comp_targetILNS1_3genE3ELNS1_11target_archE908ELNS1_3gpuE7ELNS1_3repE0EEENS1_38merge_mergepath_config_static_selectorELNS0_4arch9wavefront6targetE1EEEvSO_
                                        ; -- End function
	.section	.AMDGPU.csdata,"",@progbits
; Kernel info:
; codeLenInByte = 0
; NumSgprs: 4
; NumVgprs: 0
; NumAgprs: 0
; TotalNumVgprs: 0
; ScratchSize: 0
; MemoryBound: 0
; FloatMode: 240
; IeeeMode: 1
; LDSByteSize: 0 bytes/workgroup (compile time only)
; SGPRBlocks: 0
; VGPRBlocks: 0
; NumSGPRsForWavesPerEU: 4
; NumVGPRsForWavesPerEU: 1
; AccumOffset: 4
; Occupancy: 8
; WaveLimiterHint : 0
; COMPUTE_PGM_RSRC2:SCRATCH_EN: 0
; COMPUTE_PGM_RSRC2:USER_SGPR: 6
; COMPUTE_PGM_RSRC2:TRAP_HANDLER: 0
; COMPUTE_PGM_RSRC2:TGID_X_EN: 1
; COMPUTE_PGM_RSRC2:TGID_Y_EN: 0
; COMPUTE_PGM_RSRC2:TGID_Z_EN: 0
; COMPUTE_PGM_RSRC2:TIDIG_COMP_CNT: 0
; COMPUTE_PGM_RSRC3_GFX90A:ACCUM_OFFSET: 0
; COMPUTE_PGM_RSRC3_GFX90A:TG_SPLIT: 0
	.section	.text._ZN7rocprim17ROCPRIM_400000_NS6detail17trampoline_kernelINS0_14default_configENS1_38merge_sort_block_merge_config_selectorIjN6thrust23THRUST_200600_302600_NS5tupleIffNS6_9null_typeES8_S8_S8_S8_S8_S8_S8_EEEEZZNS1_27merge_sort_block_merge_implIS3_NS6_6detail15normal_iteratorINS6_10device_ptrIjEEEENSD_INSE_IS9_EEEEjNS1_19radix_merge_compareILb0ELb1EjNS0_19identity_decomposerEEEEE10hipError_tT0_T1_T2_jT3_P12ihipStream_tbPNSt15iterator_traitsISN_E10value_typeEPNST_ISO_E10value_typeEPSP_NS1_7vsmem_tEENKUlT_SN_SO_SP_E_clISG_PjSI_PS9_EESM_S12_SN_SO_SP_EUlS12_E0_NS1_11comp_targetILNS1_3genE2ELNS1_11target_archE906ELNS1_3gpuE6ELNS1_3repE0EEENS1_38merge_mergepath_config_static_selectorELNS0_4arch9wavefront6targetE1EEEvSO_,"axG",@progbits,_ZN7rocprim17ROCPRIM_400000_NS6detail17trampoline_kernelINS0_14default_configENS1_38merge_sort_block_merge_config_selectorIjN6thrust23THRUST_200600_302600_NS5tupleIffNS6_9null_typeES8_S8_S8_S8_S8_S8_S8_EEEEZZNS1_27merge_sort_block_merge_implIS3_NS6_6detail15normal_iteratorINS6_10device_ptrIjEEEENSD_INSE_IS9_EEEEjNS1_19radix_merge_compareILb0ELb1EjNS0_19identity_decomposerEEEEE10hipError_tT0_T1_T2_jT3_P12ihipStream_tbPNSt15iterator_traitsISN_E10value_typeEPNST_ISO_E10value_typeEPSP_NS1_7vsmem_tEENKUlT_SN_SO_SP_E_clISG_PjSI_PS9_EESM_S12_SN_SO_SP_EUlS12_E0_NS1_11comp_targetILNS1_3genE2ELNS1_11target_archE906ELNS1_3gpuE6ELNS1_3repE0EEENS1_38merge_mergepath_config_static_selectorELNS0_4arch9wavefront6targetE1EEEvSO_,comdat
	.protected	_ZN7rocprim17ROCPRIM_400000_NS6detail17trampoline_kernelINS0_14default_configENS1_38merge_sort_block_merge_config_selectorIjN6thrust23THRUST_200600_302600_NS5tupleIffNS6_9null_typeES8_S8_S8_S8_S8_S8_S8_EEEEZZNS1_27merge_sort_block_merge_implIS3_NS6_6detail15normal_iteratorINS6_10device_ptrIjEEEENSD_INSE_IS9_EEEEjNS1_19radix_merge_compareILb0ELb1EjNS0_19identity_decomposerEEEEE10hipError_tT0_T1_T2_jT3_P12ihipStream_tbPNSt15iterator_traitsISN_E10value_typeEPNST_ISO_E10value_typeEPSP_NS1_7vsmem_tEENKUlT_SN_SO_SP_E_clISG_PjSI_PS9_EESM_S12_SN_SO_SP_EUlS12_E0_NS1_11comp_targetILNS1_3genE2ELNS1_11target_archE906ELNS1_3gpuE6ELNS1_3repE0EEENS1_38merge_mergepath_config_static_selectorELNS0_4arch9wavefront6targetE1EEEvSO_ ; -- Begin function _ZN7rocprim17ROCPRIM_400000_NS6detail17trampoline_kernelINS0_14default_configENS1_38merge_sort_block_merge_config_selectorIjN6thrust23THRUST_200600_302600_NS5tupleIffNS6_9null_typeES8_S8_S8_S8_S8_S8_S8_EEEEZZNS1_27merge_sort_block_merge_implIS3_NS6_6detail15normal_iteratorINS6_10device_ptrIjEEEENSD_INSE_IS9_EEEEjNS1_19radix_merge_compareILb0ELb1EjNS0_19identity_decomposerEEEEE10hipError_tT0_T1_T2_jT3_P12ihipStream_tbPNSt15iterator_traitsISN_E10value_typeEPNST_ISO_E10value_typeEPSP_NS1_7vsmem_tEENKUlT_SN_SO_SP_E_clISG_PjSI_PS9_EESM_S12_SN_SO_SP_EUlS12_E0_NS1_11comp_targetILNS1_3genE2ELNS1_11target_archE906ELNS1_3gpuE6ELNS1_3repE0EEENS1_38merge_mergepath_config_static_selectorELNS0_4arch9wavefront6targetE1EEEvSO_
	.globl	_ZN7rocprim17ROCPRIM_400000_NS6detail17trampoline_kernelINS0_14default_configENS1_38merge_sort_block_merge_config_selectorIjN6thrust23THRUST_200600_302600_NS5tupleIffNS6_9null_typeES8_S8_S8_S8_S8_S8_S8_EEEEZZNS1_27merge_sort_block_merge_implIS3_NS6_6detail15normal_iteratorINS6_10device_ptrIjEEEENSD_INSE_IS9_EEEEjNS1_19radix_merge_compareILb0ELb1EjNS0_19identity_decomposerEEEEE10hipError_tT0_T1_T2_jT3_P12ihipStream_tbPNSt15iterator_traitsISN_E10value_typeEPNST_ISO_E10value_typeEPSP_NS1_7vsmem_tEENKUlT_SN_SO_SP_E_clISG_PjSI_PS9_EESM_S12_SN_SO_SP_EUlS12_E0_NS1_11comp_targetILNS1_3genE2ELNS1_11target_archE906ELNS1_3gpuE6ELNS1_3repE0EEENS1_38merge_mergepath_config_static_selectorELNS0_4arch9wavefront6targetE1EEEvSO_
	.p2align	8
	.type	_ZN7rocprim17ROCPRIM_400000_NS6detail17trampoline_kernelINS0_14default_configENS1_38merge_sort_block_merge_config_selectorIjN6thrust23THRUST_200600_302600_NS5tupleIffNS6_9null_typeES8_S8_S8_S8_S8_S8_S8_EEEEZZNS1_27merge_sort_block_merge_implIS3_NS6_6detail15normal_iteratorINS6_10device_ptrIjEEEENSD_INSE_IS9_EEEEjNS1_19radix_merge_compareILb0ELb1EjNS0_19identity_decomposerEEEEE10hipError_tT0_T1_T2_jT3_P12ihipStream_tbPNSt15iterator_traitsISN_E10value_typeEPNST_ISO_E10value_typeEPSP_NS1_7vsmem_tEENKUlT_SN_SO_SP_E_clISG_PjSI_PS9_EESM_S12_SN_SO_SP_EUlS12_E0_NS1_11comp_targetILNS1_3genE2ELNS1_11target_archE906ELNS1_3gpuE6ELNS1_3repE0EEENS1_38merge_mergepath_config_static_selectorELNS0_4arch9wavefront6targetE1EEEvSO_,@function
_ZN7rocprim17ROCPRIM_400000_NS6detail17trampoline_kernelINS0_14default_configENS1_38merge_sort_block_merge_config_selectorIjN6thrust23THRUST_200600_302600_NS5tupleIffNS6_9null_typeES8_S8_S8_S8_S8_S8_S8_EEEEZZNS1_27merge_sort_block_merge_implIS3_NS6_6detail15normal_iteratorINS6_10device_ptrIjEEEENSD_INSE_IS9_EEEEjNS1_19radix_merge_compareILb0ELb1EjNS0_19identity_decomposerEEEEE10hipError_tT0_T1_T2_jT3_P12ihipStream_tbPNSt15iterator_traitsISN_E10value_typeEPNST_ISO_E10value_typeEPSP_NS1_7vsmem_tEENKUlT_SN_SO_SP_E_clISG_PjSI_PS9_EESM_S12_SN_SO_SP_EUlS12_E0_NS1_11comp_targetILNS1_3genE2ELNS1_11target_archE906ELNS1_3gpuE6ELNS1_3repE0EEENS1_38merge_mergepath_config_static_selectorELNS0_4arch9wavefront6targetE1EEEvSO_: ; @_ZN7rocprim17ROCPRIM_400000_NS6detail17trampoline_kernelINS0_14default_configENS1_38merge_sort_block_merge_config_selectorIjN6thrust23THRUST_200600_302600_NS5tupleIffNS6_9null_typeES8_S8_S8_S8_S8_S8_S8_EEEEZZNS1_27merge_sort_block_merge_implIS3_NS6_6detail15normal_iteratorINS6_10device_ptrIjEEEENSD_INSE_IS9_EEEEjNS1_19radix_merge_compareILb0ELb1EjNS0_19identity_decomposerEEEEE10hipError_tT0_T1_T2_jT3_P12ihipStream_tbPNSt15iterator_traitsISN_E10value_typeEPNST_ISO_E10value_typeEPSP_NS1_7vsmem_tEENKUlT_SN_SO_SP_E_clISG_PjSI_PS9_EESM_S12_SN_SO_SP_EUlS12_E0_NS1_11comp_targetILNS1_3genE2ELNS1_11target_archE906ELNS1_3gpuE6ELNS1_3repE0EEENS1_38merge_mergepath_config_static_selectorELNS0_4arch9wavefront6targetE1EEEvSO_
; %bb.0:
	.section	.rodata,"a",@progbits
	.p2align	6, 0x0
	.amdhsa_kernel _ZN7rocprim17ROCPRIM_400000_NS6detail17trampoline_kernelINS0_14default_configENS1_38merge_sort_block_merge_config_selectorIjN6thrust23THRUST_200600_302600_NS5tupleIffNS6_9null_typeES8_S8_S8_S8_S8_S8_S8_EEEEZZNS1_27merge_sort_block_merge_implIS3_NS6_6detail15normal_iteratorINS6_10device_ptrIjEEEENSD_INSE_IS9_EEEEjNS1_19radix_merge_compareILb0ELb1EjNS0_19identity_decomposerEEEEE10hipError_tT0_T1_T2_jT3_P12ihipStream_tbPNSt15iterator_traitsISN_E10value_typeEPNST_ISO_E10value_typeEPSP_NS1_7vsmem_tEENKUlT_SN_SO_SP_E_clISG_PjSI_PS9_EESM_S12_SN_SO_SP_EUlS12_E0_NS1_11comp_targetILNS1_3genE2ELNS1_11target_archE906ELNS1_3gpuE6ELNS1_3repE0EEENS1_38merge_mergepath_config_static_selectorELNS0_4arch9wavefront6targetE1EEEvSO_
		.amdhsa_group_segment_fixed_size 0
		.amdhsa_private_segment_fixed_size 0
		.amdhsa_kernarg_size 64
		.amdhsa_user_sgpr_count 6
		.amdhsa_user_sgpr_private_segment_buffer 1
		.amdhsa_user_sgpr_dispatch_ptr 0
		.amdhsa_user_sgpr_queue_ptr 0
		.amdhsa_user_sgpr_kernarg_segment_ptr 1
		.amdhsa_user_sgpr_dispatch_id 0
		.amdhsa_user_sgpr_flat_scratch_init 0
		.amdhsa_user_sgpr_kernarg_preload_length 0
		.amdhsa_user_sgpr_kernarg_preload_offset 0
		.amdhsa_user_sgpr_private_segment_size 0
		.amdhsa_uses_dynamic_stack 0
		.amdhsa_system_sgpr_private_segment_wavefront_offset 0
		.amdhsa_system_sgpr_workgroup_id_x 1
		.amdhsa_system_sgpr_workgroup_id_y 0
		.amdhsa_system_sgpr_workgroup_id_z 0
		.amdhsa_system_sgpr_workgroup_info 0
		.amdhsa_system_vgpr_workitem_id 0
		.amdhsa_next_free_vgpr 1
		.amdhsa_next_free_sgpr 0
		.amdhsa_accum_offset 4
		.amdhsa_reserve_vcc 0
		.amdhsa_reserve_flat_scratch 0
		.amdhsa_float_round_mode_32 0
		.amdhsa_float_round_mode_16_64 0
		.amdhsa_float_denorm_mode_32 3
		.amdhsa_float_denorm_mode_16_64 3
		.amdhsa_dx10_clamp 1
		.amdhsa_ieee_mode 1
		.amdhsa_fp16_overflow 0
		.amdhsa_tg_split 0
		.amdhsa_exception_fp_ieee_invalid_op 0
		.amdhsa_exception_fp_denorm_src 0
		.amdhsa_exception_fp_ieee_div_zero 0
		.amdhsa_exception_fp_ieee_overflow 0
		.amdhsa_exception_fp_ieee_underflow 0
		.amdhsa_exception_fp_ieee_inexact 0
		.amdhsa_exception_int_div_zero 0
	.end_amdhsa_kernel
	.section	.text._ZN7rocprim17ROCPRIM_400000_NS6detail17trampoline_kernelINS0_14default_configENS1_38merge_sort_block_merge_config_selectorIjN6thrust23THRUST_200600_302600_NS5tupleIffNS6_9null_typeES8_S8_S8_S8_S8_S8_S8_EEEEZZNS1_27merge_sort_block_merge_implIS3_NS6_6detail15normal_iteratorINS6_10device_ptrIjEEEENSD_INSE_IS9_EEEEjNS1_19radix_merge_compareILb0ELb1EjNS0_19identity_decomposerEEEEE10hipError_tT0_T1_T2_jT3_P12ihipStream_tbPNSt15iterator_traitsISN_E10value_typeEPNST_ISO_E10value_typeEPSP_NS1_7vsmem_tEENKUlT_SN_SO_SP_E_clISG_PjSI_PS9_EESM_S12_SN_SO_SP_EUlS12_E0_NS1_11comp_targetILNS1_3genE2ELNS1_11target_archE906ELNS1_3gpuE6ELNS1_3repE0EEENS1_38merge_mergepath_config_static_selectorELNS0_4arch9wavefront6targetE1EEEvSO_,"axG",@progbits,_ZN7rocprim17ROCPRIM_400000_NS6detail17trampoline_kernelINS0_14default_configENS1_38merge_sort_block_merge_config_selectorIjN6thrust23THRUST_200600_302600_NS5tupleIffNS6_9null_typeES8_S8_S8_S8_S8_S8_S8_EEEEZZNS1_27merge_sort_block_merge_implIS3_NS6_6detail15normal_iteratorINS6_10device_ptrIjEEEENSD_INSE_IS9_EEEEjNS1_19radix_merge_compareILb0ELb1EjNS0_19identity_decomposerEEEEE10hipError_tT0_T1_T2_jT3_P12ihipStream_tbPNSt15iterator_traitsISN_E10value_typeEPNST_ISO_E10value_typeEPSP_NS1_7vsmem_tEENKUlT_SN_SO_SP_E_clISG_PjSI_PS9_EESM_S12_SN_SO_SP_EUlS12_E0_NS1_11comp_targetILNS1_3genE2ELNS1_11target_archE906ELNS1_3gpuE6ELNS1_3repE0EEENS1_38merge_mergepath_config_static_selectorELNS0_4arch9wavefront6targetE1EEEvSO_,comdat
.Lfunc_end128:
	.size	_ZN7rocprim17ROCPRIM_400000_NS6detail17trampoline_kernelINS0_14default_configENS1_38merge_sort_block_merge_config_selectorIjN6thrust23THRUST_200600_302600_NS5tupleIffNS6_9null_typeES8_S8_S8_S8_S8_S8_S8_EEEEZZNS1_27merge_sort_block_merge_implIS3_NS6_6detail15normal_iteratorINS6_10device_ptrIjEEEENSD_INSE_IS9_EEEEjNS1_19radix_merge_compareILb0ELb1EjNS0_19identity_decomposerEEEEE10hipError_tT0_T1_T2_jT3_P12ihipStream_tbPNSt15iterator_traitsISN_E10value_typeEPNST_ISO_E10value_typeEPSP_NS1_7vsmem_tEENKUlT_SN_SO_SP_E_clISG_PjSI_PS9_EESM_S12_SN_SO_SP_EUlS12_E0_NS1_11comp_targetILNS1_3genE2ELNS1_11target_archE906ELNS1_3gpuE6ELNS1_3repE0EEENS1_38merge_mergepath_config_static_selectorELNS0_4arch9wavefront6targetE1EEEvSO_, .Lfunc_end128-_ZN7rocprim17ROCPRIM_400000_NS6detail17trampoline_kernelINS0_14default_configENS1_38merge_sort_block_merge_config_selectorIjN6thrust23THRUST_200600_302600_NS5tupleIffNS6_9null_typeES8_S8_S8_S8_S8_S8_S8_EEEEZZNS1_27merge_sort_block_merge_implIS3_NS6_6detail15normal_iteratorINS6_10device_ptrIjEEEENSD_INSE_IS9_EEEEjNS1_19radix_merge_compareILb0ELb1EjNS0_19identity_decomposerEEEEE10hipError_tT0_T1_T2_jT3_P12ihipStream_tbPNSt15iterator_traitsISN_E10value_typeEPNST_ISO_E10value_typeEPSP_NS1_7vsmem_tEENKUlT_SN_SO_SP_E_clISG_PjSI_PS9_EESM_S12_SN_SO_SP_EUlS12_E0_NS1_11comp_targetILNS1_3genE2ELNS1_11target_archE906ELNS1_3gpuE6ELNS1_3repE0EEENS1_38merge_mergepath_config_static_selectorELNS0_4arch9wavefront6targetE1EEEvSO_
                                        ; -- End function
	.section	.AMDGPU.csdata,"",@progbits
; Kernel info:
; codeLenInByte = 0
; NumSgprs: 4
; NumVgprs: 0
; NumAgprs: 0
; TotalNumVgprs: 0
; ScratchSize: 0
; MemoryBound: 0
; FloatMode: 240
; IeeeMode: 1
; LDSByteSize: 0 bytes/workgroup (compile time only)
; SGPRBlocks: 0
; VGPRBlocks: 0
; NumSGPRsForWavesPerEU: 4
; NumVGPRsForWavesPerEU: 1
; AccumOffset: 4
; Occupancy: 8
; WaveLimiterHint : 0
; COMPUTE_PGM_RSRC2:SCRATCH_EN: 0
; COMPUTE_PGM_RSRC2:USER_SGPR: 6
; COMPUTE_PGM_RSRC2:TRAP_HANDLER: 0
; COMPUTE_PGM_RSRC2:TGID_X_EN: 1
; COMPUTE_PGM_RSRC2:TGID_Y_EN: 0
; COMPUTE_PGM_RSRC2:TGID_Z_EN: 0
; COMPUTE_PGM_RSRC2:TIDIG_COMP_CNT: 0
; COMPUTE_PGM_RSRC3_GFX90A:ACCUM_OFFSET: 0
; COMPUTE_PGM_RSRC3_GFX90A:TG_SPLIT: 0
	.section	.text._ZN7rocprim17ROCPRIM_400000_NS6detail17trampoline_kernelINS0_14default_configENS1_38merge_sort_block_merge_config_selectorIjN6thrust23THRUST_200600_302600_NS5tupleIffNS6_9null_typeES8_S8_S8_S8_S8_S8_S8_EEEEZZNS1_27merge_sort_block_merge_implIS3_NS6_6detail15normal_iteratorINS6_10device_ptrIjEEEENSD_INSE_IS9_EEEEjNS1_19radix_merge_compareILb0ELb1EjNS0_19identity_decomposerEEEEE10hipError_tT0_T1_T2_jT3_P12ihipStream_tbPNSt15iterator_traitsISN_E10value_typeEPNST_ISO_E10value_typeEPSP_NS1_7vsmem_tEENKUlT_SN_SO_SP_E_clISG_PjSI_PS9_EESM_S12_SN_SO_SP_EUlS12_E0_NS1_11comp_targetILNS1_3genE9ELNS1_11target_archE1100ELNS1_3gpuE3ELNS1_3repE0EEENS1_38merge_mergepath_config_static_selectorELNS0_4arch9wavefront6targetE1EEEvSO_,"axG",@progbits,_ZN7rocprim17ROCPRIM_400000_NS6detail17trampoline_kernelINS0_14default_configENS1_38merge_sort_block_merge_config_selectorIjN6thrust23THRUST_200600_302600_NS5tupleIffNS6_9null_typeES8_S8_S8_S8_S8_S8_S8_EEEEZZNS1_27merge_sort_block_merge_implIS3_NS6_6detail15normal_iteratorINS6_10device_ptrIjEEEENSD_INSE_IS9_EEEEjNS1_19radix_merge_compareILb0ELb1EjNS0_19identity_decomposerEEEEE10hipError_tT0_T1_T2_jT3_P12ihipStream_tbPNSt15iterator_traitsISN_E10value_typeEPNST_ISO_E10value_typeEPSP_NS1_7vsmem_tEENKUlT_SN_SO_SP_E_clISG_PjSI_PS9_EESM_S12_SN_SO_SP_EUlS12_E0_NS1_11comp_targetILNS1_3genE9ELNS1_11target_archE1100ELNS1_3gpuE3ELNS1_3repE0EEENS1_38merge_mergepath_config_static_selectorELNS0_4arch9wavefront6targetE1EEEvSO_,comdat
	.protected	_ZN7rocprim17ROCPRIM_400000_NS6detail17trampoline_kernelINS0_14default_configENS1_38merge_sort_block_merge_config_selectorIjN6thrust23THRUST_200600_302600_NS5tupleIffNS6_9null_typeES8_S8_S8_S8_S8_S8_S8_EEEEZZNS1_27merge_sort_block_merge_implIS3_NS6_6detail15normal_iteratorINS6_10device_ptrIjEEEENSD_INSE_IS9_EEEEjNS1_19radix_merge_compareILb0ELb1EjNS0_19identity_decomposerEEEEE10hipError_tT0_T1_T2_jT3_P12ihipStream_tbPNSt15iterator_traitsISN_E10value_typeEPNST_ISO_E10value_typeEPSP_NS1_7vsmem_tEENKUlT_SN_SO_SP_E_clISG_PjSI_PS9_EESM_S12_SN_SO_SP_EUlS12_E0_NS1_11comp_targetILNS1_3genE9ELNS1_11target_archE1100ELNS1_3gpuE3ELNS1_3repE0EEENS1_38merge_mergepath_config_static_selectorELNS0_4arch9wavefront6targetE1EEEvSO_ ; -- Begin function _ZN7rocprim17ROCPRIM_400000_NS6detail17trampoline_kernelINS0_14default_configENS1_38merge_sort_block_merge_config_selectorIjN6thrust23THRUST_200600_302600_NS5tupleIffNS6_9null_typeES8_S8_S8_S8_S8_S8_S8_EEEEZZNS1_27merge_sort_block_merge_implIS3_NS6_6detail15normal_iteratorINS6_10device_ptrIjEEEENSD_INSE_IS9_EEEEjNS1_19radix_merge_compareILb0ELb1EjNS0_19identity_decomposerEEEEE10hipError_tT0_T1_T2_jT3_P12ihipStream_tbPNSt15iterator_traitsISN_E10value_typeEPNST_ISO_E10value_typeEPSP_NS1_7vsmem_tEENKUlT_SN_SO_SP_E_clISG_PjSI_PS9_EESM_S12_SN_SO_SP_EUlS12_E0_NS1_11comp_targetILNS1_3genE9ELNS1_11target_archE1100ELNS1_3gpuE3ELNS1_3repE0EEENS1_38merge_mergepath_config_static_selectorELNS0_4arch9wavefront6targetE1EEEvSO_
	.globl	_ZN7rocprim17ROCPRIM_400000_NS6detail17trampoline_kernelINS0_14default_configENS1_38merge_sort_block_merge_config_selectorIjN6thrust23THRUST_200600_302600_NS5tupleIffNS6_9null_typeES8_S8_S8_S8_S8_S8_S8_EEEEZZNS1_27merge_sort_block_merge_implIS3_NS6_6detail15normal_iteratorINS6_10device_ptrIjEEEENSD_INSE_IS9_EEEEjNS1_19radix_merge_compareILb0ELb1EjNS0_19identity_decomposerEEEEE10hipError_tT0_T1_T2_jT3_P12ihipStream_tbPNSt15iterator_traitsISN_E10value_typeEPNST_ISO_E10value_typeEPSP_NS1_7vsmem_tEENKUlT_SN_SO_SP_E_clISG_PjSI_PS9_EESM_S12_SN_SO_SP_EUlS12_E0_NS1_11comp_targetILNS1_3genE9ELNS1_11target_archE1100ELNS1_3gpuE3ELNS1_3repE0EEENS1_38merge_mergepath_config_static_selectorELNS0_4arch9wavefront6targetE1EEEvSO_
	.p2align	8
	.type	_ZN7rocprim17ROCPRIM_400000_NS6detail17trampoline_kernelINS0_14default_configENS1_38merge_sort_block_merge_config_selectorIjN6thrust23THRUST_200600_302600_NS5tupleIffNS6_9null_typeES8_S8_S8_S8_S8_S8_S8_EEEEZZNS1_27merge_sort_block_merge_implIS3_NS6_6detail15normal_iteratorINS6_10device_ptrIjEEEENSD_INSE_IS9_EEEEjNS1_19radix_merge_compareILb0ELb1EjNS0_19identity_decomposerEEEEE10hipError_tT0_T1_T2_jT3_P12ihipStream_tbPNSt15iterator_traitsISN_E10value_typeEPNST_ISO_E10value_typeEPSP_NS1_7vsmem_tEENKUlT_SN_SO_SP_E_clISG_PjSI_PS9_EESM_S12_SN_SO_SP_EUlS12_E0_NS1_11comp_targetILNS1_3genE9ELNS1_11target_archE1100ELNS1_3gpuE3ELNS1_3repE0EEENS1_38merge_mergepath_config_static_selectorELNS0_4arch9wavefront6targetE1EEEvSO_,@function
_ZN7rocprim17ROCPRIM_400000_NS6detail17trampoline_kernelINS0_14default_configENS1_38merge_sort_block_merge_config_selectorIjN6thrust23THRUST_200600_302600_NS5tupleIffNS6_9null_typeES8_S8_S8_S8_S8_S8_S8_EEEEZZNS1_27merge_sort_block_merge_implIS3_NS6_6detail15normal_iteratorINS6_10device_ptrIjEEEENSD_INSE_IS9_EEEEjNS1_19radix_merge_compareILb0ELb1EjNS0_19identity_decomposerEEEEE10hipError_tT0_T1_T2_jT3_P12ihipStream_tbPNSt15iterator_traitsISN_E10value_typeEPNST_ISO_E10value_typeEPSP_NS1_7vsmem_tEENKUlT_SN_SO_SP_E_clISG_PjSI_PS9_EESM_S12_SN_SO_SP_EUlS12_E0_NS1_11comp_targetILNS1_3genE9ELNS1_11target_archE1100ELNS1_3gpuE3ELNS1_3repE0EEENS1_38merge_mergepath_config_static_selectorELNS0_4arch9wavefront6targetE1EEEvSO_: ; @_ZN7rocprim17ROCPRIM_400000_NS6detail17trampoline_kernelINS0_14default_configENS1_38merge_sort_block_merge_config_selectorIjN6thrust23THRUST_200600_302600_NS5tupleIffNS6_9null_typeES8_S8_S8_S8_S8_S8_S8_EEEEZZNS1_27merge_sort_block_merge_implIS3_NS6_6detail15normal_iteratorINS6_10device_ptrIjEEEENSD_INSE_IS9_EEEEjNS1_19radix_merge_compareILb0ELb1EjNS0_19identity_decomposerEEEEE10hipError_tT0_T1_T2_jT3_P12ihipStream_tbPNSt15iterator_traitsISN_E10value_typeEPNST_ISO_E10value_typeEPSP_NS1_7vsmem_tEENKUlT_SN_SO_SP_E_clISG_PjSI_PS9_EESM_S12_SN_SO_SP_EUlS12_E0_NS1_11comp_targetILNS1_3genE9ELNS1_11target_archE1100ELNS1_3gpuE3ELNS1_3repE0EEENS1_38merge_mergepath_config_static_selectorELNS0_4arch9wavefront6targetE1EEEvSO_
; %bb.0:
	.section	.rodata,"a",@progbits
	.p2align	6, 0x0
	.amdhsa_kernel _ZN7rocprim17ROCPRIM_400000_NS6detail17trampoline_kernelINS0_14default_configENS1_38merge_sort_block_merge_config_selectorIjN6thrust23THRUST_200600_302600_NS5tupleIffNS6_9null_typeES8_S8_S8_S8_S8_S8_S8_EEEEZZNS1_27merge_sort_block_merge_implIS3_NS6_6detail15normal_iteratorINS6_10device_ptrIjEEEENSD_INSE_IS9_EEEEjNS1_19radix_merge_compareILb0ELb1EjNS0_19identity_decomposerEEEEE10hipError_tT0_T1_T2_jT3_P12ihipStream_tbPNSt15iterator_traitsISN_E10value_typeEPNST_ISO_E10value_typeEPSP_NS1_7vsmem_tEENKUlT_SN_SO_SP_E_clISG_PjSI_PS9_EESM_S12_SN_SO_SP_EUlS12_E0_NS1_11comp_targetILNS1_3genE9ELNS1_11target_archE1100ELNS1_3gpuE3ELNS1_3repE0EEENS1_38merge_mergepath_config_static_selectorELNS0_4arch9wavefront6targetE1EEEvSO_
		.amdhsa_group_segment_fixed_size 0
		.amdhsa_private_segment_fixed_size 0
		.amdhsa_kernarg_size 64
		.amdhsa_user_sgpr_count 6
		.amdhsa_user_sgpr_private_segment_buffer 1
		.amdhsa_user_sgpr_dispatch_ptr 0
		.amdhsa_user_sgpr_queue_ptr 0
		.amdhsa_user_sgpr_kernarg_segment_ptr 1
		.amdhsa_user_sgpr_dispatch_id 0
		.amdhsa_user_sgpr_flat_scratch_init 0
		.amdhsa_user_sgpr_kernarg_preload_length 0
		.amdhsa_user_sgpr_kernarg_preload_offset 0
		.amdhsa_user_sgpr_private_segment_size 0
		.amdhsa_uses_dynamic_stack 0
		.amdhsa_system_sgpr_private_segment_wavefront_offset 0
		.amdhsa_system_sgpr_workgroup_id_x 1
		.amdhsa_system_sgpr_workgroup_id_y 0
		.amdhsa_system_sgpr_workgroup_id_z 0
		.amdhsa_system_sgpr_workgroup_info 0
		.amdhsa_system_vgpr_workitem_id 0
		.amdhsa_next_free_vgpr 1
		.amdhsa_next_free_sgpr 0
		.amdhsa_accum_offset 4
		.amdhsa_reserve_vcc 0
		.amdhsa_reserve_flat_scratch 0
		.amdhsa_float_round_mode_32 0
		.amdhsa_float_round_mode_16_64 0
		.amdhsa_float_denorm_mode_32 3
		.amdhsa_float_denorm_mode_16_64 3
		.amdhsa_dx10_clamp 1
		.amdhsa_ieee_mode 1
		.amdhsa_fp16_overflow 0
		.amdhsa_tg_split 0
		.amdhsa_exception_fp_ieee_invalid_op 0
		.amdhsa_exception_fp_denorm_src 0
		.amdhsa_exception_fp_ieee_div_zero 0
		.amdhsa_exception_fp_ieee_overflow 0
		.amdhsa_exception_fp_ieee_underflow 0
		.amdhsa_exception_fp_ieee_inexact 0
		.amdhsa_exception_int_div_zero 0
	.end_amdhsa_kernel
	.section	.text._ZN7rocprim17ROCPRIM_400000_NS6detail17trampoline_kernelINS0_14default_configENS1_38merge_sort_block_merge_config_selectorIjN6thrust23THRUST_200600_302600_NS5tupleIffNS6_9null_typeES8_S8_S8_S8_S8_S8_S8_EEEEZZNS1_27merge_sort_block_merge_implIS3_NS6_6detail15normal_iteratorINS6_10device_ptrIjEEEENSD_INSE_IS9_EEEEjNS1_19radix_merge_compareILb0ELb1EjNS0_19identity_decomposerEEEEE10hipError_tT0_T1_T2_jT3_P12ihipStream_tbPNSt15iterator_traitsISN_E10value_typeEPNST_ISO_E10value_typeEPSP_NS1_7vsmem_tEENKUlT_SN_SO_SP_E_clISG_PjSI_PS9_EESM_S12_SN_SO_SP_EUlS12_E0_NS1_11comp_targetILNS1_3genE9ELNS1_11target_archE1100ELNS1_3gpuE3ELNS1_3repE0EEENS1_38merge_mergepath_config_static_selectorELNS0_4arch9wavefront6targetE1EEEvSO_,"axG",@progbits,_ZN7rocprim17ROCPRIM_400000_NS6detail17trampoline_kernelINS0_14default_configENS1_38merge_sort_block_merge_config_selectorIjN6thrust23THRUST_200600_302600_NS5tupleIffNS6_9null_typeES8_S8_S8_S8_S8_S8_S8_EEEEZZNS1_27merge_sort_block_merge_implIS3_NS6_6detail15normal_iteratorINS6_10device_ptrIjEEEENSD_INSE_IS9_EEEEjNS1_19radix_merge_compareILb0ELb1EjNS0_19identity_decomposerEEEEE10hipError_tT0_T1_T2_jT3_P12ihipStream_tbPNSt15iterator_traitsISN_E10value_typeEPNST_ISO_E10value_typeEPSP_NS1_7vsmem_tEENKUlT_SN_SO_SP_E_clISG_PjSI_PS9_EESM_S12_SN_SO_SP_EUlS12_E0_NS1_11comp_targetILNS1_3genE9ELNS1_11target_archE1100ELNS1_3gpuE3ELNS1_3repE0EEENS1_38merge_mergepath_config_static_selectorELNS0_4arch9wavefront6targetE1EEEvSO_,comdat
.Lfunc_end129:
	.size	_ZN7rocprim17ROCPRIM_400000_NS6detail17trampoline_kernelINS0_14default_configENS1_38merge_sort_block_merge_config_selectorIjN6thrust23THRUST_200600_302600_NS5tupleIffNS6_9null_typeES8_S8_S8_S8_S8_S8_S8_EEEEZZNS1_27merge_sort_block_merge_implIS3_NS6_6detail15normal_iteratorINS6_10device_ptrIjEEEENSD_INSE_IS9_EEEEjNS1_19radix_merge_compareILb0ELb1EjNS0_19identity_decomposerEEEEE10hipError_tT0_T1_T2_jT3_P12ihipStream_tbPNSt15iterator_traitsISN_E10value_typeEPNST_ISO_E10value_typeEPSP_NS1_7vsmem_tEENKUlT_SN_SO_SP_E_clISG_PjSI_PS9_EESM_S12_SN_SO_SP_EUlS12_E0_NS1_11comp_targetILNS1_3genE9ELNS1_11target_archE1100ELNS1_3gpuE3ELNS1_3repE0EEENS1_38merge_mergepath_config_static_selectorELNS0_4arch9wavefront6targetE1EEEvSO_, .Lfunc_end129-_ZN7rocprim17ROCPRIM_400000_NS6detail17trampoline_kernelINS0_14default_configENS1_38merge_sort_block_merge_config_selectorIjN6thrust23THRUST_200600_302600_NS5tupleIffNS6_9null_typeES8_S8_S8_S8_S8_S8_S8_EEEEZZNS1_27merge_sort_block_merge_implIS3_NS6_6detail15normal_iteratorINS6_10device_ptrIjEEEENSD_INSE_IS9_EEEEjNS1_19radix_merge_compareILb0ELb1EjNS0_19identity_decomposerEEEEE10hipError_tT0_T1_T2_jT3_P12ihipStream_tbPNSt15iterator_traitsISN_E10value_typeEPNST_ISO_E10value_typeEPSP_NS1_7vsmem_tEENKUlT_SN_SO_SP_E_clISG_PjSI_PS9_EESM_S12_SN_SO_SP_EUlS12_E0_NS1_11comp_targetILNS1_3genE9ELNS1_11target_archE1100ELNS1_3gpuE3ELNS1_3repE0EEENS1_38merge_mergepath_config_static_selectorELNS0_4arch9wavefront6targetE1EEEvSO_
                                        ; -- End function
	.section	.AMDGPU.csdata,"",@progbits
; Kernel info:
; codeLenInByte = 0
; NumSgprs: 4
; NumVgprs: 0
; NumAgprs: 0
; TotalNumVgprs: 0
; ScratchSize: 0
; MemoryBound: 0
; FloatMode: 240
; IeeeMode: 1
; LDSByteSize: 0 bytes/workgroup (compile time only)
; SGPRBlocks: 0
; VGPRBlocks: 0
; NumSGPRsForWavesPerEU: 4
; NumVGPRsForWavesPerEU: 1
; AccumOffset: 4
; Occupancy: 8
; WaveLimiterHint : 0
; COMPUTE_PGM_RSRC2:SCRATCH_EN: 0
; COMPUTE_PGM_RSRC2:USER_SGPR: 6
; COMPUTE_PGM_RSRC2:TRAP_HANDLER: 0
; COMPUTE_PGM_RSRC2:TGID_X_EN: 1
; COMPUTE_PGM_RSRC2:TGID_Y_EN: 0
; COMPUTE_PGM_RSRC2:TGID_Z_EN: 0
; COMPUTE_PGM_RSRC2:TIDIG_COMP_CNT: 0
; COMPUTE_PGM_RSRC3_GFX90A:ACCUM_OFFSET: 0
; COMPUTE_PGM_RSRC3_GFX90A:TG_SPLIT: 0
	.section	.text._ZN7rocprim17ROCPRIM_400000_NS6detail17trampoline_kernelINS0_14default_configENS1_38merge_sort_block_merge_config_selectorIjN6thrust23THRUST_200600_302600_NS5tupleIffNS6_9null_typeES8_S8_S8_S8_S8_S8_S8_EEEEZZNS1_27merge_sort_block_merge_implIS3_NS6_6detail15normal_iteratorINS6_10device_ptrIjEEEENSD_INSE_IS9_EEEEjNS1_19radix_merge_compareILb0ELb1EjNS0_19identity_decomposerEEEEE10hipError_tT0_T1_T2_jT3_P12ihipStream_tbPNSt15iterator_traitsISN_E10value_typeEPNST_ISO_E10value_typeEPSP_NS1_7vsmem_tEENKUlT_SN_SO_SP_E_clISG_PjSI_PS9_EESM_S12_SN_SO_SP_EUlS12_E0_NS1_11comp_targetILNS1_3genE8ELNS1_11target_archE1030ELNS1_3gpuE2ELNS1_3repE0EEENS1_38merge_mergepath_config_static_selectorELNS0_4arch9wavefront6targetE1EEEvSO_,"axG",@progbits,_ZN7rocprim17ROCPRIM_400000_NS6detail17trampoline_kernelINS0_14default_configENS1_38merge_sort_block_merge_config_selectorIjN6thrust23THRUST_200600_302600_NS5tupleIffNS6_9null_typeES8_S8_S8_S8_S8_S8_S8_EEEEZZNS1_27merge_sort_block_merge_implIS3_NS6_6detail15normal_iteratorINS6_10device_ptrIjEEEENSD_INSE_IS9_EEEEjNS1_19radix_merge_compareILb0ELb1EjNS0_19identity_decomposerEEEEE10hipError_tT0_T1_T2_jT3_P12ihipStream_tbPNSt15iterator_traitsISN_E10value_typeEPNST_ISO_E10value_typeEPSP_NS1_7vsmem_tEENKUlT_SN_SO_SP_E_clISG_PjSI_PS9_EESM_S12_SN_SO_SP_EUlS12_E0_NS1_11comp_targetILNS1_3genE8ELNS1_11target_archE1030ELNS1_3gpuE2ELNS1_3repE0EEENS1_38merge_mergepath_config_static_selectorELNS0_4arch9wavefront6targetE1EEEvSO_,comdat
	.protected	_ZN7rocprim17ROCPRIM_400000_NS6detail17trampoline_kernelINS0_14default_configENS1_38merge_sort_block_merge_config_selectorIjN6thrust23THRUST_200600_302600_NS5tupleIffNS6_9null_typeES8_S8_S8_S8_S8_S8_S8_EEEEZZNS1_27merge_sort_block_merge_implIS3_NS6_6detail15normal_iteratorINS6_10device_ptrIjEEEENSD_INSE_IS9_EEEEjNS1_19radix_merge_compareILb0ELb1EjNS0_19identity_decomposerEEEEE10hipError_tT0_T1_T2_jT3_P12ihipStream_tbPNSt15iterator_traitsISN_E10value_typeEPNST_ISO_E10value_typeEPSP_NS1_7vsmem_tEENKUlT_SN_SO_SP_E_clISG_PjSI_PS9_EESM_S12_SN_SO_SP_EUlS12_E0_NS1_11comp_targetILNS1_3genE8ELNS1_11target_archE1030ELNS1_3gpuE2ELNS1_3repE0EEENS1_38merge_mergepath_config_static_selectorELNS0_4arch9wavefront6targetE1EEEvSO_ ; -- Begin function _ZN7rocprim17ROCPRIM_400000_NS6detail17trampoline_kernelINS0_14default_configENS1_38merge_sort_block_merge_config_selectorIjN6thrust23THRUST_200600_302600_NS5tupleIffNS6_9null_typeES8_S8_S8_S8_S8_S8_S8_EEEEZZNS1_27merge_sort_block_merge_implIS3_NS6_6detail15normal_iteratorINS6_10device_ptrIjEEEENSD_INSE_IS9_EEEEjNS1_19radix_merge_compareILb0ELb1EjNS0_19identity_decomposerEEEEE10hipError_tT0_T1_T2_jT3_P12ihipStream_tbPNSt15iterator_traitsISN_E10value_typeEPNST_ISO_E10value_typeEPSP_NS1_7vsmem_tEENKUlT_SN_SO_SP_E_clISG_PjSI_PS9_EESM_S12_SN_SO_SP_EUlS12_E0_NS1_11comp_targetILNS1_3genE8ELNS1_11target_archE1030ELNS1_3gpuE2ELNS1_3repE0EEENS1_38merge_mergepath_config_static_selectorELNS0_4arch9wavefront6targetE1EEEvSO_
	.globl	_ZN7rocprim17ROCPRIM_400000_NS6detail17trampoline_kernelINS0_14default_configENS1_38merge_sort_block_merge_config_selectorIjN6thrust23THRUST_200600_302600_NS5tupleIffNS6_9null_typeES8_S8_S8_S8_S8_S8_S8_EEEEZZNS1_27merge_sort_block_merge_implIS3_NS6_6detail15normal_iteratorINS6_10device_ptrIjEEEENSD_INSE_IS9_EEEEjNS1_19radix_merge_compareILb0ELb1EjNS0_19identity_decomposerEEEEE10hipError_tT0_T1_T2_jT3_P12ihipStream_tbPNSt15iterator_traitsISN_E10value_typeEPNST_ISO_E10value_typeEPSP_NS1_7vsmem_tEENKUlT_SN_SO_SP_E_clISG_PjSI_PS9_EESM_S12_SN_SO_SP_EUlS12_E0_NS1_11comp_targetILNS1_3genE8ELNS1_11target_archE1030ELNS1_3gpuE2ELNS1_3repE0EEENS1_38merge_mergepath_config_static_selectorELNS0_4arch9wavefront6targetE1EEEvSO_
	.p2align	8
	.type	_ZN7rocprim17ROCPRIM_400000_NS6detail17trampoline_kernelINS0_14default_configENS1_38merge_sort_block_merge_config_selectorIjN6thrust23THRUST_200600_302600_NS5tupleIffNS6_9null_typeES8_S8_S8_S8_S8_S8_S8_EEEEZZNS1_27merge_sort_block_merge_implIS3_NS6_6detail15normal_iteratorINS6_10device_ptrIjEEEENSD_INSE_IS9_EEEEjNS1_19radix_merge_compareILb0ELb1EjNS0_19identity_decomposerEEEEE10hipError_tT0_T1_T2_jT3_P12ihipStream_tbPNSt15iterator_traitsISN_E10value_typeEPNST_ISO_E10value_typeEPSP_NS1_7vsmem_tEENKUlT_SN_SO_SP_E_clISG_PjSI_PS9_EESM_S12_SN_SO_SP_EUlS12_E0_NS1_11comp_targetILNS1_3genE8ELNS1_11target_archE1030ELNS1_3gpuE2ELNS1_3repE0EEENS1_38merge_mergepath_config_static_selectorELNS0_4arch9wavefront6targetE1EEEvSO_,@function
_ZN7rocprim17ROCPRIM_400000_NS6detail17trampoline_kernelINS0_14default_configENS1_38merge_sort_block_merge_config_selectorIjN6thrust23THRUST_200600_302600_NS5tupleIffNS6_9null_typeES8_S8_S8_S8_S8_S8_S8_EEEEZZNS1_27merge_sort_block_merge_implIS3_NS6_6detail15normal_iteratorINS6_10device_ptrIjEEEENSD_INSE_IS9_EEEEjNS1_19radix_merge_compareILb0ELb1EjNS0_19identity_decomposerEEEEE10hipError_tT0_T1_T2_jT3_P12ihipStream_tbPNSt15iterator_traitsISN_E10value_typeEPNST_ISO_E10value_typeEPSP_NS1_7vsmem_tEENKUlT_SN_SO_SP_E_clISG_PjSI_PS9_EESM_S12_SN_SO_SP_EUlS12_E0_NS1_11comp_targetILNS1_3genE8ELNS1_11target_archE1030ELNS1_3gpuE2ELNS1_3repE0EEENS1_38merge_mergepath_config_static_selectorELNS0_4arch9wavefront6targetE1EEEvSO_: ; @_ZN7rocprim17ROCPRIM_400000_NS6detail17trampoline_kernelINS0_14default_configENS1_38merge_sort_block_merge_config_selectorIjN6thrust23THRUST_200600_302600_NS5tupleIffNS6_9null_typeES8_S8_S8_S8_S8_S8_S8_EEEEZZNS1_27merge_sort_block_merge_implIS3_NS6_6detail15normal_iteratorINS6_10device_ptrIjEEEENSD_INSE_IS9_EEEEjNS1_19radix_merge_compareILb0ELb1EjNS0_19identity_decomposerEEEEE10hipError_tT0_T1_T2_jT3_P12ihipStream_tbPNSt15iterator_traitsISN_E10value_typeEPNST_ISO_E10value_typeEPSP_NS1_7vsmem_tEENKUlT_SN_SO_SP_E_clISG_PjSI_PS9_EESM_S12_SN_SO_SP_EUlS12_E0_NS1_11comp_targetILNS1_3genE8ELNS1_11target_archE1030ELNS1_3gpuE2ELNS1_3repE0EEENS1_38merge_mergepath_config_static_selectorELNS0_4arch9wavefront6targetE1EEEvSO_
; %bb.0:
	.section	.rodata,"a",@progbits
	.p2align	6, 0x0
	.amdhsa_kernel _ZN7rocprim17ROCPRIM_400000_NS6detail17trampoline_kernelINS0_14default_configENS1_38merge_sort_block_merge_config_selectorIjN6thrust23THRUST_200600_302600_NS5tupleIffNS6_9null_typeES8_S8_S8_S8_S8_S8_S8_EEEEZZNS1_27merge_sort_block_merge_implIS3_NS6_6detail15normal_iteratorINS6_10device_ptrIjEEEENSD_INSE_IS9_EEEEjNS1_19radix_merge_compareILb0ELb1EjNS0_19identity_decomposerEEEEE10hipError_tT0_T1_T2_jT3_P12ihipStream_tbPNSt15iterator_traitsISN_E10value_typeEPNST_ISO_E10value_typeEPSP_NS1_7vsmem_tEENKUlT_SN_SO_SP_E_clISG_PjSI_PS9_EESM_S12_SN_SO_SP_EUlS12_E0_NS1_11comp_targetILNS1_3genE8ELNS1_11target_archE1030ELNS1_3gpuE2ELNS1_3repE0EEENS1_38merge_mergepath_config_static_selectorELNS0_4arch9wavefront6targetE1EEEvSO_
		.amdhsa_group_segment_fixed_size 0
		.amdhsa_private_segment_fixed_size 0
		.amdhsa_kernarg_size 64
		.amdhsa_user_sgpr_count 6
		.amdhsa_user_sgpr_private_segment_buffer 1
		.amdhsa_user_sgpr_dispatch_ptr 0
		.amdhsa_user_sgpr_queue_ptr 0
		.amdhsa_user_sgpr_kernarg_segment_ptr 1
		.amdhsa_user_sgpr_dispatch_id 0
		.amdhsa_user_sgpr_flat_scratch_init 0
		.amdhsa_user_sgpr_kernarg_preload_length 0
		.amdhsa_user_sgpr_kernarg_preload_offset 0
		.amdhsa_user_sgpr_private_segment_size 0
		.amdhsa_uses_dynamic_stack 0
		.amdhsa_system_sgpr_private_segment_wavefront_offset 0
		.amdhsa_system_sgpr_workgroup_id_x 1
		.amdhsa_system_sgpr_workgroup_id_y 0
		.amdhsa_system_sgpr_workgroup_id_z 0
		.amdhsa_system_sgpr_workgroup_info 0
		.amdhsa_system_vgpr_workitem_id 0
		.amdhsa_next_free_vgpr 1
		.amdhsa_next_free_sgpr 0
		.amdhsa_accum_offset 4
		.amdhsa_reserve_vcc 0
		.amdhsa_reserve_flat_scratch 0
		.amdhsa_float_round_mode_32 0
		.amdhsa_float_round_mode_16_64 0
		.amdhsa_float_denorm_mode_32 3
		.amdhsa_float_denorm_mode_16_64 3
		.amdhsa_dx10_clamp 1
		.amdhsa_ieee_mode 1
		.amdhsa_fp16_overflow 0
		.amdhsa_tg_split 0
		.amdhsa_exception_fp_ieee_invalid_op 0
		.amdhsa_exception_fp_denorm_src 0
		.amdhsa_exception_fp_ieee_div_zero 0
		.amdhsa_exception_fp_ieee_overflow 0
		.amdhsa_exception_fp_ieee_underflow 0
		.amdhsa_exception_fp_ieee_inexact 0
		.amdhsa_exception_int_div_zero 0
	.end_amdhsa_kernel
	.section	.text._ZN7rocprim17ROCPRIM_400000_NS6detail17trampoline_kernelINS0_14default_configENS1_38merge_sort_block_merge_config_selectorIjN6thrust23THRUST_200600_302600_NS5tupleIffNS6_9null_typeES8_S8_S8_S8_S8_S8_S8_EEEEZZNS1_27merge_sort_block_merge_implIS3_NS6_6detail15normal_iteratorINS6_10device_ptrIjEEEENSD_INSE_IS9_EEEEjNS1_19radix_merge_compareILb0ELb1EjNS0_19identity_decomposerEEEEE10hipError_tT0_T1_T2_jT3_P12ihipStream_tbPNSt15iterator_traitsISN_E10value_typeEPNST_ISO_E10value_typeEPSP_NS1_7vsmem_tEENKUlT_SN_SO_SP_E_clISG_PjSI_PS9_EESM_S12_SN_SO_SP_EUlS12_E0_NS1_11comp_targetILNS1_3genE8ELNS1_11target_archE1030ELNS1_3gpuE2ELNS1_3repE0EEENS1_38merge_mergepath_config_static_selectorELNS0_4arch9wavefront6targetE1EEEvSO_,"axG",@progbits,_ZN7rocprim17ROCPRIM_400000_NS6detail17trampoline_kernelINS0_14default_configENS1_38merge_sort_block_merge_config_selectorIjN6thrust23THRUST_200600_302600_NS5tupleIffNS6_9null_typeES8_S8_S8_S8_S8_S8_S8_EEEEZZNS1_27merge_sort_block_merge_implIS3_NS6_6detail15normal_iteratorINS6_10device_ptrIjEEEENSD_INSE_IS9_EEEEjNS1_19radix_merge_compareILb0ELb1EjNS0_19identity_decomposerEEEEE10hipError_tT0_T1_T2_jT3_P12ihipStream_tbPNSt15iterator_traitsISN_E10value_typeEPNST_ISO_E10value_typeEPSP_NS1_7vsmem_tEENKUlT_SN_SO_SP_E_clISG_PjSI_PS9_EESM_S12_SN_SO_SP_EUlS12_E0_NS1_11comp_targetILNS1_3genE8ELNS1_11target_archE1030ELNS1_3gpuE2ELNS1_3repE0EEENS1_38merge_mergepath_config_static_selectorELNS0_4arch9wavefront6targetE1EEEvSO_,comdat
.Lfunc_end130:
	.size	_ZN7rocprim17ROCPRIM_400000_NS6detail17trampoline_kernelINS0_14default_configENS1_38merge_sort_block_merge_config_selectorIjN6thrust23THRUST_200600_302600_NS5tupleIffNS6_9null_typeES8_S8_S8_S8_S8_S8_S8_EEEEZZNS1_27merge_sort_block_merge_implIS3_NS6_6detail15normal_iteratorINS6_10device_ptrIjEEEENSD_INSE_IS9_EEEEjNS1_19radix_merge_compareILb0ELb1EjNS0_19identity_decomposerEEEEE10hipError_tT0_T1_T2_jT3_P12ihipStream_tbPNSt15iterator_traitsISN_E10value_typeEPNST_ISO_E10value_typeEPSP_NS1_7vsmem_tEENKUlT_SN_SO_SP_E_clISG_PjSI_PS9_EESM_S12_SN_SO_SP_EUlS12_E0_NS1_11comp_targetILNS1_3genE8ELNS1_11target_archE1030ELNS1_3gpuE2ELNS1_3repE0EEENS1_38merge_mergepath_config_static_selectorELNS0_4arch9wavefront6targetE1EEEvSO_, .Lfunc_end130-_ZN7rocprim17ROCPRIM_400000_NS6detail17trampoline_kernelINS0_14default_configENS1_38merge_sort_block_merge_config_selectorIjN6thrust23THRUST_200600_302600_NS5tupleIffNS6_9null_typeES8_S8_S8_S8_S8_S8_S8_EEEEZZNS1_27merge_sort_block_merge_implIS3_NS6_6detail15normal_iteratorINS6_10device_ptrIjEEEENSD_INSE_IS9_EEEEjNS1_19radix_merge_compareILb0ELb1EjNS0_19identity_decomposerEEEEE10hipError_tT0_T1_T2_jT3_P12ihipStream_tbPNSt15iterator_traitsISN_E10value_typeEPNST_ISO_E10value_typeEPSP_NS1_7vsmem_tEENKUlT_SN_SO_SP_E_clISG_PjSI_PS9_EESM_S12_SN_SO_SP_EUlS12_E0_NS1_11comp_targetILNS1_3genE8ELNS1_11target_archE1030ELNS1_3gpuE2ELNS1_3repE0EEENS1_38merge_mergepath_config_static_selectorELNS0_4arch9wavefront6targetE1EEEvSO_
                                        ; -- End function
	.section	.AMDGPU.csdata,"",@progbits
; Kernel info:
; codeLenInByte = 0
; NumSgprs: 4
; NumVgprs: 0
; NumAgprs: 0
; TotalNumVgprs: 0
; ScratchSize: 0
; MemoryBound: 0
; FloatMode: 240
; IeeeMode: 1
; LDSByteSize: 0 bytes/workgroup (compile time only)
; SGPRBlocks: 0
; VGPRBlocks: 0
; NumSGPRsForWavesPerEU: 4
; NumVGPRsForWavesPerEU: 1
; AccumOffset: 4
; Occupancy: 8
; WaveLimiterHint : 0
; COMPUTE_PGM_RSRC2:SCRATCH_EN: 0
; COMPUTE_PGM_RSRC2:USER_SGPR: 6
; COMPUTE_PGM_RSRC2:TRAP_HANDLER: 0
; COMPUTE_PGM_RSRC2:TGID_X_EN: 1
; COMPUTE_PGM_RSRC2:TGID_Y_EN: 0
; COMPUTE_PGM_RSRC2:TGID_Z_EN: 0
; COMPUTE_PGM_RSRC2:TIDIG_COMP_CNT: 0
; COMPUTE_PGM_RSRC3_GFX90A:ACCUM_OFFSET: 0
; COMPUTE_PGM_RSRC3_GFX90A:TG_SPLIT: 0
	.section	.text._ZN7rocprim17ROCPRIM_400000_NS6detail17trampoline_kernelINS0_14default_configENS1_38merge_sort_block_merge_config_selectorIjN6thrust23THRUST_200600_302600_NS5tupleIffNS6_9null_typeES8_S8_S8_S8_S8_S8_S8_EEEEZZNS1_27merge_sort_block_merge_implIS3_NS6_6detail15normal_iteratorINS6_10device_ptrIjEEEENSD_INSE_IS9_EEEEjNS1_19radix_merge_compareILb0ELb1EjNS0_19identity_decomposerEEEEE10hipError_tT0_T1_T2_jT3_P12ihipStream_tbPNSt15iterator_traitsISN_E10value_typeEPNST_ISO_E10value_typeEPSP_NS1_7vsmem_tEENKUlT_SN_SO_SP_E_clISG_PjSI_PS9_EESM_S12_SN_SO_SP_EUlS12_E1_NS1_11comp_targetILNS1_3genE0ELNS1_11target_archE4294967295ELNS1_3gpuE0ELNS1_3repE0EEENS1_36merge_oddeven_config_static_selectorELNS0_4arch9wavefront6targetE1EEEvSO_,"axG",@progbits,_ZN7rocprim17ROCPRIM_400000_NS6detail17trampoline_kernelINS0_14default_configENS1_38merge_sort_block_merge_config_selectorIjN6thrust23THRUST_200600_302600_NS5tupleIffNS6_9null_typeES8_S8_S8_S8_S8_S8_S8_EEEEZZNS1_27merge_sort_block_merge_implIS3_NS6_6detail15normal_iteratorINS6_10device_ptrIjEEEENSD_INSE_IS9_EEEEjNS1_19radix_merge_compareILb0ELb1EjNS0_19identity_decomposerEEEEE10hipError_tT0_T1_T2_jT3_P12ihipStream_tbPNSt15iterator_traitsISN_E10value_typeEPNST_ISO_E10value_typeEPSP_NS1_7vsmem_tEENKUlT_SN_SO_SP_E_clISG_PjSI_PS9_EESM_S12_SN_SO_SP_EUlS12_E1_NS1_11comp_targetILNS1_3genE0ELNS1_11target_archE4294967295ELNS1_3gpuE0ELNS1_3repE0EEENS1_36merge_oddeven_config_static_selectorELNS0_4arch9wavefront6targetE1EEEvSO_,comdat
	.protected	_ZN7rocprim17ROCPRIM_400000_NS6detail17trampoline_kernelINS0_14default_configENS1_38merge_sort_block_merge_config_selectorIjN6thrust23THRUST_200600_302600_NS5tupleIffNS6_9null_typeES8_S8_S8_S8_S8_S8_S8_EEEEZZNS1_27merge_sort_block_merge_implIS3_NS6_6detail15normal_iteratorINS6_10device_ptrIjEEEENSD_INSE_IS9_EEEEjNS1_19radix_merge_compareILb0ELb1EjNS0_19identity_decomposerEEEEE10hipError_tT0_T1_T2_jT3_P12ihipStream_tbPNSt15iterator_traitsISN_E10value_typeEPNST_ISO_E10value_typeEPSP_NS1_7vsmem_tEENKUlT_SN_SO_SP_E_clISG_PjSI_PS9_EESM_S12_SN_SO_SP_EUlS12_E1_NS1_11comp_targetILNS1_3genE0ELNS1_11target_archE4294967295ELNS1_3gpuE0ELNS1_3repE0EEENS1_36merge_oddeven_config_static_selectorELNS0_4arch9wavefront6targetE1EEEvSO_ ; -- Begin function _ZN7rocprim17ROCPRIM_400000_NS6detail17trampoline_kernelINS0_14default_configENS1_38merge_sort_block_merge_config_selectorIjN6thrust23THRUST_200600_302600_NS5tupleIffNS6_9null_typeES8_S8_S8_S8_S8_S8_S8_EEEEZZNS1_27merge_sort_block_merge_implIS3_NS6_6detail15normal_iteratorINS6_10device_ptrIjEEEENSD_INSE_IS9_EEEEjNS1_19radix_merge_compareILb0ELb1EjNS0_19identity_decomposerEEEEE10hipError_tT0_T1_T2_jT3_P12ihipStream_tbPNSt15iterator_traitsISN_E10value_typeEPNST_ISO_E10value_typeEPSP_NS1_7vsmem_tEENKUlT_SN_SO_SP_E_clISG_PjSI_PS9_EESM_S12_SN_SO_SP_EUlS12_E1_NS1_11comp_targetILNS1_3genE0ELNS1_11target_archE4294967295ELNS1_3gpuE0ELNS1_3repE0EEENS1_36merge_oddeven_config_static_selectorELNS0_4arch9wavefront6targetE1EEEvSO_
	.globl	_ZN7rocprim17ROCPRIM_400000_NS6detail17trampoline_kernelINS0_14default_configENS1_38merge_sort_block_merge_config_selectorIjN6thrust23THRUST_200600_302600_NS5tupleIffNS6_9null_typeES8_S8_S8_S8_S8_S8_S8_EEEEZZNS1_27merge_sort_block_merge_implIS3_NS6_6detail15normal_iteratorINS6_10device_ptrIjEEEENSD_INSE_IS9_EEEEjNS1_19radix_merge_compareILb0ELb1EjNS0_19identity_decomposerEEEEE10hipError_tT0_T1_T2_jT3_P12ihipStream_tbPNSt15iterator_traitsISN_E10value_typeEPNST_ISO_E10value_typeEPSP_NS1_7vsmem_tEENKUlT_SN_SO_SP_E_clISG_PjSI_PS9_EESM_S12_SN_SO_SP_EUlS12_E1_NS1_11comp_targetILNS1_3genE0ELNS1_11target_archE4294967295ELNS1_3gpuE0ELNS1_3repE0EEENS1_36merge_oddeven_config_static_selectorELNS0_4arch9wavefront6targetE1EEEvSO_
	.p2align	8
	.type	_ZN7rocprim17ROCPRIM_400000_NS6detail17trampoline_kernelINS0_14default_configENS1_38merge_sort_block_merge_config_selectorIjN6thrust23THRUST_200600_302600_NS5tupleIffNS6_9null_typeES8_S8_S8_S8_S8_S8_S8_EEEEZZNS1_27merge_sort_block_merge_implIS3_NS6_6detail15normal_iteratorINS6_10device_ptrIjEEEENSD_INSE_IS9_EEEEjNS1_19radix_merge_compareILb0ELb1EjNS0_19identity_decomposerEEEEE10hipError_tT0_T1_T2_jT3_P12ihipStream_tbPNSt15iterator_traitsISN_E10value_typeEPNST_ISO_E10value_typeEPSP_NS1_7vsmem_tEENKUlT_SN_SO_SP_E_clISG_PjSI_PS9_EESM_S12_SN_SO_SP_EUlS12_E1_NS1_11comp_targetILNS1_3genE0ELNS1_11target_archE4294967295ELNS1_3gpuE0ELNS1_3repE0EEENS1_36merge_oddeven_config_static_selectorELNS0_4arch9wavefront6targetE1EEEvSO_,@function
_ZN7rocprim17ROCPRIM_400000_NS6detail17trampoline_kernelINS0_14default_configENS1_38merge_sort_block_merge_config_selectorIjN6thrust23THRUST_200600_302600_NS5tupleIffNS6_9null_typeES8_S8_S8_S8_S8_S8_S8_EEEEZZNS1_27merge_sort_block_merge_implIS3_NS6_6detail15normal_iteratorINS6_10device_ptrIjEEEENSD_INSE_IS9_EEEEjNS1_19radix_merge_compareILb0ELb1EjNS0_19identity_decomposerEEEEE10hipError_tT0_T1_T2_jT3_P12ihipStream_tbPNSt15iterator_traitsISN_E10value_typeEPNST_ISO_E10value_typeEPSP_NS1_7vsmem_tEENKUlT_SN_SO_SP_E_clISG_PjSI_PS9_EESM_S12_SN_SO_SP_EUlS12_E1_NS1_11comp_targetILNS1_3genE0ELNS1_11target_archE4294967295ELNS1_3gpuE0ELNS1_3repE0EEENS1_36merge_oddeven_config_static_selectorELNS0_4arch9wavefront6targetE1EEEvSO_: ; @_ZN7rocprim17ROCPRIM_400000_NS6detail17trampoline_kernelINS0_14default_configENS1_38merge_sort_block_merge_config_selectorIjN6thrust23THRUST_200600_302600_NS5tupleIffNS6_9null_typeES8_S8_S8_S8_S8_S8_S8_EEEEZZNS1_27merge_sort_block_merge_implIS3_NS6_6detail15normal_iteratorINS6_10device_ptrIjEEEENSD_INSE_IS9_EEEEjNS1_19radix_merge_compareILb0ELb1EjNS0_19identity_decomposerEEEEE10hipError_tT0_T1_T2_jT3_P12ihipStream_tbPNSt15iterator_traitsISN_E10value_typeEPNST_ISO_E10value_typeEPSP_NS1_7vsmem_tEENKUlT_SN_SO_SP_E_clISG_PjSI_PS9_EESM_S12_SN_SO_SP_EUlS12_E1_NS1_11comp_targetILNS1_3genE0ELNS1_11target_archE4294967295ELNS1_3gpuE0ELNS1_3repE0EEENS1_36merge_oddeven_config_static_selectorELNS0_4arch9wavefront6targetE1EEEvSO_
; %bb.0:
	.section	.rodata,"a",@progbits
	.p2align	6, 0x0
	.amdhsa_kernel _ZN7rocprim17ROCPRIM_400000_NS6detail17trampoline_kernelINS0_14default_configENS1_38merge_sort_block_merge_config_selectorIjN6thrust23THRUST_200600_302600_NS5tupleIffNS6_9null_typeES8_S8_S8_S8_S8_S8_S8_EEEEZZNS1_27merge_sort_block_merge_implIS3_NS6_6detail15normal_iteratorINS6_10device_ptrIjEEEENSD_INSE_IS9_EEEEjNS1_19radix_merge_compareILb0ELb1EjNS0_19identity_decomposerEEEEE10hipError_tT0_T1_T2_jT3_P12ihipStream_tbPNSt15iterator_traitsISN_E10value_typeEPNST_ISO_E10value_typeEPSP_NS1_7vsmem_tEENKUlT_SN_SO_SP_E_clISG_PjSI_PS9_EESM_S12_SN_SO_SP_EUlS12_E1_NS1_11comp_targetILNS1_3genE0ELNS1_11target_archE4294967295ELNS1_3gpuE0ELNS1_3repE0EEENS1_36merge_oddeven_config_static_selectorELNS0_4arch9wavefront6targetE1EEEvSO_
		.amdhsa_group_segment_fixed_size 0
		.amdhsa_private_segment_fixed_size 0
		.amdhsa_kernarg_size 48
		.amdhsa_user_sgpr_count 6
		.amdhsa_user_sgpr_private_segment_buffer 1
		.amdhsa_user_sgpr_dispatch_ptr 0
		.amdhsa_user_sgpr_queue_ptr 0
		.amdhsa_user_sgpr_kernarg_segment_ptr 1
		.amdhsa_user_sgpr_dispatch_id 0
		.amdhsa_user_sgpr_flat_scratch_init 0
		.amdhsa_user_sgpr_kernarg_preload_length 0
		.amdhsa_user_sgpr_kernarg_preload_offset 0
		.amdhsa_user_sgpr_private_segment_size 0
		.amdhsa_uses_dynamic_stack 0
		.amdhsa_system_sgpr_private_segment_wavefront_offset 0
		.amdhsa_system_sgpr_workgroup_id_x 1
		.amdhsa_system_sgpr_workgroup_id_y 0
		.amdhsa_system_sgpr_workgroup_id_z 0
		.amdhsa_system_sgpr_workgroup_info 0
		.amdhsa_system_vgpr_workitem_id 0
		.amdhsa_next_free_vgpr 1
		.amdhsa_next_free_sgpr 0
		.amdhsa_accum_offset 4
		.amdhsa_reserve_vcc 0
		.amdhsa_reserve_flat_scratch 0
		.amdhsa_float_round_mode_32 0
		.amdhsa_float_round_mode_16_64 0
		.amdhsa_float_denorm_mode_32 3
		.amdhsa_float_denorm_mode_16_64 3
		.amdhsa_dx10_clamp 1
		.amdhsa_ieee_mode 1
		.amdhsa_fp16_overflow 0
		.amdhsa_tg_split 0
		.amdhsa_exception_fp_ieee_invalid_op 0
		.amdhsa_exception_fp_denorm_src 0
		.amdhsa_exception_fp_ieee_div_zero 0
		.amdhsa_exception_fp_ieee_overflow 0
		.amdhsa_exception_fp_ieee_underflow 0
		.amdhsa_exception_fp_ieee_inexact 0
		.amdhsa_exception_int_div_zero 0
	.end_amdhsa_kernel
	.section	.text._ZN7rocprim17ROCPRIM_400000_NS6detail17trampoline_kernelINS0_14default_configENS1_38merge_sort_block_merge_config_selectorIjN6thrust23THRUST_200600_302600_NS5tupleIffNS6_9null_typeES8_S8_S8_S8_S8_S8_S8_EEEEZZNS1_27merge_sort_block_merge_implIS3_NS6_6detail15normal_iteratorINS6_10device_ptrIjEEEENSD_INSE_IS9_EEEEjNS1_19radix_merge_compareILb0ELb1EjNS0_19identity_decomposerEEEEE10hipError_tT0_T1_T2_jT3_P12ihipStream_tbPNSt15iterator_traitsISN_E10value_typeEPNST_ISO_E10value_typeEPSP_NS1_7vsmem_tEENKUlT_SN_SO_SP_E_clISG_PjSI_PS9_EESM_S12_SN_SO_SP_EUlS12_E1_NS1_11comp_targetILNS1_3genE0ELNS1_11target_archE4294967295ELNS1_3gpuE0ELNS1_3repE0EEENS1_36merge_oddeven_config_static_selectorELNS0_4arch9wavefront6targetE1EEEvSO_,"axG",@progbits,_ZN7rocprim17ROCPRIM_400000_NS6detail17trampoline_kernelINS0_14default_configENS1_38merge_sort_block_merge_config_selectorIjN6thrust23THRUST_200600_302600_NS5tupleIffNS6_9null_typeES8_S8_S8_S8_S8_S8_S8_EEEEZZNS1_27merge_sort_block_merge_implIS3_NS6_6detail15normal_iteratorINS6_10device_ptrIjEEEENSD_INSE_IS9_EEEEjNS1_19radix_merge_compareILb0ELb1EjNS0_19identity_decomposerEEEEE10hipError_tT0_T1_T2_jT3_P12ihipStream_tbPNSt15iterator_traitsISN_E10value_typeEPNST_ISO_E10value_typeEPSP_NS1_7vsmem_tEENKUlT_SN_SO_SP_E_clISG_PjSI_PS9_EESM_S12_SN_SO_SP_EUlS12_E1_NS1_11comp_targetILNS1_3genE0ELNS1_11target_archE4294967295ELNS1_3gpuE0ELNS1_3repE0EEENS1_36merge_oddeven_config_static_selectorELNS0_4arch9wavefront6targetE1EEEvSO_,comdat
.Lfunc_end131:
	.size	_ZN7rocprim17ROCPRIM_400000_NS6detail17trampoline_kernelINS0_14default_configENS1_38merge_sort_block_merge_config_selectorIjN6thrust23THRUST_200600_302600_NS5tupleIffNS6_9null_typeES8_S8_S8_S8_S8_S8_S8_EEEEZZNS1_27merge_sort_block_merge_implIS3_NS6_6detail15normal_iteratorINS6_10device_ptrIjEEEENSD_INSE_IS9_EEEEjNS1_19radix_merge_compareILb0ELb1EjNS0_19identity_decomposerEEEEE10hipError_tT0_T1_T2_jT3_P12ihipStream_tbPNSt15iterator_traitsISN_E10value_typeEPNST_ISO_E10value_typeEPSP_NS1_7vsmem_tEENKUlT_SN_SO_SP_E_clISG_PjSI_PS9_EESM_S12_SN_SO_SP_EUlS12_E1_NS1_11comp_targetILNS1_3genE0ELNS1_11target_archE4294967295ELNS1_3gpuE0ELNS1_3repE0EEENS1_36merge_oddeven_config_static_selectorELNS0_4arch9wavefront6targetE1EEEvSO_, .Lfunc_end131-_ZN7rocprim17ROCPRIM_400000_NS6detail17trampoline_kernelINS0_14default_configENS1_38merge_sort_block_merge_config_selectorIjN6thrust23THRUST_200600_302600_NS5tupleIffNS6_9null_typeES8_S8_S8_S8_S8_S8_S8_EEEEZZNS1_27merge_sort_block_merge_implIS3_NS6_6detail15normal_iteratorINS6_10device_ptrIjEEEENSD_INSE_IS9_EEEEjNS1_19radix_merge_compareILb0ELb1EjNS0_19identity_decomposerEEEEE10hipError_tT0_T1_T2_jT3_P12ihipStream_tbPNSt15iterator_traitsISN_E10value_typeEPNST_ISO_E10value_typeEPSP_NS1_7vsmem_tEENKUlT_SN_SO_SP_E_clISG_PjSI_PS9_EESM_S12_SN_SO_SP_EUlS12_E1_NS1_11comp_targetILNS1_3genE0ELNS1_11target_archE4294967295ELNS1_3gpuE0ELNS1_3repE0EEENS1_36merge_oddeven_config_static_selectorELNS0_4arch9wavefront6targetE1EEEvSO_
                                        ; -- End function
	.section	.AMDGPU.csdata,"",@progbits
; Kernel info:
; codeLenInByte = 0
; NumSgprs: 4
; NumVgprs: 0
; NumAgprs: 0
; TotalNumVgprs: 0
; ScratchSize: 0
; MemoryBound: 0
; FloatMode: 240
; IeeeMode: 1
; LDSByteSize: 0 bytes/workgroup (compile time only)
; SGPRBlocks: 0
; VGPRBlocks: 0
; NumSGPRsForWavesPerEU: 4
; NumVGPRsForWavesPerEU: 1
; AccumOffset: 4
; Occupancy: 8
; WaveLimiterHint : 0
; COMPUTE_PGM_RSRC2:SCRATCH_EN: 0
; COMPUTE_PGM_RSRC2:USER_SGPR: 6
; COMPUTE_PGM_RSRC2:TRAP_HANDLER: 0
; COMPUTE_PGM_RSRC2:TGID_X_EN: 1
; COMPUTE_PGM_RSRC2:TGID_Y_EN: 0
; COMPUTE_PGM_RSRC2:TGID_Z_EN: 0
; COMPUTE_PGM_RSRC2:TIDIG_COMP_CNT: 0
; COMPUTE_PGM_RSRC3_GFX90A:ACCUM_OFFSET: 0
; COMPUTE_PGM_RSRC3_GFX90A:TG_SPLIT: 0
	.section	.text._ZN7rocprim17ROCPRIM_400000_NS6detail17trampoline_kernelINS0_14default_configENS1_38merge_sort_block_merge_config_selectorIjN6thrust23THRUST_200600_302600_NS5tupleIffNS6_9null_typeES8_S8_S8_S8_S8_S8_S8_EEEEZZNS1_27merge_sort_block_merge_implIS3_NS6_6detail15normal_iteratorINS6_10device_ptrIjEEEENSD_INSE_IS9_EEEEjNS1_19radix_merge_compareILb0ELb1EjNS0_19identity_decomposerEEEEE10hipError_tT0_T1_T2_jT3_P12ihipStream_tbPNSt15iterator_traitsISN_E10value_typeEPNST_ISO_E10value_typeEPSP_NS1_7vsmem_tEENKUlT_SN_SO_SP_E_clISG_PjSI_PS9_EESM_S12_SN_SO_SP_EUlS12_E1_NS1_11comp_targetILNS1_3genE10ELNS1_11target_archE1201ELNS1_3gpuE5ELNS1_3repE0EEENS1_36merge_oddeven_config_static_selectorELNS0_4arch9wavefront6targetE1EEEvSO_,"axG",@progbits,_ZN7rocprim17ROCPRIM_400000_NS6detail17trampoline_kernelINS0_14default_configENS1_38merge_sort_block_merge_config_selectorIjN6thrust23THRUST_200600_302600_NS5tupleIffNS6_9null_typeES8_S8_S8_S8_S8_S8_S8_EEEEZZNS1_27merge_sort_block_merge_implIS3_NS6_6detail15normal_iteratorINS6_10device_ptrIjEEEENSD_INSE_IS9_EEEEjNS1_19radix_merge_compareILb0ELb1EjNS0_19identity_decomposerEEEEE10hipError_tT0_T1_T2_jT3_P12ihipStream_tbPNSt15iterator_traitsISN_E10value_typeEPNST_ISO_E10value_typeEPSP_NS1_7vsmem_tEENKUlT_SN_SO_SP_E_clISG_PjSI_PS9_EESM_S12_SN_SO_SP_EUlS12_E1_NS1_11comp_targetILNS1_3genE10ELNS1_11target_archE1201ELNS1_3gpuE5ELNS1_3repE0EEENS1_36merge_oddeven_config_static_selectorELNS0_4arch9wavefront6targetE1EEEvSO_,comdat
	.protected	_ZN7rocprim17ROCPRIM_400000_NS6detail17trampoline_kernelINS0_14default_configENS1_38merge_sort_block_merge_config_selectorIjN6thrust23THRUST_200600_302600_NS5tupleIffNS6_9null_typeES8_S8_S8_S8_S8_S8_S8_EEEEZZNS1_27merge_sort_block_merge_implIS3_NS6_6detail15normal_iteratorINS6_10device_ptrIjEEEENSD_INSE_IS9_EEEEjNS1_19radix_merge_compareILb0ELb1EjNS0_19identity_decomposerEEEEE10hipError_tT0_T1_T2_jT3_P12ihipStream_tbPNSt15iterator_traitsISN_E10value_typeEPNST_ISO_E10value_typeEPSP_NS1_7vsmem_tEENKUlT_SN_SO_SP_E_clISG_PjSI_PS9_EESM_S12_SN_SO_SP_EUlS12_E1_NS1_11comp_targetILNS1_3genE10ELNS1_11target_archE1201ELNS1_3gpuE5ELNS1_3repE0EEENS1_36merge_oddeven_config_static_selectorELNS0_4arch9wavefront6targetE1EEEvSO_ ; -- Begin function _ZN7rocprim17ROCPRIM_400000_NS6detail17trampoline_kernelINS0_14default_configENS1_38merge_sort_block_merge_config_selectorIjN6thrust23THRUST_200600_302600_NS5tupleIffNS6_9null_typeES8_S8_S8_S8_S8_S8_S8_EEEEZZNS1_27merge_sort_block_merge_implIS3_NS6_6detail15normal_iteratorINS6_10device_ptrIjEEEENSD_INSE_IS9_EEEEjNS1_19radix_merge_compareILb0ELb1EjNS0_19identity_decomposerEEEEE10hipError_tT0_T1_T2_jT3_P12ihipStream_tbPNSt15iterator_traitsISN_E10value_typeEPNST_ISO_E10value_typeEPSP_NS1_7vsmem_tEENKUlT_SN_SO_SP_E_clISG_PjSI_PS9_EESM_S12_SN_SO_SP_EUlS12_E1_NS1_11comp_targetILNS1_3genE10ELNS1_11target_archE1201ELNS1_3gpuE5ELNS1_3repE0EEENS1_36merge_oddeven_config_static_selectorELNS0_4arch9wavefront6targetE1EEEvSO_
	.globl	_ZN7rocprim17ROCPRIM_400000_NS6detail17trampoline_kernelINS0_14default_configENS1_38merge_sort_block_merge_config_selectorIjN6thrust23THRUST_200600_302600_NS5tupleIffNS6_9null_typeES8_S8_S8_S8_S8_S8_S8_EEEEZZNS1_27merge_sort_block_merge_implIS3_NS6_6detail15normal_iteratorINS6_10device_ptrIjEEEENSD_INSE_IS9_EEEEjNS1_19radix_merge_compareILb0ELb1EjNS0_19identity_decomposerEEEEE10hipError_tT0_T1_T2_jT3_P12ihipStream_tbPNSt15iterator_traitsISN_E10value_typeEPNST_ISO_E10value_typeEPSP_NS1_7vsmem_tEENKUlT_SN_SO_SP_E_clISG_PjSI_PS9_EESM_S12_SN_SO_SP_EUlS12_E1_NS1_11comp_targetILNS1_3genE10ELNS1_11target_archE1201ELNS1_3gpuE5ELNS1_3repE0EEENS1_36merge_oddeven_config_static_selectorELNS0_4arch9wavefront6targetE1EEEvSO_
	.p2align	8
	.type	_ZN7rocprim17ROCPRIM_400000_NS6detail17trampoline_kernelINS0_14default_configENS1_38merge_sort_block_merge_config_selectorIjN6thrust23THRUST_200600_302600_NS5tupleIffNS6_9null_typeES8_S8_S8_S8_S8_S8_S8_EEEEZZNS1_27merge_sort_block_merge_implIS3_NS6_6detail15normal_iteratorINS6_10device_ptrIjEEEENSD_INSE_IS9_EEEEjNS1_19radix_merge_compareILb0ELb1EjNS0_19identity_decomposerEEEEE10hipError_tT0_T1_T2_jT3_P12ihipStream_tbPNSt15iterator_traitsISN_E10value_typeEPNST_ISO_E10value_typeEPSP_NS1_7vsmem_tEENKUlT_SN_SO_SP_E_clISG_PjSI_PS9_EESM_S12_SN_SO_SP_EUlS12_E1_NS1_11comp_targetILNS1_3genE10ELNS1_11target_archE1201ELNS1_3gpuE5ELNS1_3repE0EEENS1_36merge_oddeven_config_static_selectorELNS0_4arch9wavefront6targetE1EEEvSO_,@function
_ZN7rocprim17ROCPRIM_400000_NS6detail17trampoline_kernelINS0_14default_configENS1_38merge_sort_block_merge_config_selectorIjN6thrust23THRUST_200600_302600_NS5tupleIffNS6_9null_typeES8_S8_S8_S8_S8_S8_S8_EEEEZZNS1_27merge_sort_block_merge_implIS3_NS6_6detail15normal_iteratorINS6_10device_ptrIjEEEENSD_INSE_IS9_EEEEjNS1_19radix_merge_compareILb0ELb1EjNS0_19identity_decomposerEEEEE10hipError_tT0_T1_T2_jT3_P12ihipStream_tbPNSt15iterator_traitsISN_E10value_typeEPNST_ISO_E10value_typeEPSP_NS1_7vsmem_tEENKUlT_SN_SO_SP_E_clISG_PjSI_PS9_EESM_S12_SN_SO_SP_EUlS12_E1_NS1_11comp_targetILNS1_3genE10ELNS1_11target_archE1201ELNS1_3gpuE5ELNS1_3repE0EEENS1_36merge_oddeven_config_static_selectorELNS0_4arch9wavefront6targetE1EEEvSO_: ; @_ZN7rocprim17ROCPRIM_400000_NS6detail17trampoline_kernelINS0_14default_configENS1_38merge_sort_block_merge_config_selectorIjN6thrust23THRUST_200600_302600_NS5tupleIffNS6_9null_typeES8_S8_S8_S8_S8_S8_S8_EEEEZZNS1_27merge_sort_block_merge_implIS3_NS6_6detail15normal_iteratorINS6_10device_ptrIjEEEENSD_INSE_IS9_EEEEjNS1_19radix_merge_compareILb0ELb1EjNS0_19identity_decomposerEEEEE10hipError_tT0_T1_T2_jT3_P12ihipStream_tbPNSt15iterator_traitsISN_E10value_typeEPNST_ISO_E10value_typeEPSP_NS1_7vsmem_tEENKUlT_SN_SO_SP_E_clISG_PjSI_PS9_EESM_S12_SN_SO_SP_EUlS12_E1_NS1_11comp_targetILNS1_3genE10ELNS1_11target_archE1201ELNS1_3gpuE5ELNS1_3repE0EEENS1_36merge_oddeven_config_static_selectorELNS0_4arch9wavefront6targetE1EEEvSO_
; %bb.0:
	.section	.rodata,"a",@progbits
	.p2align	6, 0x0
	.amdhsa_kernel _ZN7rocprim17ROCPRIM_400000_NS6detail17trampoline_kernelINS0_14default_configENS1_38merge_sort_block_merge_config_selectorIjN6thrust23THRUST_200600_302600_NS5tupleIffNS6_9null_typeES8_S8_S8_S8_S8_S8_S8_EEEEZZNS1_27merge_sort_block_merge_implIS3_NS6_6detail15normal_iteratorINS6_10device_ptrIjEEEENSD_INSE_IS9_EEEEjNS1_19radix_merge_compareILb0ELb1EjNS0_19identity_decomposerEEEEE10hipError_tT0_T1_T2_jT3_P12ihipStream_tbPNSt15iterator_traitsISN_E10value_typeEPNST_ISO_E10value_typeEPSP_NS1_7vsmem_tEENKUlT_SN_SO_SP_E_clISG_PjSI_PS9_EESM_S12_SN_SO_SP_EUlS12_E1_NS1_11comp_targetILNS1_3genE10ELNS1_11target_archE1201ELNS1_3gpuE5ELNS1_3repE0EEENS1_36merge_oddeven_config_static_selectorELNS0_4arch9wavefront6targetE1EEEvSO_
		.amdhsa_group_segment_fixed_size 0
		.amdhsa_private_segment_fixed_size 0
		.amdhsa_kernarg_size 48
		.amdhsa_user_sgpr_count 6
		.amdhsa_user_sgpr_private_segment_buffer 1
		.amdhsa_user_sgpr_dispatch_ptr 0
		.amdhsa_user_sgpr_queue_ptr 0
		.amdhsa_user_sgpr_kernarg_segment_ptr 1
		.amdhsa_user_sgpr_dispatch_id 0
		.amdhsa_user_sgpr_flat_scratch_init 0
		.amdhsa_user_sgpr_kernarg_preload_length 0
		.amdhsa_user_sgpr_kernarg_preload_offset 0
		.amdhsa_user_sgpr_private_segment_size 0
		.amdhsa_uses_dynamic_stack 0
		.amdhsa_system_sgpr_private_segment_wavefront_offset 0
		.amdhsa_system_sgpr_workgroup_id_x 1
		.amdhsa_system_sgpr_workgroup_id_y 0
		.amdhsa_system_sgpr_workgroup_id_z 0
		.amdhsa_system_sgpr_workgroup_info 0
		.amdhsa_system_vgpr_workitem_id 0
		.amdhsa_next_free_vgpr 1
		.amdhsa_next_free_sgpr 0
		.amdhsa_accum_offset 4
		.amdhsa_reserve_vcc 0
		.amdhsa_reserve_flat_scratch 0
		.amdhsa_float_round_mode_32 0
		.amdhsa_float_round_mode_16_64 0
		.amdhsa_float_denorm_mode_32 3
		.amdhsa_float_denorm_mode_16_64 3
		.amdhsa_dx10_clamp 1
		.amdhsa_ieee_mode 1
		.amdhsa_fp16_overflow 0
		.amdhsa_tg_split 0
		.amdhsa_exception_fp_ieee_invalid_op 0
		.amdhsa_exception_fp_denorm_src 0
		.amdhsa_exception_fp_ieee_div_zero 0
		.amdhsa_exception_fp_ieee_overflow 0
		.amdhsa_exception_fp_ieee_underflow 0
		.amdhsa_exception_fp_ieee_inexact 0
		.amdhsa_exception_int_div_zero 0
	.end_amdhsa_kernel
	.section	.text._ZN7rocprim17ROCPRIM_400000_NS6detail17trampoline_kernelINS0_14default_configENS1_38merge_sort_block_merge_config_selectorIjN6thrust23THRUST_200600_302600_NS5tupleIffNS6_9null_typeES8_S8_S8_S8_S8_S8_S8_EEEEZZNS1_27merge_sort_block_merge_implIS3_NS6_6detail15normal_iteratorINS6_10device_ptrIjEEEENSD_INSE_IS9_EEEEjNS1_19radix_merge_compareILb0ELb1EjNS0_19identity_decomposerEEEEE10hipError_tT0_T1_T2_jT3_P12ihipStream_tbPNSt15iterator_traitsISN_E10value_typeEPNST_ISO_E10value_typeEPSP_NS1_7vsmem_tEENKUlT_SN_SO_SP_E_clISG_PjSI_PS9_EESM_S12_SN_SO_SP_EUlS12_E1_NS1_11comp_targetILNS1_3genE10ELNS1_11target_archE1201ELNS1_3gpuE5ELNS1_3repE0EEENS1_36merge_oddeven_config_static_selectorELNS0_4arch9wavefront6targetE1EEEvSO_,"axG",@progbits,_ZN7rocprim17ROCPRIM_400000_NS6detail17trampoline_kernelINS0_14default_configENS1_38merge_sort_block_merge_config_selectorIjN6thrust23THRUST_200600_302600_NS5tupleIffNS6_9null_typeES8_S8_S8_S8_S8_S8_S8_EEEEZZNS1_27merge_sort_block_merge_implIS3_NS6_6detail15normal_iteratorINS6_10device_ptrIjEEEENSD_INSE_IS9_EEEEjNS1_19radix_merge_compareILb0ELb1EjNS0_19identity_decomposerEEEEE10hipError_tT0_T1_T2_jT3_P12ihipStream_tbPNSt15iterator_traitsISN_E10value_typeEPNST_ISO_E10value_typeEPSP_NS1_7vsmem_tEENKUlT_SN_SO_SP_E_clISG_PjSI_PS9_EESM_S12_SN_SO_SP_EUlS12_E1_NS1_11comp_targetILNS1_3genE10ELNS1_11target_archE1201ELNS1_3gpuE5ELNS1_3repE0EEENS1_36merge_oddeven_config_static_selectorELNS0_4arch9wavefront6targetE1EEEvSO_,comdat
.Lfunc_end132:
	.size	_ZN7rocprim17ROCPRIM_400000_NS6detail17trampoline_kernelINS0_14default_configENS1_38merge_sort_block_merge_config_selectorIjN6thrust23THRUST_200600_302600_NS5tupleIffNS6_9null_typeES8_S8_S8_S8_S8_S8_S8_EEEEZZNS1_27merge_sort_block_merge_implIS3_NS6_6detail15normal_iteratorINS6_10device_ptrIjEEEENSD_INSE_IS9_EEEEjNS1_19radix_merge_compareILb0ELb1EjNS0_19identity_decomposerEEEEE10hipError_tT0_T1_T2_jT3_P12ihipStream_tbPNSt15iterator_traitsISN_E10value_typeEPNST_ISO_E10value_typeEPSP_NS1_7vsmem_tEENKUlT_SN_SO_SP_E_clISG_PjSI_PS9_EESM_S12_SN_SO_SP_EUlS12_E1_NS1_11comp_targetILNS1_3genE10ELNS1_11target_archE1201ELNS1_3gpuE5ELNS1_3repE0EEENS1_36merge_oddeven_config_static_selectorELNS0_4arch9wavefront6targetE1EEEvSO_, .Lfunc_end132-_ZN7rocprim17ROCPRIM_400000_NS6detail17trampoline_kernelINS0_14default_configENS1_38merge_sort_block_merge_config_selectorIjN6thrust23THRUST_200600_302600_NS5tupleIffNS6_9null_typeES8_S8_S8_S8_S8_S8_S8_EEEEZZNS1_27merge_sort_block_merge_implIS3_NS6_6detail15normal_iteratorINS6_10device_ptrIjEEEENSD_INSE_IS9_EEEEjNS1_19radix_merge_compareILb0ELb1EjNS0_19identity_decomposerEEEEE10hipError_tT0_T1_T2_jT3_P12ihipStream_tbPNSt15iterator_traitsISN_E10value_typeEPNST_ISO_E10value_typeEPSP_NS1_7vsmem_tEENKUlT_SN_SO_SP_E_clISG_PjSI_PS9_EESM_S12_SN_SO_SP_EUlS12_E1_NS1_11comp_targetILNS1_3genE10ELNS1_11target_archE1201ELNS1_3gpuE5ELNS1_3repE0EEENS1_36merge_oddeven_config_static_selectorELNS0_4arch9wavefront6targetE1EEEvSO_
                                        ; -- End function
	.section	.AMDGPU.csdata,"",@progbits
; Kernel info:
; codeLenInByte = 0
; NumSgprs: 4
; NumVgprs: 0
; NumAgprs: 0
; TotalNumVgprs: 0
; ScratchSize: 0
; MemoryBound: 0
; FloatMode: 240
; IeeeMode: 1
; LDSByteSize: 0 bytes/workgroup (compile time only)
; SGPRBlocks: 0
; VGPRBlocks: 0
; NumSGPRsForWavesPerEU: 4
; NumVGPRsForWavesPerEU: 1
; AccumOffset: 4
; Occupancy: 8
; WaveLimiterHint : 0
; COMPUTE_PGM_RSRC2:SCRATCH_EN: 0
; COMPUTE_PGM_RSRC2:USER_SGPR: 6
; COMPUTE_PGM_RSRC2:TRAP_HANDLER: 0
; COMPUTE_PGM_RSRC2:TGID_X_EN: 1
; COMPUTE_PGM_RSRC2:TGID_Y_EN: 0
; COMPUTE_PGM_RSRC2:TGID_Z_EN: 0
; COMPUTE_PGM_RSRC2:TIDIG_COMP_CNT: 0
; COMPUTE_PGM_RSRC3_GFX90A:ACCUM_OFFSET: 0
; COMPUTE_PGM_RSRC3_GFX90A:TG_SPLIT: 0
	.section	.text._ZN7rocprim17ROCPRIM_400000_NS6detail17trampoline_kernelINS0_14default_configENS1_38merge_sort_block_merge_config_selectorIjN6thrust23THRUST_200600_302600_NS5tupleIffNS6_9null_typeES8_S8_S8_S8_S8_S8_S8_EEEEZZNS1_27merge_sort_block_merge_implIS3_NS6_6detail15normal_iteratorINS6_10device_ptrIjEEEENSD_INSE_IS9_EEEEjNS1_19radix_merge_compareILb0ELb1EjNS0_19identity_decomposerEEEEE10hipError_tT0_T1_T2_jT3_P12ihipStream_tbPNSt15iterator_traitsISN_E10value_typeEPNST_ISO_E10value_typeEPSP_NS1_7vsmem_tEENKUlT_SN_SO_SP_E_clISG_PjSI_PS9_EESM_S12_SN_SO_SP_EUlS12_E1_NS1_11comp_targetILNS1_3genE5ELNS1_11target_archE942ELNS1_3gpuE9ELNS1_3repE0EEENS1_36merge_oddeven_config_static_selectorELNS0_4arch9wavefront6targetE1EEEvSO_,"axG",@progbits,_ZN7rocprim17ROCPRIM_400000_NS6detail17trampoline_kernelINS0_14default_configENS1_38merge_sort_block_merge_config_selectorIjN6thrust23THRUST_200600_302600_NS5tupleIffNS6_9null_typeES8_S8_S8_S8_S8_S8_S8_EEEEZZNS1_27merge_sort_block_merge_implIS3_NS6_6detail15normal_iteratorINS6_10device_ptrIjEEEENSD_INSE_IS9_EEEEjNS1_19radix_merge_compareILb0ELb1EjNS0_19identity_decomposerEEEEE10hipError_tT0_T1_T2_jT3_P12ihipStream_tbPNSt15iterator_traitsISN_E10value_typeEPNST_ISO_E10value_typeEPSP_NS1_7vsmem_tEENKUlT_SN_SO_SP_E_clISG_PjSI_PS9_EESM_S12_SN_SO_SP_EUlS12_E1_NS1_11comp_targetILNS1_3genE5ELNS1_11target_archE942ELNS1_3gpuE9ELNS1_3repE0EEENS1_36merge_oddeven_config_static_selectorELNS0_4arch9wavefront6targetE1EEEvSO_,comdat
	.protected	_ZN7rocprim17ROCPRIM_400000_NS6detail17trampoline_kernelINS0_14default_configENS1_38merge_sort_block_merge_config_selectorIjN6thrust23THRUST_200600_302600_NS5tupleIffNS6_9null_typeES8_S8_S8_S8_S8_S8_S8_EEEEZZNS1_27merge_sort_block_merge_implIS3_NS6_6detail15normal_iteratorINS6_10device_ptrIjEEEENSD_INSE_IS9_EEEEjNS1_19radix_merge_compareILb0ELb1EjNS0_19identity_decomposerEEEEE10hipError_tT0_T1_T2_jT3_P12ihipStream_tbPNSt15iterator_traitsISN_E10value_typeEPNST_ISO_E10value_typeEPSP_NS1_7vsmem_tEENKUlT_SN_SO_SP_E_clISG_PjSI_PS9_EESM_S12_SN_SO_SP_EUlS12_E1_NS1_11comp_targetILNS1_3genE5ELNS1_11target_archE942ELNS1_3gpuE9ELNS1_3repE0EEENS1_36merge_oddeven_config_static_selectorELNS0_4arch9wavefront6targetE1EEEvSO_ ; -- Begin function _ZN7rocprim17ROCPRIM_400000_NS6detail17trampoline_kernelINS0_14default_configENS1_38merge_sort_block_merge_config_selectorIjN6thrust23THRUST_200600_302600_NS5tupleIffNS6_9null_typeES8_S8_S8_S8_S8_S8_S8_EEEEZZNS1_27merge_sort_block_merge_implIS3_NS6_6detail15normal_iteratorINS6_10device_ptrIjEEEENSD_INSE_IS9_EEEEjNS1_19radix_merge_compareILb0ELb1EjNS0_19identity_decomposerEEEEE10hipError_tT0_T1_T2_jT3_P12ihipStream_tbPNSt15iterator_traitsISN_E10value_typeEPNST_ISO_E10value_typeEPSP_NS1_7vsmem_tEENKUlT_SN_SO_SP_E_clISG_PjSI_PS9_EESM_S12_SN_SO_SP_EUlS12_E1_NS1_11comp_targetILNS1_3genE5ELNS1_11target_archE942ELNS1_3gpuE9ELNS1_3repE0EEENS1_36merge_oddeven_config_static_selectorELNS0_4arch9wavefront6targetE1EEEvSO_
	.globl	_ZN7rocprim17ROCPRIM_400000_NS6detail17trampoline_kernelINS0_14default_configENS1_38merge_sort_block_merge_config_selectorIjN6thrust23THRUST_200600_302600_NS5tupleIffNS6_9null_typeES8_S8_S8_S8_S8_S8_S8_EEEEZZNS1_27merge_sort_block_merge_implIS3_NS6_6detail15normal_iteratorINS6_10device_ptrIjEEEENSD_INSE_IS9_EEEEjNS1_19radix_merge_compareILb0ELb1EjNS0_19identity_decomposerEEEEE10hipError_tT0_T1_T2_jT3_P12ihipStream_tbPNSt15iterator_traitsISN_E10value_typeEPNST_ISO_E10value_typeEPSP_NS1_7vsmem_tEENKUlT_SN_SO_SP_E_clISG_PjSI_PS9_EESM_S12_SN_SO_SP_EUlS12_E1_NS1_11comp_targetILNS1_3genE5ELNS1_11target_archE942ELNS1_3gpuE9ELNS1_3repE0EEENS1_36merge_oddeven_config_static_selectorELNS0_4arch9wavefront6targetE1EEEvSO_
	.p2align	8
	.type	_ZN7rocprim17ROCPRIM_400000_NS6detail17trampoline_kernelINS0_14default_configENS1_38merge_sort_block_merge_config_selectorIjN6thrust23THRUST_200600_302600_NS5tupleIffNS6_9null_typeES8_S8_S8_S8_S8_S8_S8_EEEEZZNS1_27merge_sort_block_merge_implIS3_NS6_6detail15normal_iteratorINS6_10device_ptrIjEEEENSD_INSE_IS9_EEEEjNS1_19radix_merge_compareILb0ELb1EjNS0_19identity_decomposerEEEEE10hipError_tT0_T1_T2_jT3_P12ihipStream_tbPNSt15iterator_traitsISN_E10value_typeEPNST_ISO_E10value_typeEPSP_NS1_7vsmem_tEENKUlT_SN_SO_SP_E_clISG_PjSI_PS9_EESM_S12_SN_SO_SP_EUlS12_E1_NS1_11comp_targetILNS1_3genE5ELNS1_11target_archE942ELNS1_3gpuE9ELNS1_3repE0EEENS1_36merge_oddeven_config_static_selectorELNS0_4arch9wavefront6targetE1EEEvSO_,@function
_ZN7rocprim17ROCPRIM_400000_NS6detail17trampoline_kernelINS0_14default_configENS1_38merge_sort_block_merge_config_selectorIjN6thrust23THRUST_200600_302600_NS5tupleIffNS6_9null_typeES8_S8_S8_S8_S8_S8_S8_EEEEZZNS1_27merge_sort_block_merge_implIS3_NS6_6detail15normal_iteratorINS6_10device_ptrIjEEEENSD_INSE_IS9_EEEEjNS1_19radix_merge_compareILb0ELb1EjNS0_19identity_decomposerEEEEE10hipError_tT0_T1_T2_jT3_P12ihipStream_tbPNSt15iterator_traitsISN_E10value_typeEPNST_ISO_E10value_typeEPSP_NS1_7vsmem_tEENKUlT_SN_SO_SP_E_clISG_PjSI_PS9_EESM_S12_SN_SO_SP_EUlS12_E1_NS1_11comp_targetILNS1_3genE5ELNS1_11target_archE942ELNS1_3gpuE9ELNS1_3repE0EEENS1_36merge_oddeven_config_static_selectorELNS0_4arch9wavefront6targetE1EEEvSO_: ; @_ZN7rocprim17ROCPRIM_400000_NS6detail17trampoline_kernelINS0_14default_configENS1_38merge_sort_block_merge_config_selectorIjN6thrust23THRUST_200600_302600_NS5tupleIffNS6_9null_typeES8_S8_S8_S8_S8_S8_S8_EEEEZZNS1_27merge_sort_block_merge_implIS3_NS6_6detail15normal_iteratorINS6_10device_ptrIjEEEENSD_INSE_IS9_EEEEjNS1_19radix_merge_compareILb0ELb1EjNS0_19identity_decomposerEEEEE10hipError_tT0_T1_T2_jT3_P12ihipStream_tbPNSt15iterator_traitsISN_E10value_typeEPNST_ISO_E10value_typeEPSP_NS1_7vsmem_tEENKUlT_SN_SO_SP_E_clISG_PjSI_PS9_EESM_S12_SN_SO_SP_EUlS12_E1_NS1_11comp_targetILNS1_3genE5ELNS1_11target_archE942ELNS1_3gpuE9ELNS1_3repE0EEENS1_36merge_oddeven_config_static_selectorELNS0_4arch9wavefront6targetE1EEEvSO_
; %bb.0:
	.section	.rodata,"a",@progbits
	.p2align	6, 0x0
	.amdhsa_kernel _ZN7rocprim17ROCPRIM_400000_NS6detail17trampoline_kernelINS0_14default_configENS1_38merge_sort_block_merge_config_selectorIjN6thrust23THRUST_200600_302600_NS5tupleIffNS6_9null_typeES8_S8_S8_S8_S8_S8_S8_EEEEZZNS1_27merge_sort_block_merge_implIS3_NS6_6detail15normal_iteratorINS6_10device_ptrIjEEEENSD_INSE_IS9_EEEEjNS1_19radix_merge_compareILb0ELb1EjNS0_19identity_decomposerEEEEE10hipError_tT0_T1_T2_jT3_P12ihipStream_tbPNSt15iterator_traitsISN_E10value_typeEPNST_ISO_E10value_typeEPSP_NS1_7vsmem_tEENKUlT_SN_SO_SP_E_clISG_PjSI_PS9_EESM_S12_SN_SO_SP_EUlS12_E1_NS1_11comp_targetILNS1_3genE5ELNS1_11target_archE942ELNS1_3gpuE9ELNS1_3repE0EEENS1_36merge_oddeven_config_static_selectorELNS0_4arch9wavefront6targetE1EEEvSO_
		.amdhsa_group_segment_fixed_size 0
		.amdhsa_private_segment_fixed_size 0
		.amdhsa_kernarg_size 48
		.amdhsa_user_sgpr_count 6
		.amdhsa_user_sgpr_private_segment_buffer 1
		.amdhsa_user_sgpr_dispatch_ptr 0
		.amdhsa_user_sgpr_queue_ptr 0
		.amdhsa_user_sgpr_kernarg_segment_ptr 1
		.amdhsa_user_sgpr_dispatch_id 0
		.amdhsa_user_sgpr_flat_scratch_init 0
		.amdhsa_user_sgpr_kernarg_preload_length 0
		.amdhsa_user_sgpr_kernarg_preload_offset 0
		.amdhsa_user_sgpr_private_segment_size 0
		.amdhsa_uses_dynamic_stack 0
		.amdhsa_system_sgpr_private_segment_wavefront_offset 0
		.amdhsa_system_sgpr_workgroup_id_x 1
		.amdhsa_system_sgpr_workgroup_id_y 0
		.amdhsa_system_sgpr_workgroup_id_z 0
		.amdhsa_system_sgpr_workgroup_info 0
		.amdhsa_system_vgpr_workitem_id 0
		.amdhsa_next_free_vgpr 1
		.amdhsa_next_free_sgpr 0
		.amdhsa_accum_offset 4
		.amdhsa_reserve_vcc 0
		.amdhsa_reserve_flat_scratch 0
		.amdhsa_float_round_mode_32 0
		.amdhsa_float_round_mode_16_64 0
		.amdhsa_float_denorm_mode_32 3
		.amdhsa_float_denorm_mode_16_64 3
		.amdhsa_dx10_clamp 1
		.amdhsa_ieee_mode 1
		.amdhsa_fp16_overflow 0
		.amdhsa_tg_split 0
		.amdhsa_exception_fp_ieee_invalid_op 0
		.amdhsa_exception_fp_denorm_src 0
		.amdhsa_exception_fp_ieee_div_zero 0
		.amdhsa_exception_fp_ieee_overflow 0
		.amdhsa_exception_fp_ieee_underflow 0
		.amdhsa_exception_fp_ieee_inexact 0
		.amdhsa_exception_int_div_zero 0
	.end_amdhsa_kernel
	.section	.text._ZN7rocprim17ROCPRIM_400000_NS6detail17trampoline_kernelINS0_14default_configENS1_38merge_sort_block_merge_config_selectorIjN6thrust23THRUST_200600_302600_NS5tupleIffNS6_9null_typeES8_S8_S8_S8_S8_S8_S8_EEEEZZNS1_27merge_sort_block_merge_implIS3_NS6_6detail15normal_iteratorINS6_10device_ptrIjEEEENSD_INSE_IS9_EEEEjNS1_19radix_merge_compareILb0ELb1EjNS0_19identity_decomposerEEEEE10hipError_tT0_T1_T2_jT3_P12ihipStream_tbPNSt15iterator_traitsISN_E10value_typeEPNST_ISO_E10value_typeEPSP_NS1_7vsmem_tEENKUlT_SN_SO_SP_E_clISG_PjSI_PS9_EESM_S12_SN_SO_SP_EUlS12_E1_NS1_11comp_targetILNS1_3genE5ELNS1_11target_archE942ELNS1_3gpuE9ELNS1_3repE0EEENS1_36merge_oddeven_config_static_selectorELNS0_4arch9wavefront6targetE1EEEvSO_,"axG",@progbits,_ZN7rocprim17ROCPRIM_400000_NS6detail17trampoline_kernelINS0_14default_configENS1_38merge_sort_block_merge_config_selectorIjN6thrust23THRUST_200600_302600_NS5tupleIffNS6_9null_typeES8_S8_S8_S8_S8_S8_S8_EEEEZZNS1_27merge_sort_block_merge_implIS3_NS6_6detail15normal_iteratorINS6_10device_ptrIjEEEENSD_INSE_IS9_EEEEjNS1_19radix_merge_compareILb0ELb1EjNS0_19identity_decomposerEEEEE10hipError_tT0_T1_T2_jT3_P12ihipStream_tbPNSt15iterator_traitsISN_E10value_typeEPNST_ISO_E10value_typeEPSP_NS1_7vsmem_tEENKUlT_SN_SO_SP_E_clISG_PjSI_PS9_EESM_S12_SN_SO_SP_EUlS12_E1_NS1_11comp_targetILNS1_3genE5ELNS1_11target_archE942ELNS1_3gpuE9ELNS1_3repE0EEENS1_36merge_oddeven_config_static_selectorELNS0_4arch9wavefront6targetE1EEEvSO_,comdat
.Lfunc_end133:
	.size	_ZN7rocprim17ROCPRIM_400000_NS6detail17trampoline_kernelINS0_14default_configENS1_38merge_sort_block_merge_config_selectorIjN6thrust23THRUST_200600_302600_NS5tupleIffNS6_9null_typeES8_S8_S8_S8_S8_S8_S8_EEEEZZNS1_27merge_sort_block_merge_implIS3_NS6_6detail15normal_iteratorINS6_10device_ptrIjEEEENSD_INSE_IS9_EEEEjNS1_19radix_merge_compareILb0ELb1EjNS0_19identity_decomposerEEEEE10hipError_tT0_T1_T2_jT3_P12ihipStream_tbPNSt15iterator_traitsISN_E10value_typeEPNST_ISO_E10value_typeEPSP_NS1_7vsmem_tEENKUlT_SN_SO_SP_E_clISG_PjSI_PS9_EESM_S12_SN_SO_SP_EUlS12_E1_NS1_11comp_targetILNS1_3genE5ELNS1_11target_archE942ELNS1_3gpuE9ELNS1_3repE0EEENS1_36merge_oddeven_config_static_selectorELNS0_4arch9wavefront6targetE1EEEvSO_, .Lfunc_end133-_ZN7rocprim17ROCPRIM_400000_NS6detail17trampoline_kernelINS0_14default_configENS1_38merge_sort_block_merge_config_selectorIjN6thrust23THRUST_200600_302600_NS5tupleIffNS6_9null_typeES8_S8_S8_S8_S8_S8_S8_EEEEZZNS1_27merge_sort_block_merge_implIS3_NS6_6detail15normal_iteratorINS6_10device_ptrIjEEEENSD_INSE_IS9_EEEEjNS1_19radix_merge_compareILb0ELb1EjNS0_19identity_decomposerEEEEE10hipError_tT0_T1_T2_jT3_P12ihipStream_tbPNSt15iterator_traitsISN_E10value_typeEPNST_ISO_E10value_typeEPSP_NS1_7vsmem_tEENKUlT_SN_SO_SP_E_clISG_PjSI_PS9_EESM_S12_SN_SO_SP_EUlS12_E1_NS1_11comp_targetILNS1_3genE5ELNS1_11target_archE942ELNS1_3gpuE9ELNS1_3repE0EEENS1_36merge_oddeven_config_static_selectorELNS0_4arch9wavefront6targetE1EEEvSO_
                                        ; -- End function
	.section	.AMDGPU.csdata,"",@progbits
; Kernel info:
; codeLenInByte = 0
; NumSgprs: 4
; NumVgprs: 0
; NumAgprs: 0
; TotalNumVgprs: 0
; ScratchSize: 0
; MemoryBound: 0
; FloatMode: 240
; IeeeMode: 1
; LDSByteSize: 0 bytes/workgroup (compile time only)
; SGPRBlocks: 0
; VGPRBlocks: 0
; NumSGPRsForWavesPerEU: 4
; NumVGPRsForWavesPerEU: 1
; AccumOffset: 4
; Occupancy: 8
; WaveLimiterHint : 0
; COMPUTE_PGM_RSRC2:SCRATCH_EN: 0
; COMPUTE_PGM_RSRC2:USER_SGPR: 6
; COMPUTE_PGM_RSRC2:TRAP_HANDLER: 0
; COMPUTE_PGM_RSRC2:TGID_X_EN: 1
; COMPUTE_PGM_RSRC2:TGID_Y_EN: 0
; COMPUTE_PGM_RSRC2:TGID_Z_EN: 0
; COMPUTE_PGM_RSRC2:TIDIG_COMP_CNT: 0
; COMPUTE_PGM_RSRC3_GFX90A:ACCUM_OFFSET: 0
; COMPUTE_PGM_RSRC3_GFX90A:TG_SPLIT: 0
	.section	.text._ZN7rocprim17ROCPRIM_400000_NS6detail17trampoline_kernelINS0_14default_configENS1_38merge_sort_block_merge_config_selectorIjN6thrust23THRUST_200600_302600_NS5tupleIffNS6_9null_typeES8_S8_S8_S8_S8_S8_S8_EEEEZZNS1_27merge_sort_block_merge_implIS3_NS6_6detail15normal_iteratorINS6_10device_ptrIjEEEENSD_INSE_IS9_EEEEjNS1_19radix_merge_compareILb0ELb1EjNS0_19identity_decomposerEEEEE10hipError_tT0_T1_T2_jT3_P12ihipStream_tbPNSt15iterator_traitsISN_E10value_typeEPNST_ISO_E10value_typeEPSP_NS1_7vsmem_tEENKUlT_SN_SO_SP_E_clISG_PjSI_PS9_EESM_S12_SN_SO_SP_EUlS12_E1_NS1_11comp_targetILNS1_3genE4ELNS1_11target_archE910ELNS1_3gpuE8ELNS1_3repE0EEENS1_36merge_oddeven_config_static_selectorELNS0_4arch9wavefront6targetE1EEEvSO_,"axG",@progbits,_ZN7rocprim17ROCPRIM_400000_NS6detail17trampoline_kernelINS0_14default_configENS1_38merge_sort_block_merge_config_selectorIjN6thrust23THRUST_200600_302600_NS5tupleIffNS6_9null_typeES8_S8_S8_S8_S8_S8_S8_EEEEZZNS1_27merge_sort_block_merge_implIS3_NS6_6detail15normal_iteratorINS6_10device_ptrIjEEEENSD_INSE_IS9_EEEEjNS1_19radix_merge_compareILb0ELb1EjNS0_19identity_decomposerEEEEE10hipError_tT0_T1_T2_jT3_P12ihipStream_tbPNSt15iterator_traitsISN_E10value_typeEPNST_ISO_E10value_typeEPSP_NS1_7vsmem_tEENKUlT_SN_SO_SP_E_clISG_PjSI_PS9_EESM_S12_SN_SO_SP_EUlS12_E1_NS1_11comp_targetILNS1_3genE4ELNS1_11target_archE910ELNS1_3gpuE8ELNS1_3repE0EEENS1_36merge_oddeven_config_static_selectorELNS0_4arch9wavefront6targetE1EEEvSO_,comdat
	.protected	_ZN7rocprim17ROCPRIM_400000_NS6detail17trampoline_kernelINS0_14default_configENS1_38merge_sort_block_merge_config_selectorIjN6thrust23THRUST_200600_302600_NS5tupleIffNS6_9null_typeES8_S8_S8_S8_S8_S8_S8_EEEEZZNS1_27merge_sort_block_merge_implIS3_NS6_6detail15normal_iteratorINS6_10device_ptrIjEEEENSD_INSE_IS9_EEEEjNS1_19radix_merge_compareILb0ELb1EjNS0_19identity_decomposerEEEEE10hipError_tT0_T1_T2_jT3_P12ihipStream_tbPNSt15iterator_traitsISN_E10value_typeEPNST_ISO_E10value_typeEPSP_NS1_7vsmem_tEENKUlT_SN_SO_SP_E_clISG_PjSI_PS9_EESM_S12_SN_SO_SP_EUlS12_E1_NS1_11comp_targetILNS1_3genE4ELNS1_11target_archE910ELNS1_3gpuE8ELNS1_3repE0EEENS1_36merge_oddeven_config_static_selectorELNS0_4arch9wavefront6targetE1EEEvSO_ ; -- Begin function _ZN7rocprim17ROCPRIM_400000_NS6detail17trampoline_kernelINS0_14default_configENS1_38merge_sort_block_merge_config_selectorIjN6thrust23THRUST_200600_302600_NS5tupleIffNS6_9null_typeES8_S8_S8_S8_S8_S8_S8_EEEEZZNS1_27merge_sort_block_merge_implIS3_NS6_6detail15normal_iteratorINS6_10device_ptrIjEEEENSD_INSE_IS9_EEEEjNS1_19radix_merge_compareILb0ELb1EjNS0_19identity_decomposerEEEEE10hipError_tT0_T1_T2_jT3_P12ihipStream_tbPNSt15iterator_traitsISN_E10value_typeEPNST_ISO_E10value_typeEPSP_NS1_7vsmem_tEENKUlT_SN_SO_SP_E_clISG_PjSI_PS9_EESM_S12_SN_SO_SP_EUlS12_E1_NS1_11comp_targetILNS1_3genE4ELNS1_11target_archE910ELNS1_3gpuE8ELNS1_3repE0EEENS1_36merge_oddeven_config_static_selectorELNS0_4arch9wavefront6targetE1EEEvSO_
	.globl	_ZN7rocprim17ROCPRIM_400000_NS6detail17trampoline_kernelINS0_14default_configENS1_38merge_sort_block_merge_config_selectorIjN6thrust23THRUST_200600_302600_NS5tupleIffNS6_9null_typeES8_S8_S8_S8_S8_S8_S8_EEEEZZNS1_27merge_sort_block_merge_implIS3_NS6_6detail15normal_iteratorINS6_10device_ptrIjEEEENSD_INSE_IS9_EEEEjNS1_19radix_merge_compareILb0ELb1EjNS0_19identity_decomposerEEEEE10hipError_tT0_T1_T2_jT3_P12ihipStream_tbPNSt15iterator_traitsISN_E10value_typeEPNST_ISO_E10value_typeEPSP_NS1_7vsmem_tEENKUlT_SN_SO_SP_E_clISG_PjSI_PS9_EESM_S12_SN_SO_SP_EUlS12_E1_NS1_11comp_targetILNS1_3genE4ELNS1_11target_archE910ELNS1_3gpuE8ELNS1_3repE0EEENS1_36merge_oddeven_config_static_selectorELNS0_4arch9wavefront6targetE1EEEvSO_
	.p2align	8
	.type	_ZN7rocprim17ROCPRIM_400000_NS6detail17trampoline_kernelINS0_14default_configENS1_38merge_sort_block_merge_config_selectorIjN6thrust23THRUST_200600_302600_NS5tupleIffNS6_9null_typeES8_S8_S8_S8_S8_S8_S8_EEEEZZNS1_27merge_sort_block_merge_implIS3_NS6_6detail15normal_iteratorINS6_10device_ptrIjEEEENSD_INSE_IS9_EEEEjNS1_19radix_merge_compareILb0ELb1EjNS0_19identity_decomposerEEEEE10hipError_tT0_T1_T2_jT3_P12ihipStream_tbPNSt15iterator_traitsISN_E10value_typeEPNST_ISO_E10value_typeEPSP_NS1_7vsmem_tEENKUlT_SN_SO_SP_E_clISG_PjSI_PS9_EESM_S12_SN_SO_SP_EUlS12_E1_NS1_11comp_targetILNS1_3genE4ELNS1_11target_archE910ELNS1_3gpuE8ELNS1_3repE0EEENS1_36merge_oddeven_config_static_selectorELNS0_4arch9wavefront6targetE1EEEvSO_,@function
_ZN7rocprim17ROCPRIM_400000_NS6detail17trampoline_kernelINS0_14default_configENS1_38merge_sort_block_merge_config_selectorIjN6thrust23THRUST_200600_302600_NS5tupleIffNS6_9null_typeES8_S8_S8_S8_S8_S8_S8_EEEEZZNS1_27merge_sort_block_merge_implIS3_NS6_6detail15normal_iteratorINS6_10device_ptrIjEEEENSD_INSE_IS9_EEEEjNS1_19radix_merge_compareILb0ELb1EjNS0_19identity_decomposerEEEEE10hipError_tT0_T1_T2_jT3_P12ihipStream_tbPNSt15iterator_traitsISN_E10value_typeEPNST_ISO_E10value_typeEPSP_NS1_7vsmem_tEENKUlT_SN_SO_SP_E_clISG_PjSI_PS9_EESM_S12_SN_SO_SP_EUlS12_E1_NS1_11comp_targetILNS1_3genE4ELNS1_11target_archE910ELNS1_3gpuE8ELNS1_3repE0EEENS1_36merge_oddeven_config_static_selectorELNS0_4arch9wavefront6targetE1EEEvSO_: ; @_ZN7rocprim17ROCPRIM_400000_NS6detail17trampoline_kernelINS0_14default_configENS1_38merge_sort_block_merge_config_selectorIjN6thrust23THRUST_200600_302600_NS5tupleIffNS6_9null_typeES8_S8_S8_S8_S8_S8_S8_EEEEZZNS1_27merge_sort_block_merge_implIS3_NS6_6detail15normal_iteratorINS6_10device_ptrIjEEEENSD_INSE_IS9_EEEEjNS1_19radix_merge_compareILb0ELb1EjNS0_19identity_decomposerEEEEE10hipError_tT0_T1_T2_jT3_P12ihipStream_tbPNSt15iterator_traitsISN_E10value_typeEPNST_ISO_E10value_typeEPSP_NS1_7vsmem_tEENKUlT_SN_SO_SP_E_clISG_PjSI_PS9_EESM_S12_SN_SO_SP_EUlS12_E1_NS1_11comp_targetILNS1_3genE4ELNS1_11target_archE910ELNS1_3gpuE8ELNS1_3repE0EEENS1_36merge_oddeven_config_static_selectorELNS0_4arch9wavefront6targetE1EEEvSO_
; %bb.0:
	s_load_dword s18, s[4:5], 0x20
	s_lshl_b32 s16, s6, 8
	s_waitcnt lgkmcnt(0)
	s_lshr_b32 s0, s18, 8
	s_cmp_lg_u32 s6, s0
	s_cselect_b64 s[14:15], -1, 0
	s_cmp_eq_u32 s6, s0
	s_cselect_b64 s[12:13], -1, 0
	s_sub_i32 s0, s18, s16
	v_cmp_gt_u32_e64 s[2:3], s0, v0
	s_or_b64 s[0:1], s[14:15], s[2:3]
	s_and_saveexec_b64 s[8:9], s[0:1]
	s_cbranch_execz .LBB134_20
; %bb.1:
	s_load_dwordx4 s[8:11], s[4:5], 0x0
	s_load_dwordx2 s[0:1], s[4:5], 0x10
	s_mov_b32 s17, 0
	s_lshl_b64 s[20:21], s[16:17], 2
	v_lshlrev_b32_e32 v1, 2, v0
	s_waitcnt lgkmcnt(0)
	s_add_u32 s20, s8, s20
	s_addc_u32 s21, s9, s21
	s_lshl_b64 s[22:23], s[16:17], 3
	s_add_u32 s0, s0, s22
	s_addc_u32 s1, s1, s23
	v_lshlrev_b32_e32 v5, 3, v0
	global_load_dword v4, v1, s[20:21]
	global_load_dwordx2 v[2:3], v5, s[0:1]
	s_load_dword s19, s[4:5], 0x24
	v_add_u32_e32 v0, s16, v0
	s_waitcnt lgkmcnt(0)
	s_lshr_b32 s0, s19, 8
	s_sub_i32 s1, 0, s0
	s_and_b32 s1, s6, s1
	s_and_b32 s0, s1, s0
	s_lshl_b32 s20, s1, 8
	s_sub_i32 s17, 0, s19
	s_cmp_eq_u32 s0, 0
	s_cselect_b64 s[0:1], -1, 0
	s_and_b64 s[6:7], s[0:1], exec
	s_cselect_b32 s17, s19, s17
	s_add_i32 s17, s17, s20
	s_cmp_lt_u32 s17, s18
	s_cbranch_scc1 .LBB134_3
; %bb.2:
	v_cmp_gt_u32_e32 vcc, s18, v0
	s_or_b64 s[6:7], vcc, s[14:15]
	s_and_b64 s[6:7], s[6:7], exec
	s_cbranch_execz .LBB134_4
	s_branch .LBB134_18
.LBB134_3:
	s_mov_b64 s[6:7], 0
.LBB134_4:
	s_load_dword s14, s[4:5], 0x28
	s_min_u32 s15, s17, s18
	s_add_i32 s16, s15, s19
	s_min_u32 s16, s16, s18
	s_min_u32 s18, s20, s15
	s_add_i32 s20, s20, s15
	v_subrev_u32_e32 v0, s20, v0
	v_add_u32_e32 v5, s18, v0
	s_and_b64 vcc, exec, s[12:13]
	s_cbranch_vccz .LBB134_12
; %bb.5:
                                        ; implicit-def: $vgpr0
	s_and_saveexec_b64 s[12:13], s[2:3]
	s_cbranch_execz .LBB134_11
; %bb.6:
	s_cmp_ge_u32 s17, s16
	v_mov_b32_e32 v6, s15
	s_cbranch_scc1 .LBB134_10
; %bb.7:
	s_waitcnt vmcnt(1) lgkmcnt(0)
	v_and_b32_e32 v7, s14, v4
	s_mov_b64 s[2:3], 0
	v_mov_b32_e32 v8, s16
	v_mov_b32_e32 v6, s15
	;; [unrolled: 1-line block ×4, first 2 shown]
.LBB134_8:                              ; =>This Inner Loop Header: Depth=1
	v_add_u32_e32 v0, v6, v8
	v_lshrrev_b32_e32 v0, 1, v0
	v_lshlrev_b64 v[10:11], 2, v[0:1]
	v_add_co_u32_e32 v10, vcc, s8, v10
	v_addc_co_u32_e32 v11, vcc, v9, v11, vcc
	global_load_dword v10, v[10:11], off
	v_add_u32_e32 v11, 1, v0
	s_waitcnt vmcnt(0)
	v_and_b32_e32 v10, s14, v10
	v_cmp_gt_u32_e32 vcc, v7, v10
	v_cndmask_b32_e64 v12, 0, 1, vcc
	v_cmp_le_u32_e32 vcc, v10, v7
	v_cndmask_b32_e64 v10, 0, 1, vcc
	v_cndmask_b32_e64 v10, v10, v12, s[0:1]
	v_and_b32_e32 v10, 1, v10
	v_cmp_eq_u32_e32 vcc, 1, v10
	v_cndmask_b32_e32 v8, v0, v8, vcc
	v_cndmask_b32_e32 v6, v6, v11, vcc
	v_cmp_ge_u32_e32 vcc, v6, v8
	s_or_b64 s[2:3], vcc, s[2:3]
	s_andn2_b64 exec, exec, s[2:3]
	s_cbranch_execnz .LBB134_8
; %bb.9:
	s_or_b64 exec, exec, s[2:3]
.LBB134_10:
	v_add_u32_e32 v0, v6, v5
	s_or_b64 s[6:7], s[6:7], exec
.LBB134_11:
	s_or_b64 exec, exec, s[12:13]
	s_branch .LBB134_18
.LBB134_12:
                                        ; implicit-def: $vgpr0
	s_cbranch_execz .LBB134_18
; %bb.13:
	s_cmp_ge_u32 s17, s16
	v_mov_b32_e32 v6, s15
	s_cbranch_scc1 .LBB134_17
; %bb.14:
	s_waitcnt vmcnt(1) lgkmcnt(0)
	v_and_b32_e32 v7, s14, v4
	s_mov_b64 s[2:3], 0
	v_mov_b32_e32 v8, s16
	v_mov_b32_e32 v6, s15
	;; [unrolled: 1-line block ×4, first 2 shown]
.LBB134_15:                             ; =>This Inner Loop Header: Depth=1
	v_add_u32_e32 v0, v6, v8
	v_lshrrev_b32_e32 v0, 1, v0
	v_lshlrev_b64 v[10:11], 2, v[0:1]
	v_add_co_u32_e32 v10, vcc, s8, v10
	v_addc_co_u32_e32 v11, vcc, v9, v11, vcc
	global_load_dword v10, v[10:11], off
	v_add_u32_e32 v11, 1, v0
	s_waitcnt vmcnt(0)
	v_and_b32_e32 v10, s14, v10
	v_cmp_gt_u32_e32 vcc, v7, v10
	v_cndmask_b32_e64 v12, 0, 1, vcc
	v_cmp_le_u32_e32 vcc, v10, v7
	v_cndmask_b32_e64 v10, 0, 1, vcc
	v_cndmask_b32_e64 v10, v10, v12, s[0:1]
	v_and_b32_e32 v10, 1, v10
	v_cmp_eq_u32_e32 vcc, 1, v10
	v_cndmask_b32_e32 v8, v0, v8, vcc
	v_cndmask_b32_e32 v6, v6, v11, vcc
	v_cmp_ge_u32_e32 vcc, v6, v8
	s_or_b64 s[2:3], vcc, s[2:3]
	s_andn2_b64 exec, exec, s[2:3]
	s_cbranch_execnz .LBB134_15
; %bb.16:
	s_or_b64 exec, exec, s[2:3]
.LBB134_17:
	v_add_u32_e32 v0, v6, v5
	s_mov_b64 s[6:7], -1
.LBB134_18:
	s_and_b64 exec, exec, s[6:7]
	s_cbranch_execz .LBB134_20
; %bb.19:
	s_load_dwordx2 s[0:1], s[4:5], 0x18
	v_mov_b32_e32 v1, 0
	v_lshlrev_b64 v[6:7], 2, v[0:1]
	v_mov_b32_e32 v5, s11
	v_add_co_u32_e32 v6, vcc, s10, v6
	v_addc_co_u32_e32 v7, vcc, v5, v7, vcc
	v_lshlrev_b64 v[0:1], 3, v[0:1]
	s_waitcnt vmcnt(1)
	global_store_dword v[6:7], v4, off
	s_waitcnt lgkmcnt(0)
	v_mov_b32_e32 v4, s1
	v_add_co_u32_e32 v0, vcc, s0, v0
	v_addc_co_u32_e32 v1, vcc, v4, v1, vcc
	s_waitcnt vmcnt(1)
	global_store_dwordx2 v[0:1], v[2:3], off
.LBB134_20:
	s_endpgm
	.section	.rodata,"a",@progbits
	.p2align	6, 0x0
	.amdhsa_kernel _ZN7rocprim17ROCPRIM_400000_NS6detail17trampoline_kernelINS0_14default_configENS1_38merge_sort_block_merge_config_selectorIjN6thrust23THRUST_200600_302600_NS5tupleIffNS6_9null_typeES8_S8_S8_S8_S8_S8_S8_EEEEZZNS1_27merge_sort_block_merge_implIS3_NS6_6detail15normal_iteratorINS6_10device_ptrIjEEEENSD_INSE_IS9_EEEEjNS1_19radix_merge_compareILb0ELb1EjNS0_19identity_decomposerEEEEE10hipError_tT0_T1_T2_jT3_P12ihipStream_tbPNSt15iterator_traitsISN_E10value_typeEPNST_ISO_E10value_typeEPSP_NS1_7vsmem_tEENKUlT_SN_SO_SP_E_clISG_PjSI_PS9_EESM_S12_SN_SO_SP_EUlS12_E1_NS1_11comp_targetILNS1_3genE4ELNS1_11target_archE910ELNS1_3gpuE8ELNS1_3repE0EEENS1_36merge_oddeven_config_static_selectorELNS0_4arch9wavefront6targetE1EEEvSO_
		.amdhsa_group_segment_fixed_size 0
		.amdhsa_private_segment_fixed_size 0
		.amdhsa_kernarg_size 48
		.amdhsa_user_sgpr_count 6
		.amdhsa_user_sgpr_private_segment_buffer 1
		.amdhsa_user_sgpr_dispatch_ptr 0
		.amdhsa_user_sgpr_queue_ptr 0
		.amdhsa_user_sgpr_kernarg_segment_ptr 1
		.amdhsa_user_sgpr_dispatch_id 0
		.amdhsa_user_sgpr_flat_scratch_init 0
		.amdhsa_user_sgpr_kernarg_preload_length 0
		.amdhsa_user_sgpr_kernarg_preload_offset 0
		.amdhsa_user_sgpr_private_segment_size 0
		.amdhsa_uses_dynamic_stack 0
		.amdhsa_system_sgpr_private_segment_wavefront_offset 0
		.amdhsa_system_sgpr_workgroup_id_x 1
		.amdhsa_system_sgpr_workgroup_id_y 0
		.amdhsa_system_sgpr_workgroup_id_z 0
		.amdhsa_system_sgpr_workgroup_info 0
		.amdhsa_system_vgpr_workitem_id 0
		.amdhsa_next_free_vgpr 13
		.amdhsa_next_free_sgpr 24
		.amdhsa_accum_offset 16
		.amdhsa_reserve_vcc 1
		.amdhsa_reserve_flat_scratch 0
		.amdhsa_float_round_mode_32 0
		.amdhsa_float_round_mode_16_64 0
		.amdhsa_float_denorm_mode_32 3
		.amdhsa_float_denorm_mode_16_64 3
		.amdhsa_dx10_clamp 1
		.amdhsa_ieee_mode 1
		.amdhsa_fp16_overflow 0
		.amdhsa_tg_split 0
		.amdhsa_exception_fp_ieee_invalid_op 0
		.amdhsa_exception_fp_denorm_src 0
		.amdhsa_exception_fp_ieee_div_zero 0
		.amdhsa_exception_fp_ieee_overflow 0
		.amdhsa_exception_fp_ieee_underflow 0
		.amdhsa_exception_fp_ieee_inexact 0
		.amdhsa_exception_int_div_zero 0
	.end_amdhsa_kernel
	.section	.text._ZN7rocprim17ROCPRIM_400000_NS6detail17trampoline_kernelINS0_14default_configENS1_38merge_sort_block_merge_config_selectorIjN6thrust23THRUST_200600_302600_NS5tupleIffNS6_9null_typeES8_S8_S8_S8_S8_S8_S8_EEEEZZNS1_27merge_sort_block_merge_implIS3_NS6_6detail15normal_iteratorINS6_10device_ptrIjEEEENSD_INSE_IS9_EEEEjNS1_19radix_merge_compareILb0ELb1EjNS0_19identity_decomposerEEEEE10hipError_tT0_T1_T2_jT3_P12ihipStream_tbPNSt15iterator_traitsISN_E10value_typeEPNST_ISO_E10value_typeEPSP_NS1_7vsmem_tEENKUlT_SN_SO_SP_E_clISG_PjSI_PS9_EESM_S12_SN_SO_SP_EUlS12_E1_NS1_11comp_targetILNS1_3genE4ELNS1_11target_archE910ELNS1_3gpuE8ELNS1_3repE0EEENS1_36merge_oddeven_config_static_selectorELNS0_4arch9wavefront6targetE1EEEvSO_,"axG",@progbits,_ZN7rocprim17ROCPRIM_400000_NS6detail17trampoline_kernelINS0_14default_configENS1_38merge_sort_block_merge_config_selectorIjN6thrust23THRUST_200600_302600_NS5tupleIffNS6_9null_typeES8_S8_S8_S8_S8_S8_S8_EEEEZZNS1_27merge_sort_block_merge_implIS3_NS6_6detail15normal_iteratorINS6_10device_ptrIjEEEENSD_INSE_IS9_EEEEjNS1_19radix_merge_compareILb0ELb1EjNS0_19identity_decomposerEEEEE10hipError_tT0_T1_T2_jT3_P12ihipStream_tbPNSt15iterator_traitsISN_E10value_typeEPNST_ISO_E10value_typeEPSP_NS1_7vsmem_tEENKUlT_SN_SO_SP_E_clISG_PjSI_PS9_EESM_S12_SN_SO_SP_EUlS12_E1_NS1_11comp_targetILNS1_3genE4ELNS1_11target_archE910ELNS1_3gpuE8ELNS1_3repE0EEENS1_36merge_oddeven_config_static_selectorELNS0_4arch9wavefront6targetE1EEEvSO_,comdat
.Lfunc_end134:
	.size	_ZN7rocprim17ROCPRIM_400000_NS6detail17trampoline_kernelINS0_14default_configENS1_38merge_sort_block_merge_config_selectorIjN6thrust23THRUST_200600_302600_NS5tupleIffNS6_9null_typeES8_S8_S8_S8_S8_S8_S8_EEEEZZNS1_27merge_sort_block_merge_implIS3_NS6_6detail15normal_iteratorINS6_10device_ptrIjEEEENSD_INSE_IS9_EEEEjNS1_19radix_merge_compareILb0ELb1EjNS0_19identity_decomposerEEEEE10hipError_tT0_T1_T2_jT3_P12ihipStream_tbPNSt15iterator_traitsISN_E10value_typeEPNST_ISO_E10value_typeEPSP_NS1_7vsmem_tEENKUlT_SN_SO_SP_E_clISG_PjSI_PS9_EESM_S12_SN_SO_SP_EUlS12_E1_NS1_11comp_targetILNS1_3genE4ELNS1_11target_archE910ELNS1_3gpuE8ELNS1_3repE0EEENS1_36merge_oddeven_config_static_selectorELNS0_4arch9wavefront6targetE1EEEvSO_, .Lfunc_end134-_ZN7rocprim17ROCPRIM_400000_NS6detail17trampoline_kernelINS0_14default_configENS1_38merge_sort_block_merge_config_selectorIjN6thrust23THRUST_200600_302600_NS5tupleIffNS6_9null_typeES8_S8_S8_S8_S8_S8_S8_EEEEZZNS1_27merge_sort_block_merge_implIS3_NS6_6detail15normal_iteratorINS6_10device_ptrIjEEEENSD_INSE_IS9_EEEEjNS1_19radix_merge_compareILb0ELb1EjNS0_19identity_decomposerEEEEE10hipError_tT0_T1_T2_jT3_P12ihipStream_tbPNSt15iterator_traitsISN_E10value_typeEPNST_ISO_E10value_typeEPSP_NS1_7vsmem_tEENKUlT_SN_SO_SP_E_clISG_PjSI_PS9_EESM_S12_SN_SO_SP_EUlS12_E1_NS1_11comp_targetILNS1_3genE4ELNS1_11target_archE910ELNS1_3gpuE8ELNS1_3repE0EEENS1_36merge_oddeven_config_static_selectorELNS0_4arch9wavefront6targetE1EEEvSO_
                                        ; -- End function
	.section	.AMDGPU.csdata,"",@progbits
; Kernel info:
; codeLenInByte = 700
; NumSgprs: 28
; NumVgprs: 13
; NumAgprs: 0
; TotalNumVgprs: 13
; ScratchSize: 0
; MemoryBound: 0
; FloatMode: 240
; IeeeMode: 1
; LDSByteSize: 0 bytes/workgroup (compile time only)
; SGPRBlocks: 3
; VGPRBlocks: 1
; NumSGPRsForWavesPerEU: 28
; NumVGPRsForWavesPerEU: 13
; AccumOffset: 16
; Occupancy: 8
; WaveLimiterHint : 0
; COMPUTE_PGM_RSRC2:SCRATCH_EN: 0
; COMPUTE_PGM_RSRC2:USER_SGPR: 6
; COMPUTE_PGM_RSRC2:TRAP_HANDLER: 0
; COMPUTE_PGM_RSRC2:TGID_X_EN: 1
; COMPUTE_PGM_RSRC2:TGID_Y_EN: 0
; COMPUTE_PGM_RSRC2:TGID_Z_EN: 0
; COMPUTE_PGM_RSRC2:TIDIG_COMP_CNT: 0
; COMPUTE_PGM_RSRC3_GFX90A:ACCUM_OFFSET: 3
; COMPUTE_PGM_RSRC3_GFX90A:TG_SPLIT: 0
	.section	.text._ZN7rocprim17ROCPRIM_400000_NS6detail17trampoline_kernelINS0_14default_configENS1_38merge_sort_block_merge_config_selectorIjN6thrust23THRUST_200600_302600_NS5tupleIffNS6_9null_typeES8_S8_S8_S8_S8_S8_S8_EEEEZZNS1_27merge_sort_block_merge_implIS3_NS6_6detail15normal_iteratorINS6_10device_ptrIjEEEENSD_INSE_IS9_EEEEjNS1_19radix_merge_compareILb0ELb1EjNS0_19identity_decomposerEEEEE10hipError_tT0_T1_T2_jT3_P12ihipStream_tbPNSt15iterator_traitsISN_E10value_typeEPNST_ISO_E10value_typeEPSP_NS1_7vsmem_tEENKUlT_SN_SO_SP_E_clISG_PjSI_PS9_EESM_S12_SN_SO_SP_EUlS12_E1_NS1_11comp_targetILNS1_3genE3ELNS1_11target_archE908ELNS1_3gpuE7ELNS1_3repE0EEENS1_36merge_oddeven_config_static_selectorELNS0_4arch9wavefront6targetE1EEEvSO_,"axG",@progbits,_ZN7rocprim17ROCPRIM_400000_NS6detail17trampoline_kernelINS0_14default_configENS1_38merge_sort_block_merge_config_selectorIjN6thrust23THRUST_200600_302600_NS5tupleIffNS6_9null_typeES8_S8_S8_S8_S8_S8_S8_EEEEZZNS1_27merge_sort_block_merge_implIS3_NS6_6detail15normal_iteratorINS6_10device_ptrIjEEEENSD_INSE_IS9_EEEEjNS1_19radix_merge_compareILb0ELb1EjNS0_19identity_decomposerEEEEE10hipError_tT0_T1_T2_jT3_P12ihipStream_tbPNSt15iterator_traitsISN_E10value_typeEPNST_ISO_E10value_typeEPSP_NS1_7vsmem_tEENKUlT_SN_SO_SP_E_clISG_PjSI_PS9_EESM_S12_SN_SO_SP_EUlS12_E1_NS1_11comp_targetILNS1_3genE3ELNS1_11target_archE908ELNS1_3gpuE7ELNS1_3repE0EEENS1_36merge_oddeven_config_static_selectorELNS0_4arch9wavefront6targetE1EEEvSO_,comdat
	.protected	_ZN7rocprim17ROCPRIM_400000_NS6detail17trampoline_kernelINS0_14default_configENS1_38merge_sort_block_merge_config_selectorIjN6thrust23THRUST_200600_302600_NS5tupleIffNS6_9null_typeES8_S8_S8_S8_S8_S8_S8_EEEEZZNS1_27merge_sort_block_merge_implIS3_NS6_6detail15normal_iteratorINS6_10device_ptrIjEEEENSD_INSE_IS9_EEEEjNS1_19radix_merge_compareILb0ELb1EjNS0_19identity_decomposerEEEEE10hipError_tT0_T1_T2_jT3_P12ihipStream_tbPNSt15iterator_traitsISN_E10value_typeEPNST_ISO_E10value_typeEPSP_NS1_7vsmem_tEENKUlT_SN_SO_SP_E_clISG_PjSI_PS9_EESM_S12_SN_SO_SP_EUlS12_E1_NS1_11comp_targetILNS1_3genE3ELNS1_11target_archE908ELNS1_3gpuE7ELNS1_3repE0EEENS1_36merge_oddeven_config_static_selectorELNS0_4arch9wavefront6targetE1EEEvSO_ ; -- Begin function _ZN7rocprim17ROCPRIM_400000_NS6detail17trampoline_kernelINS0_14default_configENS1_38merge_sort_block_merge_config_selectorIjN6thrust23THRUST_200600_302600_NS5tupleIffNS6_9null_typeES8_S8_S8_S8_S8_S8_S8_EEEEZZNS1_27merge_sort_block_merge_implIS3_NS6_6detail15normal_iteratorINS6_10device_ptrIjEEEENSD_INSE_IS9_EEEEjNS1_19radix_merge_compareILb0ELb1EjNS0_19identity_decomposerEEEEE10hipError_tT0_T1_T2_jT3_P12ihipStream_tbPNSt15iterator_traitsISN_E10value_typeEPNST_ISO_E10value_typeEPSP_NS1_7vsmem_tEENKUlT_SN_SO_SP_E_clISG_PjSI_PS9_EESM_S12_SN_SO_SP_EUlS12_E1_NS1_11comp_targetILNS1_3genE3ELNS1_11target_archE908ELNS1_3gpuE7ELNS1_3repE0EEENS1_36merge_oddeven_config_static_selectorELNS0_4arch9wavefront6targetE1EEEvSO_
	.globl	_ZN7rocprim17ROCPRIM_400000_NS6detail17trampoline_kernelINS0_14default_configENS1_38merge_sort_block_merge_config_selectorIjN6thrust23THRUST_200600_302600_NS5tupleIffNS6_9null_typeES8_S8_S8_S8_S8_S8_S8_EEEEZZNS1_27merge_sort_block_merge_implIS3_NS6_6detail15normal_iteratorINS6_10device_ptrIjEEEENSD_INSE_IS9_EEEEjNS1_19radix_merge_compareILb0ELb1EjNS0_19identity_decomposerEEEEE10hipError_tT0_T1_T2_jT3_P12ihipStream_tbPNSt15iterator_traitsISN_E10value_typeEPNST_ISO_E10value_typeEPSP_NS1_7vsmem_tEENKUlT_SN_SO_SP_E_clISG_PjSI_PS9_EESM_S12_SN_SO_SP_EUlS12_E1_NS1_11comp_targetILNS1_3genE3ELNS1_11target_archE908ELNS1_3gpuE7ELNS1_3repE0EEENS1_36merge_oddeven_config_static_selectorELNS0_4arch9wavefront6targetE1EEEvSO_
	.p2align	8
	.type	_ZN7rocprim17ROCPRIM_400000_NS6detail17trampoline_kernelINS0_14default_configENS1_38merge_sort_block_merge_config_selectorIjN6thrust23THRUST_200600_302600_NS5tupleIffNS6_9null_typeES8_S8_S8_S8_S8_S8_S8_EEEEZZNS1_27merge_sort_block_merge_implIS3_NS6_6detail15normal_iteratorINS6_10device_ptrIjEEEENSD_INSE_IS9_EEEEjNS1_19radix_merge_compareILb0ELb1EjNS0_19identity_decomposerEEEEE10hipError_tT0_T1_T2_jT3_P12ihipStream_tbPNSt15iterator_traitsISN_E10value_typeEPNST_ISO_E10value_typeEPSP_NS1_7vsmem_tEENKUlT_SN_SO_SP_E_clISG_PjSI_PS9_EESM_S12_SN_SO_SP_EUlS12_E1_NS1_11comp_targetILNS1_3genE3ELNS1_11target_archE908ELNS1_3gpuE7ELNS1_3repE0EEENS1_36merge_oddeven_config_static_selectorELNS0_4arch9wavefront6targetE1EEEvSO_,@function
_ZN7rocprim17ROCPRIM_400000_NS6detail17trampoline_kernelINS0_14default_configENS1_38merge_sort_block_merge_config_selectorIjN6thrust23THRUST_200600_302600_NS5tupleIffNS6_9null_typeES8_S8_S8_S8_S8_S8_S8_EEEEZZNS1_27merge_sort_block_merge_implIS3_NS6_6detail15normal_iteratorINS6_10device_ptrIjEEEENSD_INSE_IS9_EEEEjNS1_19radix_merge_compareILb0ELb1EjNS0_19identity_decomposerEEEEE10hipError_tT0_T1_T2_jT3_P12ihipStream_tbPNSt15iterator_traitsISN_E10value_typeEPNST_ISO_E10value_typeEPSP_NS1_7vsmem_tEENKUlT_SN_SO_SP_E_clISG_PjSI_PS9_EESM_S12_SN_SO_SP_EUlS12_E1_NS1_11comp_targetILNS1_3genE3ELNS1_11target_archE908ELNS1_3gpuE7ELNS1_3repE0EEENS1_36merge_oddeven_config_static_selectorELNS0_4arch9wavefront6targetE1EEEvSO_: ; @_ZN7rocprim17ROCPRIM_400000_NS6detail17trampoline_kernelINS0_14default_configENS1_38merge_sort_block_merge_config_selectorIjN6thrust23THRUST_200600_302600_NS5tupleIffNS6_9null_typeES8_S8_S8_S8_S8_S8_S8_EEEEZZNS1_27merge_sort_block_merge_implIS3_NS6_6detail15normal_iteratorINS6_10device_ptrIjEEEENSD_INSE_IS9_EEEEjNS1_19radix_merge_compareILb0ELb1EjNS0_19identity_decomposerEEEEE10hipError_tT0_T1_T2_jT3_P12ihipStream_tbPNSt15iterator_traitsISN_E10value_typeEPNST_ISO_E10value_typeEPSP_NS1_7vsmem_tEENKUlT_SN_SO_SP_E_clISG_PjSI_PS9_EESM_S12_SN_SO_SP_EUlS12_E1_NS1_11comp_targetILNS1_3genE3ELNS1_11target_archE908ELNS1_3gpuE7ELNS1_3repE0EEENS1_36merge_oddeven_config_static_selectorELNS0_4arch9wavefront6targetE1EEEvSO_
; %bb.0:
	.section	.rodata,"a",@progbits
	.p2align	6, 0x0
	.amdhsa_kernel _ZN7rocprim17ROCPRIM_400000_NS6detail17trampoline_kernelINS0_14default_configENS1_38merge_sort_block_merge_config_selectorIjN6thrust23THRUST_200600_302600_NS5tupleIffNS6_9null_typeES8_S8_S8_S8_S8_S8_S8_EEEEZZNS1_27merge_sort_block_merge_implIS3_NS6_6detail15normal_iteratorINS6_10device_ptrIjEEEENSD_INSE_IS9_EEEEjNS1_19radix_merge_compareILb0ELb1EjNS0_19identity_decomposerEEEEE10hipError_tT0_T1_T2_jT3_P12ihipStream_tbPNSt15iterator_traitsISN_E10value_typeEPNST_ISO_E10value_typeEPSP_NS1_7vsmem_tEENKUlT_SN_SO_SP_E_clISG_PjSI_PS9_EESM_S12_SN_SO_SP_EUlS12_E1_NS1_11comp_targetILNS1_3genE3ELNS1_11target_archE908ELNS1_3gpuE7ELNS1_3repE0EEENS1_36merge_oddeven_config_static_selectorELNS0_4arch9wavefront6targetE1EEEvSO_
		.amdhsa_group_segment_fixed_size 0
		.amdhsa_private_segment_fixed_size 0
		.amdhsa_kernarg_size 48
		.amdhsa_user_sgpr_count 6
		.amdhsa_user_sgpr_private_segment_buffer 1
		.amdhsa_user_sgpr_dispatch_ptr 0
		.amdhsa_user_sgpr_queue_ptr 0
		.amdhsa_user_sgpr_kernarg_segment_ptr 1
		.amdhsa_user_sgpr_dispatch_id 0
		.amdhsa_user_sgpr_flat_scratch_init 0
		.amdhsa_user_sgpr_kernarg_preload_length 0
		.amdhsa_user_sgpr_kernarg_preload_offset 0
		.amdhsa_user_sgpr_private_segment_size 0
		.amdhsa_uses_dynamic_stack 0
		.amdhsa_system_sgpr_private_segment_wavefront_offset 0
		.amdhsa_system_sgpr_workgroup_id_x 1
		.amdhsa_system_sgpr_workgroup_id_y 0
		.amdhsa_system_sgpr_workgroup_id_z 0
		.amdhsa_system_sgpr_workgroup_info 0
		.amdhsa_system_vgpr_workitem_id 0
		.amdhsa_next_free_vgpr 1
		.amdhsa_next_free_sgpr 0
		.amdhsa_accum_offset 4
		.amdhsa_reserve_vcc 0
		.amdhsa_reserve_flat_scratch 0
		.amdhsa_float_round_mode_32 0
		.amdhsa_float_round_mode_16_64 0
		.amdhsa_float_denorm_mode_32 3
		.amdhsa_float_denorm_mode_16_64 3
		.amdhsa_dx10_clamp 1
		.amdhsa_ieee_mode 1
		.amdhsa_fp16_overflow 0
		.amdhsa_tg_split 0
		.amdhsa_exception_fp_ieee_invalid_op 0
		.amdhsa_exception_fp_denorm_src 0
		.amdhsa_exception_fp_ieee_div_zero 0
		.amdhsa_exception_fp_ieee_overflow 0
		.amdhsa_exception_fp_ieee_underflow 0
		.amdhsa_exception_fp_ieee_inexact 0
		.amdhsa_exception_int_div_zero 0
	.end_amdhsa_kernel
	.section	.text._ZN7rocprim17ROCPRIM_400000_NS6detail17trampoline_kernelINS0_14default_configENS1_38merge_sort_block_merge_config_selectorIjN6thrust23THRUST_200600_302600_NS5tupleIffNS6_9null_typeES8_S8_S8_S8_S8_S8_S8_EEEEZZNS1_27merge_sort_block_merge_implIS3_NS6_6detail15normal_iteratorINS6_10device_ptrIjEEEENSD_INSE_IS9_EEEEjNS1_19radix_merge_compareILb0ELb1EjNS0_19identity_decomposerEEEEE10hipError_tT0_T1_T2_jT3_P12ihipStream_tbPNSt15iterator_traitsISN_E10value_typeEPNST_ISO_E10value_typeEPSP_NS1_7vsmem_tEENKUlT_SN_SO_SP_E_clISG_PjSI_PS9_EESM_S12_SN_SO_SP_EUlS12_E1_NS1_11comp_targetILNS1_3genE3ELNS1_11target_archE908ELNS1_3gpuE7ELNS1_3repE0EEENS1_36merge_oddeven_config_static_selectorELNS0_4arch9wavefront6targetE1EEEvSO_,"axG",@progbits,_ZN7rocprim17ROCPRIM_400000_NS6detail17trampoline_kernelINS0_14default_configENS1_38merge_sort_block_merge_config_selectorIjN6thrust23THRUST_200600_302600_NS5tupleIffNS6_9null_typeES8_S8_S8_S8_S8_S8_S8_EEEEZZNS1_27merge_sort_block_merge_implIS3_NS6_6detail15normal_iteratorINS6_10device_ptrIjEEEENSD_INSE_IS9_EEEEjNS1_19radix_merge_compareILb0ELb1EjNS0_19identity_decomposerEEEEE10hipError_tT0_T1_T2_jT3_P12ihipStream_tbPNSt15iterator_traitsISN_E10value_typeEPNST_ISO_E10value_typeEPSP_NS1_7vsmem_tEENKUlT_SN_SO_SP_E_clISG_PjSI_PS9_EESM_S12_SN_SO_SP_EUlS12_E1_NS1_11comp_targetILNS1_3genE3ELNS1_11target_archE908ELNS1_3gpuE7ELNS1_3repE0EEENS1_36merge_oddeven_config_static_selectorELNS0_4arch9wavefront6targetE1EEEvSO_,comdat
.Lfunc_end135:
	.size	_ZN7rocprim17ROCPRIM_400000_NS6detail17trampoline_kernelINS0_14default_configENS1_38merge_sort_block_merge_config_selectorIjN6thrust23THRUST_200600_302600_NS5tupleIffNS6_9null_typeES8_S8_S8_S8_S8_S8_S8_EEEEZZNS1_27merge_sort_block_merge_implIS3_NS6_6detail15normal_iteratorINS6_10device_ptrIjEEEENSD_INSE_IS9_EEEEjNS1_19radix_merge_compareILb0ELb1EjNS0_19identity_decomposerEEEEE10hipError_tT0_T1_T2_jT3_P12ihipStream_tbPNSt15iterator_traitsISN_E10value_typeEPNST_ISO_E10value_typeEPSP_NS1_7vsmem_tEENKUlT_SN_SO_SP_E_clISG_PjSI_PS9_EESM_S12_SN_SO_SP_EUlS12_E1_NS1_11comp_targetILNS1_3genE3ELNS1_11target_archE908ELNS1_3gpuE7ELNS1_3repE0EEENS1_36merge_oddeven_config_static_selectorELNS0_4arch9wavefront6targetE1EEEvSO_, .Lfunc_end135-_ZN7rocprim17ROCPRIM_400000_NS6detail17trampoline_kernelINS0_14default_configENS1_38merge_sort_block_merge_config_selectorIjN6thrust23THRUST_200600_302600_NS5tupleIffNS6_9null_typeES8_S8_S8_S8_S8_S8_S8_EEEEZZNS1_27merge_sort_block_merge_implIS3_NS6_6detail15normal_iteratorINS6_10device_ptrIjEEEENSD_INSE_IS9_EEEEjNS1_19radix_merge_compareILb0ELb1EjNS0_19identity_decomposerEEEEE10hipError_tT0_T1_T2_jT3_P12ihipStream_tbPNSt15iterator_traitsISN_E10value_typeEPNST_ISO_E10value_typeEPSP_NS1_7vsmem_tEENKUlT_SN_SO_SP_E_clISG_PjSI_PS9_EESM_S12_SN_SO_SP_EUlS12_E1_NS1_11comp_targetILNS1_3genE3ELNS1_11target_archE908ELNS1_3gpuE7ELNS1_3repE0EEENS1_36merge_oddeven_config_static_selectorELNS0_4arch9wavefront6targetE1EEEvSO_
                                        ; -- End function
	.section	.AMDGPU.csdata,"",@progbits
; Kernel info:
; codeLenInByte = 0
; NumSgprs: 4
; NumVgprs: 0
; NumAgprs: 0
; TotalNumVgprs: 0
; ScratchSize: 0
; MemoryBound: 0
; FloatMode: 240
; IeeeMode: 1
; LDSByteSize: 0 bytes/workgroup (compile time only)
; SGPRBlocks: 0
; VGPRBlocks: 0
; NumSGPRsForWavesPerEU: 4
; NumVGPRsForWavesPerEU: 1
; AccumOffset: 4
; Occupancy: 8
; WaveLimiterHint : 0
; COMPUTE_PGM_RSRC2:SCRATCH_EN: 0
; COMPUTE_PGM_RSRC2:USER_SGPR: 6
; COMPUTE_PGM_RSRC2:TRAP_HANDLER: 0
; COMPUTE_PGM_RSRC2:TGID_X_EN: 1
; COMPUTE_PGM_RSRC2:TGID_Y_EN: 0
; COMPUTE_PGM_RSRC2:TGID_Z_EN: 0
; COMPUTE_PGM_RSRC2:TIDIG_COMP_CNT: 0
; COMPUTE_PGM_RSRC3_GFX90A:ACCUM_OFFSET: 0
; COMPUTE_PGM_RSRC3_GFX90A:TG_SPLIT: 0
	.section	.text._ZN7rocprim17ROCPRIM_400000_NS6detail17trampoline_kernelINS0_14default_configENS1_38merge_sort_block_merge_config_selectorIjN6thrust23THRUST_200600_302600_NS5tupleIffNS6_9null_typeES8_S8_S8_S8_S8_S8_S8_EEEEZZNS1_27merge_sort_block_merge_implIS3_NS6_6detail15normal_iteratorINS6_10device_ptrIjEEEENSD_INSE_IS9_EEEEjNS1_19radix_merge_compareILb0ELb1EjNS0_19identity_decomposerEEEEE10hipError_tT0_T1_T2_jT3_P12ihipStream_tbPNSt15iterator_traitsISN_E10value_typeEPNST_ISO_E10value_typeEPSP_NS1_7vsmem_tEENKUlT_SN_SO_SP_E_clISG_PjSI_PS9_EESM_S12_SN_SO_SP_EUlS12_E1_NS1_11comp_targetILNS1_3genE2ELNS1_11target_archE906ELNS1_3gpuE6ELNS1_3repE0EEENS1_36merge_oddeven_config_static_selectorELNS0_4arch9wavefront6targetE1EEEvSO_,"axG",@progbits,_ZN7rocprim17ROCPRIM_400000_NS6detail17trampoline_kernelINS0_14default_configENS1_38merge_sort_block_merge_config_selectorIjN6thrust23THRUST_200600_302600_NS5tupleIffNS6_9null_typeES8_S8_S8_S8_S8_S8_S8_EEEEZZNS1_27merge_sort_block_merge_implIS3_NS6_6detail15normal_iteratorINS6_10device_ptrIjEEEENSD_INSE_IS9_EEEEjNS1_19radix_merge_compareILb0ELb1EjNS0_19identity_decomposerEEEEE10hipError_tT0_T1_T2_jT3_P12ihipStream_tbPNSt15iterator_traitsISN_E10value_typeEPNST_ISO_E10value_typeEPSP_NS1_7vsmem_tEENKUlT_SN_SO_SP_E_clISG_PjSI_PS9_EESM_S12_SN_SO_SP_EUlS12_E1_NS1_11comp_targetILNS1_3genE2ELNS1_11target_archE906ELNS1_3gpuE6ELNS1_3repE0EEENS1_36merge_oddeven_config_static_selectorELNS0_4arch9wavefront6targetE1EEEvSO_,comdat
	.protected	_ZN7rocprim17ROCPRIM_400000_NS6detail17trampoline_kernelINS0_14default_configENS1_38merge_sort_block_merge_config_selectorIjN6thrust23THRUST_200600_302600_NS5tupleIffNS6_9null_typeES8_S8_S8_S8_S8_S8_S8_EEEEZZNS1_27merge_sort_block_merge_implIS3_NS6_6detail15normal_iteratorINS6_10device_ptrIjEEEENSD_INSE_IS9_EEEEjNS1_19radix_merge_compareILb0ELb1EjNS0_19identity_decomposerEEEEE10hipError_tT0_T1_T2_jT3_P12ihipStream_tbPNSt15iterator_traitsISN_E10value_typeEPNST_ISO_E10value_typeEPSP_NS1_7vsmem_tEENKUlT_SN_SO_SP_E_clISG_PjSI_PS9_EESM_S12_SN_SO_SP_EUlS12_E1_NS1_11comp_targetILNS1_3genE2ELNS1_11target_archE906ELNS1_3gpuE6ELNS1_3repE0EEENS1_36merge_oddeven_config_static_selectorELNS0_4arch9wavefront6targetE1EEEvSO_ ; -- Begin function _ZN7rocprim17ROCPRIM_400000_NS6detail17trampoline_kernelINS0_14default_configENS1_38merge_sort_block_merge_config_selectorIjN6thrust23THRUST_200600_302600_NS5tupleIffNS6_9null_typeES8_S8_S8_S8_S8_S8_S8_EEEEZZNS1_27merge_sort_block_merge_implIS3_NS6_6detail15normal_iteratorINS6_10device_ptrIjEEEENSD_INSE_IS9_EEEEjNS1_19radix_merge_compareILb0ELb1EjNS0_19identity_decomposerEEEEE10hipError_tT0_T1_T2_jT3_P12ihipStream_tbPNSt15iterator_traitsISN_E10value_typeEPNST_ISO_E10value_typeEPSP_NS1_7vsmem_tEENKUlT_SN_SO_SP_E_clISG_PjSI_PS9_EESM_S12_SN_SO_SP_EUlS12_E1_NS1_11comp_targetILNS1_3genE2ELNS1_11target_archE906ELNS1_3gpuE6ELNS1_3repE0EEENS1_36merge_oddeven_config_static_selectorELNS0_4arch9wavefront6targetE1EEEvSO_
	.globl	_ZN7rocprim17ROCPRIM_400000_NS6detail17trampoline_kernelINS0_14default_configENS1_38merge_sort_block_merge_config_selectorIjN6thrust23THRUST_200600_302600_NS5tupleIffNS6_9null_typeES8_S8_S8_S8_S8_S8_S8_EEEEZZNS1_27merge_sort_block_merge_implIS3_NS6_6detail15normal_iteratorINS6_10device_ptrIjEEEENSD_INSE_IS9_EEEEjNS1_19radix_merge_compareILb0ELb1EjNS0_19identity_decomposerEEEEE10hipError_tT0_T1_T2_jT3_P12ihipStream_tbPNSt15iterator_traitsISN_E10value_typeEPNST_ISO_E10value_typeEPSP_NS1_7vsmem_tEENKUlT_SN_SO_SP_E_clISG_PjSI_PS9_EESM_S12_SN_SO_SP_EUlS12_E1_NS1_11comp_targetILNS1_3genE2ELNS1_11target_archE906ELNS1_3gpuE6ELNS1_3repE0EEENS1_36merge_oddeven_config_static_selectorELNS0_4arch9wavefront6targetE1EEEvSO_
	.p2align	8
	.type	_ZN7rocprim17ROCPRIM_400000_NS6detail17trampoline_kernelINS0_14default_configENS1_38merge_sort_block_merge_config_selectorIjN6thrust23THRUST_200600_302600_NS5tupleIffNS6_9null_typeES8_S8_S8_S8_S8_S8_S8_EEEEZZNS1_27merge_sort_block_merge_implIS3_NS6_6detail15normal_iteratorINS6_10device_ptrIjEEEENSD_INSE_IS9_EEEEjNS1_19radix_merge_compareILb0ELb1EjNS0_19identity_decomposerEEEEE10hipError_tT0_T1_T2_jT3_P12ihipStream_tbPNSt15iterator_traitsISN_E10value_typeEPNST_ISO_E10value_typeEPSP_NS1_7vsmem_tEENKUlT_SN_SO_SP_E_clISG_PjSI_PS9_EESM_S12_SN_SO_SP_EUlS12_E1_NS1_11comp_targetILNS1_3genE2ELNS1_11target_archE906ELNS1_3gpuE6ELNS1_3repE0EEENS1_36merge_oddeven_config_static_selectorELNS0_4arch9wavefront6targetE1EEEvSO_,@function
_ZN7rocprim17ROCPRIM_400000_NS6detail17trampoline_kernelINS0_14default_configENS1_38merge_sort_block_merge_config_selectorIjN6thrust23THRUST_200600_302600_NS5tupleIffNS6_9null_typeES8_S8_S8_S8_S8_S8_S8_EEEEZZNS1_27merge_sort_block_merge_implIS3_NS6_6detail15normal_iteratorINS6_10device_ptrIjEEEENSD_INSE_IS9_EEEEjNS1_19radix_merge_compareILb0ELb1EjNS0_19identity_decomposerEEEEE10hipError_tT0_T1_T2_jT3_P12ihipStream_tbPNSt15iterator_traitsISN_E10value_typeEPNST_ISO_E10value_typeEPSP_NS1_7vsmem_tEENKUlT_SN_SO_SP_E_clISG_PjSI_PS9_EESM_S12_SN_SO_SP_EUlS12_E1_NS1_11comp_targetILNS1_3genE2ELNS1_11target_archE906ELNS1_3gpuE6ELNS1_3repE0EEENS1_36merge_oddeven_config_static_selectorELNS0_4arch9wavefront6targetE1EEEvSO_: ; @_ZN7rocprim17ROCPRIM_400000_NS6detail17trampoline_kernelINS0_14default_configENS1_38merge_sort_block_merge_config_selectorIjN6thrust23THRUST_200600_302600_NS5tupleIffNS6_9null_typeES8_S8_S8_S8_S8_S8_S8_EEEEZZNS1_27merge_sort_block_merge_implIS3_NS6_6detail15normal_iteratorINS6_10device_ptrIjEEEENSD_INSE_IS9_EEEEjNS1_19radix_merge_compareILb0ELb1EjNS0_19identity_decomposerEEEEE10hipError_tT0_T1_T2_jT3_P12ihipStream_tbPNSt15iterator_traitsISN_E10value_typeEPNST_ISO_E10value_typeEPSP_NS1_7vsmem_tEENKUlT_SN_SO_SP_E_clISG_PjSI_PS9_EESM_S12_SN_SO_SP_EUlS12_E1_NS1_11comp_targetILNS1_3genE2ELNS1_11target_archE906ELNS1_3gpuE6ELNS1_3repE0EEENS1_36merge_oddeven_config_static_selectorELNS0_4arch9wavefront6targetE1EEEvSO_
; %bb.0:
	.section	.rodata,"a",@progbits
	.p2align	6, 0x0
	.amdhsa_kernel _ZN7rocprim17ROCPRIM_400000_NS6detail17trampoline_kernelINS0_14default_configENS1_38merge_sort_block_merge_config_selectorIjN6thrust23THRUST_200600_302600_NS5tupleIffNS6_9null_typeES8_S8_S8_S8_S8_S8_S8_EEEEZZNS1_27merge_sort_block_merge_implIS3_NS6_6detail15normal_iteratorINS6_10device_ptrIjEEEENSD_INSE_IS9_EEEEjNS1_19radix_merge_compareILb0ELb1EjNS0_19identity_decomposerEEEEE10hipError_tT0_T1_T2_jT3_P12ihipStream_tbPNSt15iterator_traitsISN_E10value_typeEPNST_ISO_E10value_typeEPSP_NS1_7vsmem_tEENKUlT_SN_SO_SP_E_clISG_PjSI_PS9_EESM_S12_SN_SO_SP_EUlS12_E1_NS1_11comp_targetILNS1_3genE2ELNS1_11target_archE906ELNS1_3gpuE6ELNS1_3repE0EEENS1_36merge_oddeven_config_static_selectorELNS0_4arch9wavefront6targetE1EEEvSO_
		.amdhsa_group_segment_fixed_size 0
		.amdhsa_private_segment_fixed_size 0
		.amdhsa_kernarg_size 48
		.amdhsa_user_sgpr_count 6
		.amdhsa_user_sgpr_private_segment_buffer 1
		.amdhsa_user_sgpr_dispatch_ptr 0
		.amdhsa_user_sgpr_queue_ptr 0
		.amdhsa_user_sgpr_kernarg_segment_ptr 1
		.amdhsa_user_sgpr_dispatch_id 0
		.amdhsa_user_sgpr_flat_scratch_init 0
		.amdhsa_user_sgpr_kernarg_preload_length 0
		.amdhsa_user_sgpr_kernarg_preload_offset 0
		.amdhsa_user_sgpr_private_segment_size 0
		.amdhsa_uses_dynamic_stack 0
		.amdhsa_system_sgpr_private_segment_wavefront_offset 0
		.amdhsa_system_sgpr_workgroup_id_x 1
		.amdhsa_system_sgpr_workgroup_id_y 0
		.amdhsa_system_sgpr_workgroup_id_z 0
		.amdhsa_system_sgpr_workgroup_info 0
		.amdhsa_system_vgpr_workitem_id 0
		.amdhsa_next_free_vgpr 1
		.amdhsa_next_free_sgpr 0
		.amdhsa_accum_offset 4
		.amdhsa_reserve_vcc 0
		.amdhsa_reserve_flat_scratch 0
		.amdhsa_float_round_mode_32 0
		.amdhsa_float_round_mode_16_64 0
		.amdhsa_float_denorm_mode_32 3
		.amdhsa_float_denorm_mode_16_64 3
		.amdhsa_dx10_clamp 1
		.amdhsa_ieee_mode 1
		.amdhsa_fp16_overflow 0
		.amdhsa_tg_split 0
		.amdhsa_exception_fp_ieee_invalid_op 0
		.amdhsa_exception_fp_denorm_src 0
		.amdhsa_exception_fp_ieee_div_zero 0
		.amdhsa_exception_fp_ieee_overflow 0
		.amdhsa_exception_fp_ieee_underflow 0
		.amdhsa_exception_fp_ieee_inexact 0
		.amdhsa_exception_int_div_zero 0
	.end_amdhsa_kernel
	.section	.text._ZN7rocprim17ROCPRIM_400000_NS6detail17trampoline_kernelINS0_14default_configENS1_38merge_sort_block_merge_config_selectorIjN6thrust23THRUST_200600_302600_NS5tupleIffNS6_9null_typeES8_S8_S8_S8_S8_S8_S8_EEEEZZNS1_27merge_sort_block_merge_implIS3_NS6_6detail15normal_iteratorINS6_10device_ptrIjEEEENSD_INSE_IS9_EEEEjNS1_19radix_merge_compareILb0ELb1EjNS0_19identity_decomposerEEEEE10hipError_tT0_T1_T2_jT3_P12ihipStream_tbPNSt15iterator_traitsISN_E10value_typeEPNST_ISO_E10value_typeEPSP_NS1_7vsmem_tEENKUlT_SN_SO_SP_E_clISG_PjSI_PS9_EESM_S12_SN_SO_SP_EUlS12_E1_NS1_11comp_targetILNS1_3genE2ELNS1_11target_archE906ELNS1_3gpuE6ELNS1_3repE0EEENS1_36merge_oddeven_config_static_selectorELNS0_4arch9wavefront6targetE1EEEvSO_,"axG",@progbits,_ZN7rocprim17ROCPRIM_400000_NS6detail17trampoline_kernelINS0_14default_configENS1_38merge_sort_block_merge_config_selectorIjN6thrust23THRUST_200600_302600_NS5tupleIffNS6_9null_typeES8_S8_S8_S8_S8_S8_S8_EEEEZZNS1_27merge_sort_block_merge_implIS3_NS6_6detail15normal_iteratorINS6_10device_ptrIjEEEENSD_INSE_IS9_EEEEjNS1_19radix_merge_compareILb0ELb1EjNS0_19identity_decomposerEEEEE10hipError_tT0_T1_T2_jT3_P12ihipStream_tbPNSt15iterator_traitsISN_E10value_typeEPNST_ISO_E10value_typeEPSP_NS1_7vsmem_tEENKUlT_SN_SO_SP_E_clISG_PjSI_PS9_EESM_S12_SN_SO_SP_EUlS12_E1_NS1_11comp_targetILNS1_3genE2ELNS1_11target_archE906ELNS1_3gpuE6ELNS1_3repE0EEENS1_36merge_oddeven_config_static_selectorELNS0_4arch9wavefront6targetE1EEEvSO_,comdat
.Lfunc_end136:
	.size	_ZN7rocprim17ROCPRIM_400000_NS6detail17trampoline_kernelINS0_14default_configENS1_38merge_sort_block_merge_config_selectorIjN6thrust23THRUST_200600_302600_NS5tupleIffNS6_9null_typeES8_S8_S8_S8_S8_S8_S8_EEEEZZNS1_27merge_sort_block_merge_implIS3_NS6_6detail15normal_iteratorINS6_10device_ptrIjEEEENSD_INSE_IS9_EEEEjNS1_19radix_merge_compareILb0ELb1EjNS0_19identity_decomposerEEEEE10hipError_tT0_T1_T2_jT3_P12ihipStream_tbPNSt15iterator_traitsISN_E10value_typeEPNST_ISO_E10value_typeEPSP_NS1_7vsmem_tEENKUlT_SN_SO_SP_E_clISG_PjSI_PS9_EESM_S12_SN_SO_SP_EUlS12_E1_NS1_11comp_targetILNS1_3genE2ELNS1_11target_archE906ELNS1_3gpuE6ELNS1_3repE0EEENS1_36merge_oddeven_config_static_selectorELNS0_4arch9wavefront6targetE1EEEvSO_, .Lfunc_end136-_ZN7rocprim17ROCPRIM_400000_NS6detail17trampoline_kernelINS0_14default_configENS1_38merge_sort_block_merge_config_selectorIjN6thrust23THRUST_200600_302600_NS5tupleIffNS6_9null_typeES8_S8_S8_S8_S8_S8_S8_EEEEZZNS1_27merge_sort_block_merge_implIS3_NS6_6detail15normal_iteratorINS6_10device_ptrIjEEEENSD_INSE_IS9_EEEEjNS1_19radix_merge_compareILb0ELb1EjNS0_19identity_decomposerEEEEE10hipError_tT0_T1_T2_jT3_P12ihipStream_tbPNSt15iterator_traitsISN_E10value_typeEPNST_ISO_E10value_typeEPSP_NS1_7vsmem_tEENKUlT_SN_SO_SP_E_clISG_PjSI_PS9_EESM_S12_SN_SO_SP_EUlS12_E1_NS1_11comp_targetILNS1_3genE2ELNS1_11target_archE906ELNS1_3gpuE6ELNS1_3repE0EEENS1_36merge_oddeven_config_static_selectorELNS0_4arch9wavefront6targetE1EEEvSO_
                                        ; -- End function
	.section	.AMDGPU.csdata,"",@progbits
; Kernel info:
; codeLenInByte = 0
; NumSgprs: 4
; NumVgprs: 0
; NumAgprs: 0
; TotalNumVgprs: 0
; ScratchSize: 0
; MemoryBound: 0
; FloatMode: 240
; IeeeMode: 1
; LDSByteSize: 0 bytes/workgroup (compile time only)
; SGPRBlocks: 0
; VGPRBlocks: 0
; NumSGPRsForWavesPerEU: 4
; NumVGPRsForWavesPerEU: 1
; AccumOffset: 4
; Occupancy: 8
; WaveLimiterHint : 0
; COMPUTE_PGM_RSRC2:SCRATCH_EN: 0
; COMPUTE_PGM_RSRC2:USER_SGPR: 6
; COMPUTE_PGM_RSRC2:TRAP_HANDLER: 0
; COMPUTE_PGM_RSRC2:TGID_X_EN: 1
; COMPUTE_PGM_RSRC2:TGID_Y_EN: 0
; COMPUTE_PGM_RSRC2:TGID_Z_EN: 0
; COMPUTE_PGM_RSRC2:TIDIG_COMP_CNT: 0
; COMPUTE_PGM_RSRC3_GFX90A:ACCUM_OFFSET: 0
; COMPUTE_PGM_RSRC3_GFX90A:TG_SPLIT: 0
	.section	.text._ZN7rocprim17ROCPRIM_400000_NS6detail17trampoline_kernelINS0_14default_configENS1_38merge_sort_block_merge_config_selectorIjN6thrust23THRUST_200600_302600_NS5tupleIffNS6_9null_typeES8_S8_S8_S8_S8_S8_S8_EEEEZZNS1_27merge_sort_block_merge_implIS3_NS6_6detail15normal_iteratorINS6_10device_ptrIjEEEENSD_INSE_IS9_EEEEjNS1_19radix_merge_compareILb0ELb1EjNS0_19identity_decomposerEEEEE10hipError_tT0_T1_T2_jT3_P12ihipStream_tbPNSt15iterator_traitsISN_E10value_typeEPNST_ISO_E10value_typeEPSP_NS1_7vsmem_tEENKUlT_SN_SO_SP_E_clISG_PjSI_PS9_EESM_S12_SN_SO_SP_EUlS12_E1_NS1_11comp_targetILNS1_3genE9ELNS1_11target_archE1100ELNS1_3gpuE3ELNS1_3repE0EEENS1_36merge_oddeven_config_static_selectorELNS0_4arch9wavefront6targetE1EEEvSO_,"axG",@progbits,_ZN7rocprim17ROCPRIM_400000_NS6detail17trampoline_kernelINS0_14default_configENS1_38merge_sort_block_merge_config_selectorIjN6thrust23THRUST_200600_302600_NS5tupleIffNS6_9null_typeES8_S8_S8_S8_S8_S8_S8_EEEEZZNS1_27merge_sort_block_merge_implIS3_NS6_6detail15normal_iteratorINS6_10device_ptrIjEEEENSD_INSE_IS9_EEEEjNS1_19radix_merge_compareILb0ELb1EjNS0_19identity_decomposerEEEEE10hipError_tT0_T1_T2_jT3_P12ihipStream_tbPNSt15iterator_traitsISN_E10value_typeEPNST_ISO_E10value_typeEPSP_NS1_7vsmem_tEENKUlT_SN_SO_SP_E_clISG_PjSI_PS9_EESM_S12_SN_SO_SP_EUlS12_E1_NS1_11comp_targetILNS1_3genE9ELNS1_11target_archE1100ELNS1_3gpuE3ELNS1_3repE0EEENS1_36merge_oddeven_config_static_selectorELNS0_4arch9wavefront6targetE1EEEvSO_,comdat
	.protected	_ZN7rocprim17ROCPRIM_400000_NS6detail17trampoline_kernelINS0_14default_configENS1_38merge_sort_block_merge_config_selectorIjN6thrust23THRUST_200600_302600_NS5tupleIffNS6_9null_typeES8_S8_S8_S8_S8_S8_S8_EEEEZZNS1_27merge_sort_block_merge_implIS3_NS6_6detail15normal_iteratorINS6_10device_ptrIjEEEENSD_INSE_IS9_EEEEjNS1_19radix_merge_compareILb0ELb1EjNS0_19identity_decomposerEEEEE10hipError_tT0_T1_T2_jT3_P12ihipStream_tbPNSt15iterator_traitsISN_E10value_typeEPNST_ISO_E10value_typeEPSP_NS1_7vsmem_tEENKUlT_SN_SO_SP_E_clISG_PjSI_PS9_EESM_S12_SN_SO_SP_EUlS12_E1_NS1_11comp_targetILNS1_3genE9ELNS1_11target_archE1100ELNS1_3gpuE3ELNS1_3repE0EEENS1_36merge_oddeven_config_static_selectorELNS0_4arch9wavefront6targetE1EEEvSO_ ; -- Begin function _ZN7rocprim17ROCPRIM_400000_NS6detail17trampoline_kernelINS0_14default_configENS1_38merge_sort_block_merge_config_selectorIjN6thrust23THRUST_200600_302600_NS5tupleIffNS6_9null_typeES8_S8_S8_S8_S8_S8_S8_EEEEZZNS1_27merge_sort_block_merge_implIS3_NS6_6detail15normal_iteratorINS6_10device_ptrIjEEEENSD_INSE_IS9_EEEEjNS1_19radix_merge_compareILb0ELb1EjNS0_19identity_decomposerEEEEE10hipError_tT0_T1_T2_jT3_P12ihipStream_tbPNSt15iterator_traitsISN_E10value_typeEPNST_ISO_E10value_typeEPSP_NS1_7vsmem_tEENKUlT_SN_SO_SP_E_clISG_PjSI_PS9_EESM_S12_SN_SO_SP_EUlS12_E1_NS1_11comp_targetILNS1_3genE9ELNS1_11target_archE1100ELNS1_3gpuE3ELNS1_3repE0EEENS1_36merge_oddeven_config_static_selectorELNS0_4arch9wavefront6targetE1EEEvSO_
	.globl	_ZN7rocprim17ROCPRIM_400000_NS6detail17trampoline_kernelINS0_14default_configENS1_38merge_sort_block_merge_config_selectorIjN6thrust23THRUST_200600_302600_NS5tupleIffNS6_9null_typeES8_S8_S8_S8_S8_S8_S8_EEEEZZNS1_27merge_sort_block_merge_implIS3_NS6_6detail15normal_iteratorINS6_10device_ptrIjEEEENSD_INSE_IS9_EEEEjNS1_19radix_merge_compareILb0ELb1EjNS0_19identity_decomposerEEEEE10hipError_tT0_T1_T2_jT3_P12ihipStream_tbPNSt15iterator_traitsISN_E10value_typeEPNST_ISO_E10value_typeEPSP_NS1_7vsmem_tEENKUlT_SN_SO_SP_E_clISG_PjSI_PS9_EESM_S12_SN_SO_SP_EUlS12_E1_NS1_11comp_targetILNS1_3genE9ELNS1_11target_archE1100ELNS1_3gpuE3ELNS1_3repE0EEENS1_36merge_oddeven_config_static_selectorELNS0_4arch9wavefront6targetE1EEEvSO_
	.p2align	8
	.type	_ZN7rocprim17ROCPRIM_400000_NS6detail17trampoline_kernelINS0_14default_configENS1_38merge_sort_block_merge_config_selectorIjN6thrust23THRUST_200600_302600_NS5tupleIffNS6_9null_typeES8_S8_S8_S8_S8_S8_S8_EEEEZZNS1_27merge_sort_block_merge_implIS3_NS6_6detail15normal_iteratorINS6_10device_ptrIjEEEENSD_INSE_IS9_EEEEjNS1_19radix_merge_compareILb0ELb1EjNS0_19identity_decomposerEEEEE10hipError_tT0_T1_T2_jT3_P12ihipStream_tbPNSt15iterator_traitsISN_E10value_typeEPNST_ISO_E10value_typeEPSP_NS1_7vsmem_tEENKUlT_SN_SO_SP_E_clISG_PjSI_PS9_EESM_S12_SN_SO_SP_EUlS12_E1_NS1_11comp_targetILNS1_3genE9ELNS1_11target_archE1100ELNS1_3gpuE3ELNS1_3repE0EEENS1_36merge_oddeven_config_static_selectorELNS0_4arch9wavefront6targetE1EEEvSO_,@function
_ZN7rocprim17ROCPRIM_400000_NS6detail17trampoline_kernelINS0_14default_configENS1_38merge_sort_block_merge_config_selectorIjN6thrust23THRUST_200600_302600_NS5tupleIffNS6_9null_typeES8_S8_S8_S8_S8_S8_S8_EEEEZZNS1_27merge_sort_block_merge_implIS3_NS6_6detail15normal_iteratorINS6_10device_ptrIjEEEENSD_INSE_IS9_EEEEjNS1_19radix_merge_compareILb0ELb1EjNS0_19identity_decomposerEEEEE10hipError_tT0_T1_T2_jT3_P12ihipStream_tbPNSt15iterator_traitsISN_E10value_typeEPNST_ISO_E10value_typeEPSP_NS1_7vsmem_tEENKUlT_SN_SO_SP_E_clISG_PjSI_PS9_EESM_S12_SN_SO_SP_EUlS12_E1_NS1_11comp_targetILNS1_3genE9ELNS1_11target_archE1100ELNS1_3gpuE3ELNS1_3repE0EEENS1_36merge_oddeven_config_static_selectorELNS0_4arch9wavefront6targetE1EEEvSO_: ; @_ZN7rocprim17ROCPRIM_400000_NS6detail17trampoline_kernelINS0_14default_configENS1_38merge_sort_block_merge_config_selectorIjN6thrust23THRUST_200600_302600_NS5tupleIffNS6_9null_typeES8_S8_S8_S8_S8_S8_S8_EEEEZZNS1_27merge_sort_block_merge_implIS3_NS6_6detail15normal_iteratorINS6_10device_ptrIjEEEENSD_INSE_IS9_EEEEjNS1_19radix_merge_compareILb0ELb1EjNS0_19identity_decomposerEEEEE10hipError_tT0_T1_T2_jT3_P12ihipStream_tbPNSt15iterator_traitsISN_E10value_typeEPNST_ISO_E10value_typeEPSP_NS1_7vsmem_tEENKUlT_SN_SO_SP_E_clISG_PjSI_PS9_EESM_S12_SN_SO_SP_EUlS12_E1_NS1_11comp_targetILNS1_3genE9ELNS1_11target_archE1100ELNS1_3gpuE3ELNS1_3repE0EEENS1_36merge_oddeven_config_static_selectorELNS0_4arch9wavefront6targetE1EEEvSO_
; %bb.0:
	.section	.rodata,"a",@progbits
	.p2align	6, 0x0
	.amdhsa_kernel _ZN7rocprim17ROCPRIM_400000_NS6detail17trampoline_kernelINS0_14default_configENS1_38merge_sort_block_merge_config_selectorIjN6thrust23THRUST_200600_302600_NS5tupleIffNS6_9null_typeES8_S8_S8_S8_S8_S8_S8_EEEEZZNS1_27merge_sort_block_merge_implIS3_NS6_6detail15normal_iteratorINS6_10device_ptrIjEEEENSD_INSE_IS9_EEEEjNS1_19radix_merge_compareILb0ELb1EjNS0_19identity_decomposerEEEEE10hipError_tT0_T1_T2_jT3_P12ihipStream_tbPNSt15iterator_traitsISN_E10value_typeEPNST_ISO_E10value_typeEPSP_NS1_7vsmem_tEENKUlT_SN_SO_SP_E_clISG_PjSI_PS9_EESM_S12_SN_SO_SP_EUlS12_E1_NS1_11comp_targetILNS1_3genE9ELNS1_11target_archE1100ELNS1_3gpuE3ELNS1_3repE0EEENS1_36merge_oddeven_config_static_selectorELNS0_4arch9wavefront6targetE1EEEvSO_
		.amdhsa_group_segment_fixed_size 0
		.amdhsa_private_segment_fixed_size 0
		.amdhsa_kernarg_size 48
		.amdhsa_user_sgpr_count 6
		.amdhsa_user_sgpr_private_segment_buffer 1
		.amdhsa_user_sgpr_dispatch_ptr 0
		.amdhsa_user_sgpr_queue_ptr 0
		.amdhsa_user_sgpr_kernarg_segment_ptr 1
		.amdhsa_user_sgpr_dispatch_id 0
		.amdhsa_user_sgpr_flat_scratch_init 0
		.amdhsa_user_sgpr_kernarg_preload_length 0
		.amdhsa_user_sgpr_kernarg_preload_offset 0
		.amdhsa_user_sgpr_private_segment_size 0
		.amdhsa_uses_dynamic_stack 0
		.amdhsa_system_sgpr_private_segment_wavefront_offset 0
		.amdhsa_system_sgpr_workgroup_id_x 1
		.amdhsa_system_sgpr_workgroup_id_y 0
		.amdhsa_system_sgpr_workgroup_id_z 0
		.amdhsa_system_sgpr_workgroup_info 0
		.amdhsa_system_vgpr_workitem_id 0
		.amdhsa_next_free_vgpr 1
		.amdhsa_next_free_sgpr 0
		.amdhsa_accum_offset 4
		.amdhsa_reserve_vcc 0
		.amdhsa_reserve_flat_scratch 0
		.amdhsa_float_round_mode_32 0
		.amdhsa_float_round_mode_16_64 0
		.amdhsa_float_denorm_mode_32 3
		.amdhsa_float_denorm_mode_16_64 3
		.amdhsa_dx10_clamp 1
		.amdhsa_ieee_mode 1
		.amdhsa_fp16_overflow 0
		.amdhsa_tg_split 0
		.amdhsa_exception_fp_ieee_invalid_op 0
		.amdhsa_exception_fp_denorm_src 0
		.amdhsa_exception_fp_ieee_div_zero 0
		.amdhsa_exception_fp_ieee_overflow 0
		.amdhsa_exception_fp_ieee_underflow 0
		.amdhsa_exception_fp_ieee_inexact 0
		.amdhsa_exception_int_div_zero 0
	.end_amdhsa_kernel
	.section	.text._ZN7rocprim17ROCPRIM_400000_NS6detail17trampoline_kernelINS0_14default_configENS1_38merge_sort_block_merge_config_selectorIjN6thrust23THRUST_200600_302600_NS5tupleIffNS6_9null_typeES8_S8_S8_S8_S8_S8_S8_EEEEZZNS1_27merge_sort_block_merge_implIS3_NS6_6detail15normal_iteratorINS6_10device_ptrIjEEEENSD_INSE_IS9_EEEEjNS1_19radix_merge_compareILb0ELb1EjNS0_19identity_decomposerEEEEE10hipError_tT0_T1_T2_jT3_P12ihipStream_tbPNSt15iterator_traitsISN_E10value_typeEPNST_ISO_E10value_typeEPSP_NS1_7vsmem_tEENKUlT_SN_SO_SP_E_clISG_PjSI_PS9_EESM_S12_SN_SO_SP_EUlS12_E1_NS1_11comp_targetILNS1_3genE9ELNS1_11target_archE1100ELNS1_3gpuE3ELNS1_3repE0EEENS1_36merge_oddeven_config_static_selectorELNS0_4arch9wavefront6targetE1EEEvSO_,"axG",@progbits,_ZN7rocprim17ROCPRIM_400000_NS6detail17trampoline_kernelINS0_14default_configENS1_38merge_sort_block_merge_config_selectorIjN6thrust23THRUST_200600_302600_NS5tupleIffNS6_9null_typeES8_S8_S8_S8_S8_S8_S8_EEEEZZNS1_27merge_sort_block_merge_implIS3_NS6_6detail15normal_iteratorINS6_10device_ptrIjEEEENSD_INSE_IS9_EEEEjNS1_19radix_merge_compareILb0ELb1EjNS0_19identity_decomposerEEEEE10hipError_tT0_T1_T2_jT3_P12ihipStream_tbPNSt15iterator_traitsISN_E10value_typeEPNST_ISO_E10value_typeEPSP_NS1_7vsmem_tEENKUlT_SN_SO_SP_E_clISG_PjSI_PS9_EESM_S12_SN_SO_SP_EUlS12_E1_NS1_11comp_targetILNS1_3genE9ELNS1_11target_archE1100ELNS1_3gpuE3ELNS1_3repE0EEENS1_36merge_oddeven_config_static_selectorELNS0_4arch9wavefront6targetE1EEEvSO_,comdat
.Lfunc_end137:
	.size	_ZN7rocprim17ROCPRIM_400000_NS6detail17trampoline_kernelINS0_14default_configENS1_38merge_sort_block_merge_config_selectorIjN6thrust23THRUST_200600_302600_NS5tupleIffNS6_9null_typeES8_S8_S8_S8_S8_S8_S8_EEEEZZNS1_27merge_sort_block_merge_implIS3_NS6_6detail15normal_iteratorINS6_10device_ptrIjEEEENSD_INSE_IS9_EEEEjNS1_19radix_merge_compareILb0ELb1EjNS0_19identity_decomposerEEEEE10hipError_tT0_T1_T2_jT3_P12ihipStream_tbPNSt15iterator_traitsISN_E10value_typeEPNST_ISO_E10value_typeEPSP_NS1_7vsmem_tEENKUlT_SN_SO_SP_E_clISG_PjSI_PS9_EESM_S12_SN_SO_SP_EUlS12_E1_NS1_11comp_targetILNS1_3genE9ELNS1_11target_archE1100ELNS1_3gpuE3ELNS1_3repE0EEENS1_36merge_oddeven_config_static_selectorELNS0_4arch9wavefront6targetE1EEEvSO_, .Lfunc_end137-_ZN7rocprim17ROCPRIM_400000_NS6detail17trampoline_kernelINS0_14default_configENS1_38merge_sort_block_merge_config_selectorIjN6thrust23THRUST_200600_302600_NS5tupleIffNS6_9null_typeES8_S8_S8_S8_S8_S8_S8_EEEEZZNS1_27merge_sort_block_merge_implIS3_NS6_6detail15normal_iteratorINS6_10device_ptrIjEEEENSD_INSE_IS9_EEEEjNS1_19radix_merge_compareILb0ELb1EjNS0_19identity_decomposerEEEEE10hipError_tT0_T1_T2_jT3_P12ihipStream_tbPNSt15iterator_traitsISN_E10value_typeEPNST_ISO_E10value_typeEPSP_NS1_7vsmem_tEENKUlT_SN_SO_SP_E_clISG_PjSI_PS9_EESM_S12_SN_SO_SP_EUlS12_E1_NS1_11comp_targetILNS1_3genE9ELNS1_11target_archE1100ELNS1_3gpuE3ELNS1_3repE0EEENS1_36merge_oddeven_config_static_selectorELNS0_4arch9wavefront6targetE1EEEvSO_
                                        ; -- End function
	.section	.AMDGPU.csdata,"",@progbits
; Kernel info:
; codeLenInByte = 0
; NumSgprs: 4
; NumVgprs: 0
; NumAgprs: 0
; TotalNumVgprs: 0
; ScratchSize: 0
; MemoryBound: 0
; FloatMode: 240
; IeeeMode: 1
; LDSByteSize: 0 bytes/workgroup (compile time only)
; SGPRBlocks: 0
; VGPRBlocks: 0
; NumSGPRsForWavesPerEU: 4
; NumVGPRsForWavesPerEU: 1
; AccumOffset: 4
; Occupancy: 8
; WaveLimiterHint : 0
; COMPUTE_PGM_RSRC2:SCRATCH_EN: 0
; COMPUTE_PGM_RSRC2:USER_SGPR: 6
; COMPUTE_PGM_RSRC2:TRAP_HANDLER: 0
; COMPUTE_PGM_RSRC2:TGID_X_EN: 1
; COMPUTE_PGM_RSRC2:TGID_Y_EN: 0
; COMPUTE_PGM_RSRC2:TGID_Z_EN: 0
; COMPUTE_PGM_RSRC2:TIDIG_COMP_CNT: 0
; COMPUTE_PGM_RSRC3_GFX90A:ACCUM_OFFSET: 0
; COMPUTE_PGM_RSRC3_GFX90A:TG_SPLIT: 0
	.section	.text._ZN7rocprim17ROCPRIM_400000_NS6detail17trampoline_kernelINS0_14default_configENS1_38merge_sort_block_merge_config_selectorIjN6thrust23THRUST_200600_302600_NS5tupleIffNS6_9null_typeES8_S8_S8_S8_S8_S8_S8_EEEEZZNS1_27merge_sort_block_merge_implIS3_NS6_6detail15normal_iteratorINS6_10device_ptrIjEEEENSD_INSE_IS9_EEEEjNS1_19radix_merge_compareILb0ELb1EjNS0_19identity_decomposerEEEEE10hipError_tT0_T1_T2_jT3_P12ihipStream_tbPNSt15iterator_traitsISN_E10value_typeEPNST_ISO_E10value_typeEPSP_NS1_7vsmem_tEENKUlT_SN_SO_SP_E_clISG_PjSI_PS9_EESM_S12_SN_SO_SP_EUlS12_E1_NS1_11comp_targetILNS1_3genE8ELNS1_11target_archE1030ELNS1_3gpuE2ELNS1_3repE0EEENS1_36merge_oddeven_config_static_selectorELNS0_4arch9wavefront6targetE1EEEvSO_,"axG",@progbits,_ZN7rocprim17ROCPRIM_400000_NS6detail17trampoline_kernelINS0_14default_configENS1_38merge_sort_block_merge_config_selectorIjN6thrust23THRUST_200600_302600_NS5tupleIffNS6_9null_typeES8_S8_S8_S8_S8_S8_S8_EEEEZZNS1_27merge_sort_block_merge_implIS3_NS6_6detail15normal_iteratorINS6_10device_ptrIjEEEENSD_INSE_IS9_EEEEjNS1_19radix_merge_compareILb0ELb1EjNS0_19identity_decomposerEEEEE10hipError_tT0_T1_T2_jT3_P12ihipStream_tbPNSt15iterator_traitsISN_E10value_typeEPNST_ISO_E10value_typeEPSP_NS1_7vsmem_tEENKUlT_SN_SO_SP_E_clISG_PjSI_PS9_EESM_S12_SN_SO_SP_EUlS12_E1_NS1_11comp_targetILNS1_3genE8ELNS1_11target_archE1030ELNS1_3gpuE2ELNS1_3repE0EEENS1_36merge_oddeven_config_static_selectorELNS0_4arch9wavefront6targetE1EEEvSO_,comdat
	.protected	_ZN7rocprim17ROCPRIM_400000_NS6detail17trampoline_kernelINS0_14default_configENS1_38merge_sort_block_merge_config_selectorIjN6thrust23THRUST_200600_302600_NS5tupleIffNS6_9null_typeES8_S8_S8_S8_S8_S8_S8_EEEEZZNS1_27merge_sort_block_merge_implIS3_NS6_6detail15normal_iteratorINS6_10device_ptrIjEEEENSD_INSE_IS9_EEEEjNS1_19radix_merge_compareILb0ELb1EjNS0_19identity_decomposerEEEEE10hipError_tT0_T1_T2_jT3_P12ihipStream_tbPNSt15iterator_traitsISN_E10value_typeEPNST_ISO_E10value_typeEPSP_NS1_7vsmem_tEENKUlT_SN_SO_SP_E_clISG_PjSI_PS9_EESM_S12_SN_SO_SP_EUlS12_E1_NS1_11comp_targetILNS1_3genE8ELNS1_11target_archE1030ELNS1_3gpuE2ELNS1_3repE0EEENS1_36merge_oddeven_config_static_selectorELNS0_4arch9wavefront6targetE1EEEvSO_ ; -- Begin function _ZN7rocprim17ROCPRIM_400000_NS6detail17trampoline_kernelINS0_14default_configENS1_38merge_sort_block_merge_config_selectorIjN6thrust23THRUST_200600_302600_NS5tupleIffNS6_9null_typeES8_S8_S8_S8_S8_S8_S8_EEEEZZNS1_27merge_sort_block_merge_implIS3_NS6_6detail15normal_iteratorINS6_10device_ptrIjEEEENSD_INSE_IS9_EEEEjNS1_19radix_merge_compareILb0ELb1EjNS0_19identity_decomposerEEEEE10hipError_tT0_T1_T2_jT3_P12ihipStream_tbPNSt15iterator_traitsISN_E10value_typeEPNST_ISO_E10value_typeEPSP_NS1_7vsmem_tEENKUlT_SN_SO_SP_E_clISG_PjSI_PS9_EESM_S12_SN_SO_SP_EUlS12_E1_NS1_11comp_targetILNS1_3genE8ELNS1_11target_archE1030ELNS1_3gpuE2ELNS1_3repE0EEENS1_36merge_oddeven_config_static_selectorELNS0_4arch9wavefront6targetE1EEEvSO_
	.globl	_ZN7rocprim17ROCPRIM_400000_NS6detail17trampoline_kernelINS0_14default_configENS1_38merge_sort_block_merge_config_selectorIjN6thrust23THRUST_200600_302600_NS5tupleIffNS6_9null_typeES8_S8_S8_S8_S8_S8_S8_EEEEZZNS1_27merge_sort_block_merge_implIS3_NS6_6detail15normal_iteratorINS6_10device_ptrIjEEEENSD_INSE_IS9_EEEEjNS1_19radix_merge_compareILb0ELb1EjNS0_19identity_decomposerEEEEE10hipError_tT0_T1_T2_jT3_P12ihipStream_tbPNSt15iterator_traitsISN_E10value_typeEPNST_ISO_E10value_typeEPSP_NS1_7vsmem_tEENKUlT_SN_SO_SP_E_clISG_PjSI_PS9_EESM_S12_SN_SO_SP_EUlS12_E1_NS1_11comp_targetILNS1_3genE8ELNS1_11target_archE1030ELNS1_3gpuE2ELNS1_3repE0EEENS1_36merge_oddeven_config_static_selectorELNS0_4arch9wavefront6targetE1EEEvSO_
	.p2align	8
	.type	_ZN7rocprim17ROCPRIM_400000_NS6detail17trampoline_kernelINS0_14default_configENS1_38merge_sort_block_merge_config_selectorIjN6thrust23THRUST_200600_302600_NS5tupleIffNS6_9null_typeES8_S8_S8_S8_S8_S8_S8_EEEEZZNS1_27merge_sort_block_merge_implIS3_NS6_6detail15normal_iteratorINS6_10device_ptrIjEEEENSD_INSE_IS9_EEEEjNS1_19radix_merge_compareILb0ELb1EjNS0_19identity_decomposerEEEEE10hipError_tT0_T1_T2_jT3_P12ihipStream_tbPNSt15iterator_traitsISN_E10value_typeEPNST_ISO_E10value_typeEPSP_NS1_7vsmem_tEENKUlT_SN_SO_SP_E_clISG_PjSI_PS9_EESM_S12_SN_SO_SP_EUlS12_E1_NS1_11comp_targetILNS1_3genE8ELNS1_11target_archE1030ELNS1_3gpuE2ELNS1_3repE0EEENS1_36merge_oddeven_config_static_selectorELNS0_4arch9wavefront6targetE1EEEvSO_,@function
_ZN7rocprim17ROCPRIM_400000_NS6detail17trampoline_kernelINS0_14default_configENS1_38merge_sort_block_merge_config_selectorIjN6thrust23THRUST_200600_302600_NS5tupleIffNS6_9null_typeES8_S8_S8_S8_S8_S8_S8_EEEEZZNS1_27merge_sort_block_merge_implIS3_NS6_6detail15normal_iteratorINS6_10device_ptrIjEEEENSD_INSE_IS9_EEEEjNS1_19radix_merge_compareILb0ELb1EjNS0_19identity_decomposerEEEEE10hipError_tT0_T1_T2_jT3_P12ihipStream_tbPNSt15iterator_traitsISN_E10value_typeEPNST_ISO_E10value_typeEPSP_NS1_7vsmem_tEENKUlT_SN_SO_SP_E_clISG_PjSI_PS9_EESM_S12_SN_SO_SP_EUlS12_E1_NS1_11comp_targetILNS1_3genE8ELNS1_11target_archE1030ELNS1_3gpuE2ELNS1_3repE0EEENS1_36merge_oddeven_config_static_selectorELNS0_4arch9wavefront6targetE1EEEvSO_: ; @_ZN7rocprim17ROCPRIM_400000_NS6detail17trampoline_kernelINS0_14default_configENS1_38merge_sort_block_merge_config_selectorIjN6thrust23THRUST_200600_302600_NS5tupleIffNS6_9null_typeES8_S8_S8_S8_S8_S8_S8_EEEEZZNS1_27merge_sort_block_merge_implIS3_NS6_6detail15normal_iteratorINS6_10device_ptrIjEEEENSD_INSE_IS9_EEEEjNS1_19radix_merge_compareILb0ELb1EjNS0_19identity_decomposerEEEEE10hipError_tT0_T1_T2_jT3_P12ihipStream_tbPNSt15iterator_traitsISN_E10value_typeEPNST_ISO_E10value_typeEPSP_NS1_7vsmem_tEENKUlT_SN_SO_SP_E_clISG_PjSI_PS9_EESM_S12_SN_SO_SP_EUlS12_E1_NS1_11comp_targetILNS1_3genE8ELNS1_11target_archE1030ELNS1_3gpuE2ELNS1_3repE0EEENS1_36merge_oddeven_config_static_selectorELNS0_4arch9wavefront6targetE1EEEvSO_
; %bb.0:
	.section	.rodata,"a",@progbits
	.p2align	6, 0x0
	.amdhsa_kernel _ZN7rocprim17ROCPRIM_400000_NS6detail17trampoline_kernelINS0_14default_configENS1_38merge_sort_block_merge_config_selectorIjN6thrust23THRUST_200600_302600_NS5tupleIffNS6_9null_typeES8_S8_S8_S8_S8_S8_S8_EEEEZZNS1_27merge_sort_block_merge_implIS3_NS6_6detail15normal_iteratorINS6_10device_ptrIjEEEENSD_INSE_IS9_EEEEjNS1_19radix_merge_compareILb0ELb1EjNS0_19identity_decomposerEEEEE10hipError_tT0_T1_T2_jT3_P12ihipStream_tbPNSt15iterator_traitsISN_E10value_typeEPNST_ISO_E10value_typeEPSP_NS1_7vsmem_tEENKUlT_SN_SO_SP_E_clISG_PjSI_PS9_EESM_S12_SN_SO_SP_EUlS12_E1_NS1_11comp_targetILNS1_3genE8ELNS1_11target_archE1030ELNS1_3gpuE2ELNS1_3repE0EEENS1_36merge_oddeven_config_static_selectorELNS0_4arch9wavefront6targetE1EEEvSO_
		.amdhsa_group_segment_fixed_size 0
		.amdhsa_private_segment_fixed_size 0
		.amdhsa_kernarg_size 48
		.amdhsa_user_sgpr_count 6
		.amdhsa_user_sgpr_private_segment_buffer 1
		.amdhsa_user_sgpr_dispatch_ptr 0
		.amdhsa_user_sgpr_queue_ptr 0
		.amdhsa_user_sgpr_kernarg_segment_ptr 1
		.amdhsa_user_sgpr_dispatch_id 0
		.amdhsa_user_sgpr_flat_scratch_init 0
		.amdhsa_user_sgpr_kernarg_preload_length 0
		.amdhsa_user_sgpr_kernarg_preload_offset 0
		.amdhsa_user_sgpr_private_segment_size 0
		.amdhsa_uses_dynamic_stack 0
		.amdhsa_system_sgpr_private_segment_wavefront_offset 0
		.amdhsa_system_sgpr_workgroup_id_x 1
		.amdhsa_system_sgpr_workgroup_id_y 0
		.amdhsa_system_sgpr_workgroup_id_z 0
		.amdhsa_system_sgpr_workgroup_info 0
		.amdhsa_system_vgpr_workitem_id 0
		.amdhsa_next_free_vgpr 1
		.amdhsa_next_free_sgpr 0
		.amdhsa_accum_offset 4
		.amdhsa_reserve_vcc 0
		.amdhsa_reserve_flat_scratch 0
		.amdhsa_float_round_mode_32 0
		.amdhsa_float_round_mode_16_64 0
		.amdhsa_float_denorm_mode_32 3
		.amdhsa_float_denorm_mode_16_64 3
		.amdhsa_dx10_clamp 1
		.amdhsa_ieee_mode 1
		.amdhsa_fp16_overflow 0
		.amdhsa_tg_split 0
		.amdhsa_exception_fp_ieee_invalid_op 0
		.amdhsa_exception_fp_denorm_src 0
		.amdhsa_exception_fp_ieee_div_zero 0
		.amdhsa_exception_fp_ieee_overflow 0
		.amdhsa_exception_fp_ieee_underflow 0
		.amdhsa_exception_fp_ieee_inexact 0
		.amdhsa_exception_int_div_zero 0
	.end_amdhsa_kernel
	.section	.text._ZN7rocprim17ROCPRIM_400000_NS6detail17trampoline_kernelINS0_14default_configENS1_38merge_sort_block_merge_config_selectorIjN6thrust23THRUST_200600_302600_NS5tupleIffNS6_9null_typeES8_S8_S8_S8_S8_S8_S8_EEEEZZNS1_27merge_sort_block_merge_implIS3_NS6_6detail15normal_iteratorINS6_10device_ptrIjEEEENSD_INSE_IS9_EEEEjNS1_19radix_merge_compareILb0ELb1EjNS0_19identity_decomposerEEEEE10hipError_tT0_T1_T2_jT3_P12ihipStream_tbPNSt15iterator_traitsISN_E10value_typeEPNST_ISO_E10value_typeEPSP_NS1_7vsmem_tEENKUlT_SN_SO_SP_E_clISG_PjSI_PS9_EESM_S12_SN_SO_SP_EUlS12_E1_NS1_11comp_targetILNS1_3genE8ELNS1_11target_archE1030ELNS1_3gpuE2ELNS1_3repE0EEENS1_36merge_oddeven_config_static_selectorELNS0_4arch9wavefront6targetE1EEEvSO_,"axG",@progbits,_ZN7rocprim17ROCPRIM_400000_NS6detail17trampoline_kernelINS0_14default_configENS1_38merge_sort_block_merge_config_selectorIjN6thrust23THRUST_200600_302600_NS5tupleIffNS6_9null_typeES8_S8_S8_S8_S8_S8_S8_EEEEZZNS1_27merge_sort_block_merge_implIS3_NS6_6detail15normal_iteratorINS6_10device_ptrIjEEEENSD_INSE_IS9_EEEEjNS1_19radix_merge_compareILb0ELb1EjNS0_19identity_decomposerEEEEE10hipError_tT0_T1_T2_jT3_P12ihipStream_tbPNSt15iterator_traitsISN_E10value_typeEPNST_ISO_E10value_typeEPSP_NS1_7vsmem_tEENKUlT_SN_SO_SP_E_clISG_PjSI_PS9_EESM_S12_SN_SO_SP_EUlS12_E1_NS1_11comp_targetILNS1_3genE8ELNS1_11target_archE1030ELNS1_3gpuE2ELNS1_3repE0EEENS1_36merge_oddeven_config_static_selectorELNS0_4arch9wavefront6targetE1EEEvSO_,comdat
.Lfunc_end138:
	.size	_ZN7rocprim17ROCPRIM_400000_NS6detail17trampoline_kernelINS0_14default_configENS1_38merge_sort_block_merge_config_selectorIjN6thrust23THRUST_200600_302600_NS5tupleIffNS6_9null_typeES8_S8_S8_S8_S8_S8_S8_EEEEZZNS1_27merge_sort_block_merge_implIS3_NS6_6detail15normal_iteratorINS6_10device_ptrIjEEEENSD_INSE_IS9_EEEEjNS1_19radix_merge_compareILb0ELb1EjNS0_19identity_decomposerEEEEE10hipError_tT0_T1_T2_jT3_P12ihipStream_tbPNSt15iterator_traitsISN_E10value_typeEPNST_ISO_E10value_typeEPSP_NS1_7vsmem_tEENKUlT_SN_SO_SP_E_clISG_PjSI_PS9_EESM_S12_SN_SO_SP_EUlS12_E1_NS1_11comp_targetILNS1_3genE8ELNS1_11target_archE1030ELNS1_3gpuE2ELNS1_3repE0EEENS1_36merge_oddeven_config_static_selectorELNS0_4arch9wavefront6targetE1EEEvSO_, .Lfunc_end138-_ZN7rocprim17ROCPRIM_400000_NS6detail17trampoline_kernelINS0_14default_configENS1_38merge_sort_block_merge_config_selectorIjN6thrust23THRUST_200600_302600_NS5tupleIffNS6_9null_typeES8_S8_S8_S8_S8_S8_S8_EEEEZZNS1_27merge_sort_block_merge_implIS3_NS6_6detail15normal_iteratorINS6_10device_ptrIjEEEENSD_INSE_IS9_EEEEjNS1_19radix_merge_compareILb0ELb1EjNS0_19identity_decomposerEEEEE10hipError_tT0_T1_T2_jT3_P12ihipStream_tbPNSt15iterator_traitsISN_E10value_typeEPNST_ISO_E10value_typeEPSP_NS1_7vsmem_tEENKUlT_SN_SO_SP_E_clISG_PjSI_PS9_EESM_S12_SN_SO_SP_EUlS12_E1_NS1_11comp_targetILNS1_3genE8ELNS1_11target_archE1030ELNS1_3gpuE2ELNS1_3repE0EEENS1_36merge_oddeven_config_static_selectorELNS0_4arch9wavefront6targetE1EEEvSO_
                                        ; -- End function
	.section	.AMDGPU.csdata,"",@progbits
; Kernel info:
; codeLenInByte = 0
; NumSgprs: 4
; NumVgprs: 0
; NumAgprs: 0
; TotalNumVgprs: 0
; ScratchSize: 0
; MemoryBound: 0
; FloatMode: 240
; IeeeMode: 1
; LDSByteSize: 0 bytes/workgroup (compile time only)
; SGPRBlocks: 0
; VGPRBlocks: 0
; NumSGPRsForWavesPerEU: 4
; NumVGPRsForWavesPerEU: 1
; AccumOffset: 4
; Occupancy: 8
; WaveLimiterHint : 0
; COMPUTE_PGM_RSRC2:SCRATCH_EN: 0
; COMPUTE_PGM_RSRC2:USER_SGPR: 6
; COMPUTE_PGM_RSRC2:TRAP_HANDLER: 0
; COMPUTE_PGM_RSRC2:TGID_X_EN: 1
; COMPUTE_PGM_RSRC2:TGID_Y_EN: 0
; COMPUTE_PGM_RSRC2:TGID_Z_EN: 0
; COMPUTE_PGM_RSRC2:TIDIG_COMP_CNT: 0
; COMPUTE_PGM_RSRC3_GFX90A:ACCUM_OFFSET: 0
; COMPUTE_PGM_RSRC3_GFX90A:TG_SPLIT: 0
	.section	.text._ZN7rocprim17ROCPRIM_400000_NS6detail17trampoline_kernelINS0_14default_configENS1_35radix_sort_onesweep_config_selectorIjN6thrust23THRUST_200600_302600_NS5tupleIffNS6_9null_typeES8_S8_S8_S8_S8_S8_S8_EEEEZNS1_34radix_sort_onesweep_global_offsetsIS3_Lb0ENS6_6detail15normal_iteratorINS6_10device_ptrIjEEEENSD_INSE_IS9_EEEEjNS0_19identity_decomposerEEE10hipError_tT1_T2_PT3_SN_jT4_jjP12ihipStream_tbEUlT_E_NS1_11comp_targetILNS1_3genE0ELNS1_11target_archE4294967295ELNS1_3gpuE0ELNS1_3repE0EEENS1_52radix_sort_onesweep_histogram_config_static_selectorELNS0_4arch9wavefront6targetE1EEEvSL_,"axG",@progbits,_ZN7rocprim17ROCPRIM_400000_NS6detail17trampoline_kernelINS0_14default_configENS1_35radix_sort_onesweep_config_selectorIjN6thrust23THRUST_200600_302600_NS5tupleIffNS6_9null_typeES8_S8_S8_S8_S8_S8_S8_EEEEZNS1_34radix_sort_onesweep_global_offsetsIS3_Lb0ENS6_6detail15normal_iteratorINS6_10device_ptrIjEEEENSD_INSE_IS9_EEEEjNS0_19identity_decomposerEEE10hipError_tT1_T2_PT3_SN_jT4_jjP12ihipStream_tbEUlT_E_NS1_11comp_targetILNS1_3genE0ELNS1_11target_archE4294967295ELNS1_3gpuE0ELNS1_3repE0EEENS1_52radix_sort_onesweep_histogram_config_static_selectorELNS0_4arch9wavefront6targetE1EEEvSL_,comdat
	.protected	_ZN7rocprim17ROCPRIM_400000_NS6detail17trampoline_kernelINS0_14default_configENS1_35radix_sort_onesweep_config_selectorIjN6thrust23THRUST_200600_302600_NS5tupleIffNS6_9null_typeES8_S8_S8_S8_S8_S8_S8_EEEEZNS1_34radix_sort_onesweep_global_offsetsIS3_Lb0ENS6_6detail15normal_iteratorINS6_10device_ptrIjEEEENSD_INSE_IS9_EEEEjNS0_19identity_decomposerEEE10hipError_tT1_T2_PT3_SN_jT4_jjP12ihipStream_tbEUlT_E_NS1_11comp_targetILNS1_3genE0ELNS1_11target_archE4294967295ELNS1_3gpuE0ELNS1_3repE0EEENS1_52radix_sort_onesweep_histogram_config_static_selectorELNS0_4arch9wavefront6targetE1EEEvSL_ ; -- Begin function _ZN7rocprim17ROCPRIM_400000_NS6detail17trampoline_kernelINS0_14default_configENS1_35radix_sort_onesweep_config_selectorIjN6thrust23THRUST_200600_302600_NS5tupleIffNS6_9null_typeES8_S8_S8_S8_S8_S8_S8_EEEEZNS1_34radix_sort_onesweep_global_offsetsIS3_Lb0ENS6_6detail15normal_iteratorINS6_10device_ptrIjEEEENSD_INSE_IS9_EEEEjNS0_19identity_decomposerEEE10hipError_tT1_T2_PT3_SN_jT4_jjP12ihipStream_tbEUlT_E_NS1_11comp_targetILNS1_3genE0ELNS1_11target_archE4294967295ELNS1_3gpuE0ELNS1_3repE0EEENS1_52radix_sort_onesweep_histogram_config_static_selectorELNS0_4arch9wavefront6targetE1EEEvSL_
	.globl	_ZN7rocprim17ROCPRIM_400000_NS6detail17trampoline_kernelINS0_14default_configENS1_35radix_sort_onesweep_config_selectorIjN6thrust23THRUST_200600_302600_NS5tupleIffNS6_9null_typeES8_S8_S8_S8_S8_S8_S8_EEEEZNS1_34radix_sort_onesweep_global_offsetsIS3_Lb0ENS6_6detail15normal_iteratorINS6_10device_ptrIjEEEENSD_INSE_IS9_EEEEjNS0_19identity_decomposerEEE10hipError_tT1_T2_PT3_SN_jT4_jjP12ihipStream_tbEUlT_E_NS1_11comp_targetILNS1_3genE0ELNS1_11target_archE4294967295ELNS1_3gpuE0ELNS1_3repE0EEENS1_52radix_sort_onesweep_histogram_config_static_selectorELNS0_4arch9wavefront6targetE1EEEvSL_
	.p2align	8
	.type	_ZN7rocprim17ROCPRIM_400000_NS6detail17trampoline_kernelINS0_14default_configENS1_35radix_sort_onesweep_config_selectorIjN6thrust23THRUST_200600_302600_NS5tupleIffNS6_9null_typeES8_S8_S8_S8_S8_S8_S8_EEEEZNS1_34radix_sort_onesweep_global_offsetsIS3_Lb0ENS6_6detail15normal_iteratorINS6_10device_ptrIjEEEENSD_INSE_IS9_EEEEjNS0_19identity_decomposerEEE10hipError_tT1_T2_PT3_SN_jT4_jjP12ihipStream_tbEUlT_E_NS1_11comp_targetILNS1_3genE0ELNS1_11target_archE4294967295ELNS1_3gpuE0ELNS1_3repE0EEENS1_52radix_sort_onesweep_histogram_config_static_selectorELNS0_4arch9wavefront6targetE1EEEvSL_,@function
_ZN7rocprim17ROCPRIM_400000_NS6detail17trampoline_kernelINS0_14default_configENS1_35radix_sort_onesweep_config_selectorIjN6thrust23THRUST_200600_302600_NS5tupleIffNS6_9null_typeES8_S8_S8_S8_S8_S8_S8_EEEEZNS1_34radix_sort_onesweep_global_offsetsIS3_Lb0ENS6_6detail15normal_iteratorINS6_10device_ptrIjEEEENSD_INSE_IS9_EEEEjNS0_19identity_decomposerEEE10hipError_tT1_T2_PT3_SN_jT4_jjP12ihipStream_tbEUlT_E_NS1_11comp_targetILNS1_3genE0ELNS1_11target_archE4294967295ELNS1_3gpuE0ELNS1_3repE0EEENS1_52radix_sort_onesweep_histogram_config_static_selectorELNS0_4arch9wavefront6targetE1EEEvSL_: ; @_ZN7rocprim17ROCPRIM_400000_NS6detail17trampoline_kernelINS0_14default_configENS1_35radix_sort_onesweep_config_selectorIjN6thrust23THRUST_200600_302600_NS5tupleIffNS6_9null_typeES8_S8_S8_S8_S8_S8_S8_EEEEZNS1_34radix_sort_onesweep_global_offsetsIS3_Lb0ENS6_6detail15normal_iteratorINS6_10device_ptrIjEEEENSD_INSE_IS9_EEEEjNS0_19identity_decomposerEEE10hipError_tT1_T2_PT3_SN_jT4_jjP12ihipStream_tbEUlT_E_NS1_11comp_targetILNS1_3genE0ELNS1_11target_archE4294967295ELNS1_3gpuE0ELNS1_3repE0EEENS1_52radix_sort_onesweep_histogram_config_static_selectorELNS0_4arch9wavefront6targetE1EEEvSL_
; %bb.0:
	.section	.rodata,"a",@progbits
	.p2align	6, 0x0
	.amdhsa_kernel _ZN7rocprim17ROCPRIM_400000_NS6detail17trampoline_kernelINS0_14default_configENS1_35radix_sort_onesweep_config_selectorIjN6thrust23THRUST_200600_302600_NS5tupleIffNS6_9null_typeES8_S8_S8_S8_S8_S8_S8_EEEEZNS1_34radix_sort_onesweep_global_offsetsIS3_Lb0ENS6_6detail15normal_iteratorINS6_10device_ptrIjEEEENSD_INSE_IS9_EEEEjNS0_19identity_decomposerEEE10hipError_tT1_T2_PT3_SN_jT4_jjP12ihipStream_tbEUlT_E_NS1_11comp_targetILNS1_3genE0ELNS1_11target_archE4294967295ELNS1_3gpuE0ELNS1_3repE0EEENS1_52radix_sort_onesweep_histogram_config_static_selectorELNS0_4arch9wavefront6targetE1EEEvSL_
		.amdhsa_group_segment_fixed_size 0
		.amdhsa_private_segment_fixed_size 0
		.amdhsa_kernarg_size 40
		.amdhsa_user_sgpr_count 6
		.amdhsa_user_sgpr_private_segment_buffer 1
		.amdhsa_user_sgpr_dispatch_ptr 0
		.amdhsa_user_sgpr_queue_ptr 0
		.amdhsa_user_sgpr_kernarg_segment_ptr 1
		.amdhsa_user_sgpr_dispatch_id 0
		.amdhsa_user_sgpr_flat_scratch_init 0
		.amdhsa_user_sgpr_kernarg_preload_length 0
		.amdhsa_user_sgpr_kernarg_preload_offset 0
		.amdhsa_user_sgpr_private_segment_size 0
		.amdhsa_uses_dynamic_stack 0
		.amdhsa_system_sgpr_private_segment_wavefront_offset 0
		.amdhsa_system_sgpr_workgroup_id_x 1
		.amdhsa_system_sgpr_workgroup_id_y 0
		.amdhsa_system_sgpr_workgroup_id_z 0
		.amdhsa_system_sgpr_workgroup_info 0
		.amdhsa_system_vgpr_workitem_id 0
		.amdhsa_next_free_vgpr 1
		.amdhsa_next_free_sgpr 0
		.amdhsa_accum_offset 4
		.amdhsa_reserve_vcc 0
		.amdhsa_reserve_flat_scratch 0
		.amdhsa_float_round_mode_32 0
		.amdhsa_float_round_mode_16_64 0
		.amdhsa_float_denorm_mode_32 3
		.amdhsa_float_denorm_mode_16_64 3
		.amdhsa_dx10_clamp 1
		.amdhsa_ieee_mode 1
		.amdhsa_fp16_overflow 0
		.amdhsa_tg_split 0
		.amdhsa_exception_fp_ieee_invalid_op 0
		.amdhsa_exception_fp_denorm_src 0
		.amdhsa_exception_fp_ieee_div_zero 0
		.amdhsa_exception_fp_ieee_overflow 0
		.amdhsa_exception_fp_ieee_underflow 0
		.amdhsa_exception_fp_ieee_inexact 0
		.amdhsa_exception_int_div_zero 0
	.end_amdhsa_kernel
	.section	.text._ZN7rocprim17ROCPRIM_400000_NS6detail17trampoline_kernelINS0_14default_configENS1_35radix_sort_onesweep_config_selectorIjN6thrust23THRUST_200600_302600_NS5tupleIffNS6_9null_typeES8_S8_S8_S8_S8_S8_S8_EEEEZNS1_34radix_sort_onesweep_global_offsetsIS3_Lb0ENS6_6detail15normal_iteratorINS6_10device_ptrIjEEEENSD_INSE_IS9_EEEEjNS0_19identity_decomposerEEE10hipError_tT1_T2_PT3_SN_jT4_jjP12ihipStream_tbEUlT_E_NS1_11comp_targetILNS1_3genE0ELNS1_11target_archE4294967295ELNS1_3gpuE0ELNS1_3repE0EEENS1_52radix_sort_onesweep_histogram_config_static_selectorELNS0_4arch9wavefront6targetE1EEEvSL_,"axG",@progbits,_ZN7rocprim17ROCPRIM_400000_NS6detail17trampoline_kernelINS0_14default_configENS1_35radix_sort_onesweep_config_selectorIjN6thrust23THRUST_200600_302600_NS5tupleIffNS6_9null_typeES8_S8_S8_S8_S8_S8_S8_EEEEZNS1_34radix_sort_onesweep_global_offsetsIS3_Lb0ENS6_6detail15normal_iteratorINS6_10device_ptrIjEEEENSD_INSE_IS9_EEEEjNS0_19identity_decomposerEEE10hipError_tT1_T2_PT3_SN_jT4_jjP12ihipStream_tbEUlT_E_NS1_11comp_targetILNS1_3genE0ELNS1_11target_archE4294967295ELNS1_3gpuE0ELNS1_3repE0EEENS1_52radix_sort_onesweep_histogram_config_static_selectorELNS0_4arch9wavefront6targetE1EEEvSL_,comdat
.Lfunc_end139:
	.size	_ZN7rocprim17ROCPRIM_400000_NS6detail17trampoline_kernelINS0_14default_configENS1_35radix_sort_onesweep_config_selectorIjN6thrust23THRUST_200600_302600_NS5tupleIffNS6_9null_typeES8_S8_S8_S8_S8_S8_S8_EEEEZNS1_34radix_sort_onesweep_global_offsetsIS3_Lb0ENS6_6detail15normal_iteratorINS6_10device_ptrIjEEEENSD_INSE_IS9_EEEEjNS0_19identity_decomposerEEE10hipError_tT1_T2_PT3_SN_jT4_jjP12ihipStream_tbEUlT_E_NS1_11comp_targetILNS1_3genE0ELNS1_11target_archE4294967295ELNS1_3gpuE0ELNS1_3repE0EEENS1_52radix_sort_onesweep_histogram_config_static_selectorELNS0_4arch9wavefront6targetE1EEEvSL_, .Lfunc_end139-_ZN7rocprim17ROCPRIM_400000_NS6detail17trampoline_kernelINS0_14default_configENS1_35radix_sort_onesweep_config_selectorIjN6thrust23THRUST_200600_302600_NS5tupleIffNS6_9null_typeES8_S8_S8_S8_S8_S8_S8_EEEEZNS1_34radix_sort_onesweep_global_offsetsIS3_Lb0ENS6_6detail15normal_iteratorINS6_10device_ptrIjEEEENSD_INSE_IS9_EEEEjNS0_19identity_decomposerEEE10hipError_tT1_T2_PT3_SN_jT4_jjP12ihipStream_tbEUlT_E_NS1_11comp_targetILNS1_3genE0ELNS1_11target_archE4294967295ELNS1_3gpuE0ELNS1_3repE0EEENS1_52radix_sort_onesweep_histogram_config_static_selectorELNS0_4arch9wavefront6targetE1EEEvSL_
                                        ; -- End function
	.section	.AMDGPU.csdata,"",@progbits
; Kernel info:
; codeLenInByte = 0
; NumSgprs: 4
; NumVgprs: 0
; NumAgprs: 0
; TotalNumVgprs: 0
; ScratchSize: 0
; MemoryBound: 0
; FloatMode: 240
; IeeeMode: 1
; LDSByteSize: 0 bytes/workgroup (compile time only)
; SGPRBlocks: 0
; VGPRBlocks: 0
; NumSGPRsForWavesPerEU: 4
; NumVGPRsForWavesPerEU: 1
; AccumOffset: 4
; Occupancy: 8
; WaveLimiterHint : 0
; COMPUTE_PGM_RSRC2:SCRATCH_EN: 0
; COMPUTE_PGM_RSRC2:USER_SGPR: 6
; COMPUTE_PGM_RSRC2:TRAP_HANDLER: 0
; COMPUTE_PGM_RSRC2:TGID_X_EN: 1
; COMPUTE_PGM_RSRC2:TGID_Y_EN: 0
; COMPUTE_PGM_RSRC2:TGID_Z_EN: 0
; COMPUTE_PGM_RSRC2:TIDIG_COMP_CNT: 0
; COMPUTE_PGM_RSRC3_GFX90A:ACCUM_OFFSET: 0
; COMPUTE_PGM_RSRC3_GFX90A:TG_SPLIT: 0
	.section	.text._ZN7rocprim17ROCPRIM_400000_NS6detail17trampoline_kernelINS0_14default_configENS1_35radix_sort_onesweep_config_selectorIjN6thrust23THRUST_200600_302600_NS5tupleIffNS6_9null_typeES8_S8_S8_S8_S8_S8_S8_EEEEZNS1_34radix_sort_onesweep_global_offsetsIS3_Lb0ENS6_6detail15normal_iteratorINS6_10device_ptrIjEEEENSD_INSE_IS9_EEEEjNS0_19identity_decomposerEEE10hipError_tT1_T2_PT3_SN_jT4_jjP12ihipStream_tbEUlT_E_NS1_11comp_targetILNS1_3genE6ELNS1_11target_archE950ELNS1_3gpuE13ELNS1_3repE0EEENS1_52radix_sort_onesweep_histogram_config_static_selectorELNS0_4arch9wavefront6targetE1EEEvSL_,"axG",@progbits,_ZN7rocprim17ROCPRIM_400000_NS6detail17trampoline_kernelINS0_14default_configENS1_35radix_sort_onesweep_config_selectorIjN6thrust23THRUST_200600_302600_NS5tupleIffNS6_9null_typeES8_S8_S8_S8_S8_S8_S8_EEEEZNS1_34radix_sort_onesweep_global_offsetsIS3_Lb0ENS6_6detail15normal_iteratorINS6_10device_ptrIjEEEENSD_INSE_IS9_EEEEjNS0_19identity_decomposerEEE10hipError_tT1_T2_PT3_SN_jT4_jjP12ihipStream_tbEUlT_E_NS1_11comp_targetILNS1_3genE6ELNS1_11target_archE950ELNS1_3gpuE13ELNS1_3repE0EEENS1_52radix_sort_onesweep_histogram_config_static_selectorELNS0_4arch9wavefront6targetE1EEEvSL_,comdat
	.protected	_ZN7rocprim17ROCPRIM_400000_NS6detail17trampoline_kernelINS0_14default_configENS1_35radix_sort_onesweep_config_selectorIjN6thrust23THRUST_200600_302600_NS5tupleIffNS6_9null_typeES8_S8_S8_S8_S8_S8_S8_EEEEZNS1_34radix_sort_onesweep_global_offsetsIS3_Lb0ENS6_6detail15normal_iteratorINS6_10device_ptrIjEEEENSD_INSE_IS9_EEEEjNS0_19identity_decomposerEEE10hipError_tT1_T2_PT3_SN_jT4_jjP12ihipStream_tbEUlT_E_NS1_11comp_targetILNS1_3genE6ELNS1_11target_archE950ELNS1_3gpuE13ELNS1_3repE0EEENS1_52radix_sort_onesweep_histogram_config_static_selectorELNS0_4arch9wavefront6targetE1EEEvSL_ ; -- Begin function _ZN7rocprim17ROCPRIM_400000_NS6detail17trampoline_kernelINS0_14default_configENS1_35radix_sort_onesweep_config_selectorIjN6thrust23THRUST_200600_302600_NS5tupleIffNS6_9null_typeES8_S8_S8_S8_S8_S8_S8_EEEEZNS1_34radix_sort_onesweep_global_offsetsIS3_Lb0ENS6_6detail15normal_iteratorINS6_10device_ptrIjEEEENSD_INSE_IS9_EEEEjNS0_19identity_decomposerEEE10hipError_tT1_T2_PT3_SN_jT4_jjP12ihipStream_tbEUlT_E_NS1_11comp_targetILNS1_3genE6ELNS1_11target_archE950ELNS1_3gpuE13ELNS1_3repE0EEENS1_52radix_sort_onesweep_histogram_config_static_selectorELNS0_4arch9wavefront6targetE1EEEvSL_
	.globl	_ZN7rocprim17ROCPRIM_400000_NS6detail17trampoline_kernelINS0_14default_configENS1_35radix_sort_onesweep_config_selectorIjN6thrust23THRUST_200600_302600_NS5tupleIffNS6_9null_typeES8_S8_S8_S8_S8_S8_S8_EEEEZNS1_34radix_sort_onesweep_global_offsetsIS3_Lb0ENS6_6detail15normal_iteratorINS6_10device_ptrIjEEEENSD_INSE_IS9_EEEEjNS0_19identity_decomposerEEE10hipError_tT1_T2_PT3_SN_jT4_jjP12ihipStream_tbEUlT_E_NS1_11comp_targetILNS1_3genE6ELNS1_11target_archE950ELNS1_3gpuE13ELNS1_3repE0EEENS1_52radix_sort_onesweep_histogram_config_static_selectorELNS0_4arch9wavefront6targetE1EEEvSL_
	.p2align	8
	.type	_ZN7rocprim17ROCPRIM_400000_NS6detail17trampoline_kernelINS0_14default_configENS1_35radix_sort_onesweep_config_selectorIjN6thrust23THRUST_200600_302600_NS5tupleIffNS6_9null_typeES8_S8_S8_S8_S8_S8_S8_EEEEZNS1_34radix_sort_onesweep_global_offsetsIS3_Lb0ENS6_6detail15normal_iteratorINS6_10device_ptrIjEEEENSD_INSE_IS9_EEEEjNS0_19identity_decomposerEEE10hipError_tT1_T2_PT3_SN_jT4_jjP12ihipStream_tbEUlT_E_NS1_11comp_targetILNS1_3genE6ELNS1_11target_archE950ELNS1_3gpuE13ELNS1_3repE0EEENS1_52radix_sort_onesweep_histogram_config_static_selectorELNS0_4arch9wavefront6targetE1EEEvSL_,@function
_ZN7rocprim17ROCPRIM_400000_NS6detail17trampoline_kernelINS0_14default_configENS1_35radix_sort_onesweep_config_selectorIjN6thrust23THRUST_200600_302600_NS5tupleIffNS6_9null_typeES8_S8_S8_S8_S8_S8_S8_EEEEZNS1_34radix_sort_onesweep_global_offsetsIS3_Lb0ENS6_6detail15normal_iteratorINS6_10device_ptrIjEEEENSD_INSE_IS9_EEEEjNS0_19identity_decomposerEEE10hipError_tT1_T2_PT3_SN_jT4_jjP12ihipStream_tbEUlT_E_NS1_11comp_targetILNS1_3genE6ELNS1_11target_archE950ELNS1_3gpuE13ELNS1_3repE0EEENS1_52radix_sort_onesweep_histogram_config_static_selectorELNS0_4arch9wavefront6targetE1EEEvSL_: ; @_ZN7rocprim17ROCPRIM_400000_NS6detail17trampoline_kernelINS0_14default_configENS1_35radix_sort_onesweep_config_selectorIjN6thrust23THRUST_200600_302600_NS5tupleIffNS6_9null_typeES8_S8_S8_S8_S8_S8_S8_EEEEZNS1_34radix_sort_onesweep_global_offsetsIS3_Lb0ENS6_6detail15normal_iteratorINS6_10device_ptrIjEEEENSD_INSE_IS9_EEEEjNS0_19identity_decomposerEEE10hipError_tT1_T2_PT3_SN_jT4_jjP12ihipStream_tbEUlT_E_NS1_11comp_targetILNS1_3genE6ELNS1_11target_archE950ELNS1_3gpuE13ELNS1_3repE0EEENS1_52radix_sort_onesweep_histogram_config_static_selectorELNS0_4arch9wavefront6targetE1EEEvSL_
; %bb.0:
	.section	.rodata,"a",@progbits
	.p2align	6, 0x0
	.amdhsa_kernel _ZN7rocprim17ROCPRIM_400000_NS6detail17trampoline_kernelINS0_14default_configENS1_35radix_sort_onesweep_config_selectorIjN6thrust23THRUST_200600_302600_NS5tupleIffNS6_9null_typeES8_S8_S8_S8_S8_S8_S8_EEEEZNS1_34radix_sort_onesweep_global_offsetsIS3_Lb0ENS6_6detail15normal_iteratorINS6_10device_ptrIjEEEENSD_INSE_IS9_EEEEjNS0_19identity_decomposerEEE10hipError_tT1_T2_PT3_SN_jT4_jjP12ihipStream_tbEUlT_E_NS1_11comp_targetILNS1_3genE6ELNS1_11target_archE950ELNS1_3gpuE13ELNS1_3repE0EEENS1_52radix_sort_onesweep_histogram_config_static_selectorELNS0_4arch9wavefront6targetE1EEEvSL_
		.amdhsa_group_segment_fixed_size 0
		.amdhsa_private_segment_fixed_size 0
		.amdhsa_kernarg_size 40
		.amdhsa_user_sgpr_count 6
		.amdhsa_user_sgpr_private_segment_buffer 1
		.amdhsa_user_sgpr_dispatch_ptr 0
		.amdhsa_user_sgpr_queue_ptr 0
		.amdhsa_user_sgpr_kernarg_segment_ptr 1
		.amdhsa_user_sgpr_dispatch_id 0
		.amdhsa_user_sgpr_flat_scratch_init 0
		.amdhsa_user_sgpr_kernarg_preload_length 0
		.amdhsa_user_sgpr_kernarg_preload_offset 0
		.amdhsa_user_sgpr_private_segment_size 0
		.amdhsa_uses_dynamic_stack 0
		.amdhsa_system_sgpr_private_segment_wavefront_offset 0
		.amdhsa_system_sgpr_workgroup_id_x 1
		.amdhsa_system_sgpr_workgroup_id_y 0
		.amdhsa_system_sgpr_workgroup_id_z 0
		.amdhsa_system_sgpr_workgroup_info 0
		.amdhsa_system_vgpr_workitem_id 0
		.amdhsa_next_free_vgpr 1
		.amdhsa_next_free_sgpr 0
		.amdhsa_accum_offset 4
		.amdhsa_reserve_vcc 0
		.amdhsa_reserve_flat_scratch 0
		.amdhsa_float_round_mode_32 0
		.amdhsa_float_round_mode_16_64 0
		.amdhsa_float_denorm_mode_32 3
		.amdhsa_float_denorm_mode_16_64 3
		.amdhsa_dx10_clamp 1
		.amdhsa_ieee_mode 1
		.amdhsa_fp16_overflow 0
		.amdhsa_tg_split 0
		.amdhsa_exception_fp_ieee_invalid_op 0
		.amdhsa_exception_fp_denorm_src 0
		.amdhsa_exception_fp_ieee_div_zero 0
		.amdhsa_exception_fp_ieee_overflow 0
		.amdhsa_exception_fp_ieee_underflow 0
		.amdhsa_exception_fp_ieee_inexact 0
		.amdhsa_exception_int_div_zero 0
	.end_amdhsa_kernel
	.section	.text._ZN7rocprim17ROCPRIM_400000_NS6detail17trampoline_kernelINS0_14default_configENS1_35radix_sort_onesweep_config_selectorIjN6thrust23THRUST_200600_302600_NS5tupleIffNS6_9null_typeES8_S8_S8_S8_S8_S8_S8_EEEEZNS1_34radix_sort_onesweep_global_offsetsIS3_Lb0ENS6_6detail15normal_iteratorINS6_10device_ptrIjEEEENSD_INSE_IS9_EEEEjNS0_19identity_decomposerEEE10hipError_tT1_T2_PT3_SN_jT4_jjP12ihipStream_tbEUlT_E_NS1_11comp_targetILNS1_3genE6ELNS1_11target_archE950ELNS1_3gpuE13ELNS1_3repE0EEENS1_52radix_sort_onesweep_histogram_config_static_selectorELNS0_4arch9wavefront6targetE1EEEvSL_,"axG",@progbits,_ZN7rocprim17ROCPRIM_400000_NS6detail17trampoline_kernelINS0_14default_configENS1_35radix_sort_onesweep_config_selectorIjN6thrust23THRUST_200600_302600_NS5tupleIffNS6_9null_typeES8_S8_S8_S8_S8_S8_S8_EEEEZNS1_34radix_sort_onesweep_global_offsetsIS3_Lb0ENS6_6detail15normal_iteratorINS6_10device_ptrIjEEEENSD_INSE_IS9_EEEEjNS0_19identity_decomposerEEE10hipError_tT1_T2_PT3_SN_jT4_jjP12ihipStream_tbEUlT_E_NS1_11comp_targetILNS1_3genE6ELNS1_11target_archE950ELNS1_3gpuE13ELNS1_3repE0EEENS1_52radix_sort_onesweep_histogram_config_static_selectorELNS0_4arch9wavefront6targetE1EEEvSL_,comdat
.Lfunc_end140:
	.size	_ZN7rocprim17ROCPRIM_400000_NS6detail17trampoline_kernelINS0_14default_configENS1_35radix_sort_onesweep_config_selectorIjN6thrust23THRUST_200600_302600_NS5tupleIffNS6_9null_typeES8_S8_S8_S8_S8_S8_S8_EEEEZNS1_34radix_sort_onesweep_global_offsetsIS3_Lb0ENS6_6detail15normal_iteratorINS6_10device_ptrIjEEEENSD_INSE_IS9_EEEEjNS0_19identity_decomposerEEE10hipError_tT1_T2_PT3_SN_jT4_jjP12ihipStream_tbEUlT_E_NS1_11comp_targetILNS1_3genE6ELNS1_11target_archE950ELNS1_3gpuE13ELNS1_3repE0EEENS1_52radix_sort_onesweep_histogram_config_static_selectorELNS0_4arch9wavefront6targetE1EEEvSL_, .Lfunc_end140-_ZN7rocprim17ROCPRIM_400000_NS6detail17trampoline_kernelINS0_14default_configENS1_35radix_sort_onesweep_config_selectorIjN6thrust23THRUST_200600_302600_NS5tupleIffNS6_9null_typeES8_S8_S8_S8_S8_S8_S8_EEEEZNS1_34radix_sort_onesweep_global_offsetsIS3_Lb0ENS6_6detail15normal_iteratorINS6_10device_ptrIjEEEENSD_INSE_IS9_EEEEjNS0_19identity_decomposerEEE10hipError_tT1_T2_PT3_SN_jT4_jjP12ihipStream_tbEUlT_E_NS1_11comp_targetILNS1_3genE6ELNS1_11target_archE950ELNS1_3gpuE13ELNS1_3repE0EEENS1_52radix_sort_onesweep_histogram_config_static_selectorELNS0_4arch9wavefront6targetE1EEEvSL_
                                        ; -- End function
	.section	.AMDGPU.csdata,"",@progbits
; Kernel info:
; codeLenInByte = 0
; NumSgprs: 4
; NumVgprs: 0
; NumAgprs: 0
; TotalNumVgprs: 0
; ScratchSize: 0
; MemoryBound: 0
; FloatMode: 240
; IeeeMode: 1
; LDSByteSize: 0 bytes/workgroup (compile time only)
; SGPRBlocks: 0
; VGPRBlocks: 0
; NumSGPRsForWavesPerEU: 4
; NumVGPRsForWavesPerEU: 1
; AccumOffset: 4
; Occupancy: 8
; WaveLimiterHint : 0
; COMPUTE_PGM_RSRC2:SCRATCH_EN: 0
; COMPUTE_PGM_RSRC2:USER_SGPR: 6
; COMPUTE_PGM_RSRC2:TRAP_HANDLER: 0
; COMPUTE_PGM_RSRC2:TGID_X_EN: 1
; COMPUTE_PGM_RSRC2:TGID_Y_EN: 0
; COMPUTE_PGM_RSRC2:TGID_Z_EN: 0
; COMPUTE_PGM_RSRC2:TIDIG_COMP_CNT: 0
; COMPUTE_PGM_RSRC3_GFX90A:ACCUM_OFFSET: 0
; COMPUTE_PGM_RSRC3_GFX90A:TG_SPLIT: 0
	.section	.text._ZN7rocprim17ROCPRIM_400000_NS6detail17trampoline_kernelINS0_14default_configENS1_35radix_sort_onesweep_config_selectorIjN6thrust23THRUST_200600_302600_NS5tupleIffNS6_9null_typeES8_S8_S8_S8_S8_S8_S8_EEEEZNS1_34radix_sort_onesweep_global_offsetsIS3_Lb0ENS6_6detail15normal_iteratorINS6_10device_ptrIjEEEENSD_INSE_IS9_EEEEjNS0_19identity_decomposerEEE10hipError_tT1_T2_PT3_SN_jT4_jjP12ihipStream_tbEUlT_E_NS1_11comp_targetILNS1_3genE5ELNS1_11target_archE942ELNS1_3gpuE9ELNS1_3repE0EEENS1_52radix_sort_onesweep_histogram_config_static_selectorELNS0_4arch9wavefront6targetE1EEEvSL_,"axG",@progbits,_ZN7rocprim17ROCPRIM_400000_NS6detail17trampoline_kernelINS0_14default_configENS1_35radix_sort_onesweep_config_selectorIjN6thrust23THRUST_200600_302600_NS5tupleIffNS6_9null_typeES8_S8_S8_S8_S8_S8_S8_EEEEZNS1_34radix_sort_onesweep_global_offsetsIS3_Lb0ENS6_6detail15normal_iteratorINS6_10device_ptrIjEEEENSD_INSE_IS9_EEEEjNS0_19identity_decomposerEEE10hipError_tT1_T2_PT3_SN_jT4_jjP12ihipStream_tbEUlT_E_NS1_11comp_targetILNS1_3genE5ELNS1_11target_archE942ELNS1_3gpuE9ELNS1_3repE0EEENS1_52radix_sort_onesweep_histogram_config_static_selectorELNS0_4arch9wavefront6targetE1EEEvSL_,comdat
	.protected	_ZN7rocprim17ROCPRIM_400000_NS6detail17trampoline_kernelINS0_14default_configENS1_35radix_sort_onesweep_config_selectorIjN6thrust23THRUST_200600_302600_NS5tupleIffNS6_9null_typeES8_S8_S8_S8_S8_S8_S8_EEEEZNS1_34radix_sort_onesweep_global_offsetsIS3_Lb0ENS6_6detail15normal_iteratorINS6_10device_ptrIjEEEENSD_INSE_IS9_EEEEjNS0_19identity_decomposerEEE10hipError_tT1_T2_PT3_SN_jT4_jjP12ihipStream_tbEUlT_E_NS1_11comp_targetILNS1_3genE5ELNS1_11target_archE942ELNS1_3gpuE9ELNS1_3repE0EEENS1_52radix_sort_onesweep_histogram_config_static_selectorELNS0_4arch9wavefront6targetE1EEEvSL_ ; -- Begin function _ZN7rocprim17ROCPRIM_400000_NS6detail17trampoline_kernelINS0_14default_configENS1_35radix_sort_onesweep_config_selectorIjN6thrust23THRUST_200600_302600_NS5tupleIffNS6_9null_typeES8_S8_S8_S8_S8_S8_S8_EEEEZNS1_34radix_sort_onesweep_global_offsetsIS3_Lb0ENS6_6detail15normal_iteratorINS6_10device_ptrIjEEEENSD_INSE_IS9_EEEEjNS0_19identity_decomposerEEE10hipError_tT1_T2_PT3_SN_jT4_jjP12ihipStream_tbEUlT_E_NS1_11comp_targetILNS1_3genE5ELNS1_11target_archE942ELNS1_3gpuE9ELNS1_3repE0EEENS1_52radix_sort_onesweep_histogram_config_static_selectorELNS0_4arch9wavefront6targetE1EEEvSL_
	.globl	_ZN7rocprim17ROCPRIM_400000_NS6detail17trampoline_kernelINS0_14default_configENS1_35radix_sort_onesweep_config_selectorIjN6thrust23THRUST_200600_302600_NS5tupleIffNS6_9null_typeES8_S8_S8_S8_S8_S8_S8_EEEEZNS1_34radix_sort_onesweep_global_offsetsIS3_Lb0ENS6_6detail15normal_iteratorINS6_10device_ptrIjEEEENSD_INSE_IS9_EEEEjNS0_19identity_decomposerEEE10hipError_tT1_T2_PT3_SN_jT4_jjP12ihipStream_tbEUlT_E_NS1_11comp_targetILNS1_3genE5ELNS1_11target_archE942ELNS1_3gpuE9ELNS1_3repE0EEENS1_52radix_sort_onesweep_histogram_config_static_selectorELNS0_4arch9wavefront6targetE1EEEvSL_
	.p2align	8
	.type	_ZN7rocprim17ROCPRIM_400000_NS6detail17trampoline_kernelINS0_14default_configENS1_35radix_sort_onesweep_config_selectorIjN6thrust23THRUST_200600_302600_NS5tupleIffNS6_9null_typeES8_S8_S8_S8_S8_S8_S8_EEEEZNS1_34radix_sort_onesweep_global_offsetsIS3_Lb0ENS6_6detail15normal_iteratorINS6_10device_ptrIjEEEENSD_INSE_IS9_EEEEjNS0_19identity_decomposerEEE10hipError_tT1_T2_PT3_SN_jT4_jjP12ihipStream_tbEUlT_E_NS1_11comp_targetILNS1_3genE5ELNS1_11target_archE942ELNS1_3gpuE9ELNS1_3repE0EEENS1_52radix_sort_onesweep_histogram_config_static_selectorELNS0_4arch9wavefront6targetE1EEEvSL_,@function
_ZN7rocprim17ROCPRIM_400000_NS6detail17trampoline_kernelINS0_14default_configENS1_35radix_sort_onesweep_config_selectorIjN6thrust23THRUST_200600_302600_NS5tupleIffNS6_9null_typeES8_S8_S8_S8_S8_S8_S8_EEEEZNS1_34radix_sort_onesweep_global_offsetsIS3_Lb0ENS6_6detail15normal_iteratorINS6_10device_ptrIjEEEENSD_INSE_IS9_EEEEjNS0_19identity_decomposerEEE10hipError_tT1_T2_PT3_SN_jT4_jjP12ihipStream_tbEUlT_E_NS1_11comp_targetILNS1_3genE5ELNS1_11target_archE942ELNS1_3gpuE9ELNS1_3repE0EEENS1_52radix_sort_onesweep_histogram_config_static_selectorELNS0_4arch9wavefront6targetE1EEEvSL_: ; @_ZN7rocprim17ROCPRIM_400000_NS6detail17trampoline_kernelINS0_14default_configENS1_35radix_sort_onesweep_config_selectorIjN6thrust23THRUST_200600_302600_NS5tupleIffNS6_9null_typeES8_S8_S8_S8_S8_S8_S8_EEEEZNS1_34radix_sort_onesweep_global_offsetsIS3_Lb0ENS6_6detail15normal_iteratorINS6_10device_ptrIjEEEENSD_INSE_IS9_EEEEjNS0_19identity_decomposerEEE10hipError_tT1_T2_PT3_SN_jT4_jjP12ihipStream_tbEUlT_E_NS1_11comp_targetILNS1_3genE5ELNS1_11target_archE942ELNS1_3gpuE9ELNS1_3repE0EEENS1_52radix_sort_onesweep_histogram_config_static_selectorELNS0_4arch9wavefront6targetE1EEEvSL_
; %bb.0:
	.section	.rodata,"a",@progbits
	.p2align	6, 0x0
	.amdhsa_kernel _ZN7rocprim17ROCPRIM_400000_NS6detail17trampoline_kernelINS0_14default_configENS1_35radix_sort_onesweep_config_selectorIjN6thrust23THRUST_200600_302600_NS5tupleIffNS6_9null_typeES8_S8_S8_S8_S8_S8_S8_EEEEZNS1_34radix_sort_onesweep_global_offsetsIS3_Lb0ENS6_6detail15normal_iteratorINS6_10device_ptrIjEEEENSD_INSE_IS9_EEEEjNS0_19identity_decomposerEEE10hipError_tT1_T2_PT3_SN_jT4_jjP12ihipStream_tbEUlT_E_NS1_11comp_targetILNS1_3genE5ELNS1_11target_archE942ELNS1_3gpuE9ELNS1_3repE0EEENS1_52radix_sort_onesweep_histogram_config_static_selectorELNS0_4arch9wavefront6targetE1EEEvSL_
		.amdhsa_group_segment_fixed_size 0
		.amdhsa_private_segment_fixed_size 0
		.amdhsa_kernarg_size 40
		.amdhsa_user_sgpr_count 6
		.amdhsa_user_sgpr_private_segment_buffer 1
		.amdhsa_user_sgpr_dispatch_ptr 0
		.amdhsa_user_sgpr_queue_ptr 0
		.amdhsa_user_sgpr_kernarg_segment_ptr 1
		.amdhsa_user_sgpr_dispatch_id 0
		.amdhsa_user_sgpr_flat_scratch_init 0
		.amdhsa_user_sgpr_kernarg_preload_length 0
		.amdhsa_user_sgpr_kernarg_preload_offset 0
		.amdhsa_user_sgpr_private_segment_size 0
		.amdhsa_uses_dynamic_stack 0
		.amdhsa_system_sgpr_private_segment_wavefront_offset 0
		.amdhsa_system_sgpr_workgroup_id_x 1
		.amdhsa_system_sgpr_workgroup_id_y 0
		.amdhsa_system_sgpr_workgroup_id_z 0
		.amdhsa_system_sgpr_workgroup_info 0
		.amdhsa_system_vgpr_workitem_id 0
		.amdhsa_next_free_vgpr 1
		.amdhsa_next_free_sgpr 0
		.amdhsa_accum_offset 4
		.amdhsa_reserve_vcc 0
		.amdhsa_reserve_flat_scratch 0
		.amdhsa_float_round_mode_32 0
		.amdhsa_float_round_mode_16_64 0
		.amdhsa_float_denorm_mode_32 3
		.amdhsa_float_denorm_mode_16_64 3
		.amdhsa_dx10_clamp 1
		.amdhsa_ieee_mode 1
		.amdhsa_fp16_overflow 0
		.amdhsa_tg_split 0
		.amdhsa_exception_fp_ieee_invalid_op 0
		.amdhsa_exception_fp_denorm_src 0
		.amdhsa_exception_fp_ieee_div_zero 0
		.amdhsa_exception_fp_ieee_overflow 0
		.amdhsa_exception_fp_ieee_underflow 0
		.amdhsa_exception_fp_ieee_inexact 0
		.amdhsa_exception_int_div_zero 0
	.end_amdhsa_kernel
	.section	.text._ZN7rocprim17ROCPRIM_400000_NS6detail17trampoline_kernelINS0_14default_configENS1_35radix_sort_onesweep_config_selectorIjN6thrust23THRUST_200600_302600_NS5tupleIffNS6_9null_typeES8_S8_S8_S8_S8_S8_S8_EEEEZNS1_34radix_sort_onesweep_global_offsetsIS3_Lb0ENS6_6detail15normal_iteratorINS6_10device_ptrIjEEEENSD_INSE_IS9_EEEEjNS0_19identity_decomposerEEE10hipError_tT1_T2_PT3_SN_jT4_jjP12ihipStream_tbEUlT_E_NS1_11comp_targetILNS1_3genE5ELNS1_11target_archE942ELNS1_3gpuE9ELNS1_3repE0EEENS1_52radix_sort_onesweep_histogram_config_static_selectorELNS0_4arch9wavefront6targetE1EEEvSL_,"axG",@progbits,_ZN7rocprim17ROCPRIM_400000_NS6detail17trampoline_kernelINS0_14default_configENS1_35radix_sort_onesweep_config_selectorIjN6thrust23THRUST_200600_302600_NS5tupleIffNS6_9null_typeES8_S8_S8_S8_S8_S8_S8_EEEEZNS1_34radix_sort_onesweep_global_offsetsIS3_Lb0ENS6_6detail15normal_iteratorINS6_10device_ptrIjEEEENSD_INSE_IS9_EEEEjNS0_19identity_decomposerEEE10hipError_tT1_T2_PT3_SN_jT4_jjP12ihipStream_tbEUlT_E_NS1_11comp_targetILNS1_3genE5ELNS1_11target_archE942ELNS1_3gpuE9ELNS1_3repE0EEENS1_52radix_sort_onesweep_histogram_config_static_selectorELNS0_4arch9wavefront6targetE1EEEvSL_,comdat
.Lfunc_end141:
	.size	_ZN7rocprim17ROCPRIM_400000_NS6detail17trampoline_kernelINS0_14default_configENS1_35radix_sort_onesweep_config_selectorIjN6thrust23THRUST_200600_302600_NS5tupleIffNS6_9null_typeES8_S8_S8_S8_S8_S8_S8_EEEEZNS1_34radix_sort_onesweep_global_offsetsIS3_Lb0ENS6_6detail15normal_iteratorINS6_10device_ptrIjEEEENSD_INSE_IS9_EEEEjNS0_19identity_decomposerEEE10hipError_tT1_T2_PT3_SN_jT4_jjP12ihipStream_tbEUlT_E_NS1_11comp_targetILNS1_3genE5ELNS1_11target_archE942ELNS1_3gpuE9ELNS1_3repE0EEENS1_52radix_sort_onesweep_histogram_config_static_selectorELNS0_4arch9wavefront6targetE1EEEvSL_, .Lfunc_end141-_ZN7rocprim17ROCPRIM_400000_NS6detail17trampoline_kernelINS0_14default_configENS1_35radix_sort_onesweep_config_selectorIjN6thrust23THRUST_200600_302600_NS5tupleIffNS6_9null_typeES8_S8_S8_S8_S8_S8_S8_EEEEZNS1_34radix_sort_onesweep_global_offsetsIS3_Lb0ENS6_6detail15normal_iteratorINS6_10device_ptrIjEEEENSD_INSE_IS9_EEEEjNS0_19identity_decomposerEEE10hipError_tT1_T2_PT3_SN_jT4_jjP12ihipStream_tbEUlT_E_NS1_11comp_targetILNS1_3genE5ELNS1_11target_archE942ELNS1_3gpuE9ELNS1_3repE0EEENS1_52radix_sort_onesweep_histogram_config_static_selectorELNS0_4arch9wavefront6targetE1EEEvSL_
                                        ; -- End function
	.section	.AMDGPU.csdata,"",@progbits
; Kernel info:
; codeLenInByte = 0
; NumSgprs: 4
; NumVgprs: 0
; NumAgprs: 0
; TotalNumVgprs: 0
; ScratchSize: 0
; MemoryBound: 0
; FloatMode: 240
; IeeeMode: 1
; LDSByteSize: 0 bytes/workgroup (compile time only)
; SGPRBlocks: 0
; VGPRBlocks: 0
; NumSGPRsForWavesPerEU: 4
; NumVGPRsForWavesPerEU: 1
; AccumOffset: 4
; Occupancy: 8
; WaveLimiterHint : 0
; COMPUTE_PGM_RSRC2:SCRATCH_EN: 0
; COMPUTE_PGM_RSRC2:USER_SGPR: 6
; COMPUTE_PGM_RSRC2:TRAP_HANDLER: 0
; COMPUTE_PGM_RSRC2:TGID_X_EN: 1
; COMPUTE_PGM_RSRC2:TGID_Y_EN: 0
; COMPUTE_PGM_RSRC2:TGID_Z_EN: 0
; COMPUTE_PGM_RSRC2:TIDIG_COMP_CNT: 0
; COMPUTE_PGM_RSRC3_GFX90A:ACCUM_OFFSET: 0
; COMPUTE_PGM_RSRC3_GFX90A:TG_SPLIT: 0
	.section	.text._ZN7rocprim17ROCPRIM_400000_NS6detail17trampoline_kernelINS0_14default_configENS1_35radix_sort_onesweep_config_selectorIjN6thrust23THRUST_200600_302600_NS5tupleIffNS6_9null_typeES8_S8_S8_S8_S8_S8_S8_EEEEZNS1_34radix_sort_onesweep_global_offsetsIS3_Lb0ENS6_6detail15normal_iteratorINS6_10device_ptrIjEEEENSD_INSE_IS9_EEEEjNS0_19identity_decomposerEEE10hipError_tT1_T2_PT3_SN_jT4_jjP12ihipStream_tbEUlT_E_NS1_11comp_targetILNS1_3genE2ELNS1_11target_archE906ELNS1_3gpuE6ELNS1_3repE0EEENS1_52radix_sort_onesweep_histogram_config_static_selectorELNS0_4arch9wavefront6targetE1EEEvSL_,"axG",@progbits,_ZN7rocprim17ROCPRIM_400000_NS6detail17trampoline_kernelINS0_14default_configENS1_35radix_sort_onesweep_config_selectorIjN6thrust23THRUST_200600_302600_NS5tupleIffNS6_9null_typeES8_S8_S8_S8_S8_S8_S8_EEEEZNS1_34radix_sort_onesweep_global_offsetsIS3_Lb0ENS6_6detail15normal_iteratorINS6_10device_ptrIjEEEENSD_INSE_IS9_EEEEjNS0_19identity_decomposerEEE10hipError_tT1_T2_PT3_SN_jT4_jjP12ihipStream_tbEUlT_E_NS1_11comp_targetILNS1_3genE2ELNS1_11target_archE906ELNS1_3gpuE6ELNS1_3repE0EEENS1_52radix_sort_onesweep_histogram_config_static_selectorELNS0_4arch9wavefront6targetE1EEEvSL_,comdat
	.protected	_ZN7rocprim17ROCPRIM_400000_NS6detail17trampoline_kernelINS0_14default_configENS1_35radix_sort_onesweep_config_selectorIjN6thrust23THRUST_200600_302600_NS5tupleIffNS6_9null_typeES8_S8_S8_S8_S8_S8_S8_EEEEZNS1_34radix_sort_onesweep_global_offsetsIS3_Lb0ENS6_6detail15normal_iteratorINS6_10device_ptrIjEEEENSD_INSE_IS9_EEEEjNS0_19identity_decomposerEEE10hipError_tT1_T2_PT3_SN_jT4_jjP12ihipStream_tbEUlT_E_NS1_11comp_targetILNS1_3genE2ELNS1_11target_archE906ELNS1_3gpuE6ELNS1_3repE0EEENS1_52radix_sort_onesweep_histogram_config_static_selectorELNS0_4arch9wavefront6targetE1EEEvSL_ ; -- Begin function _ZN7rocprim17ROCPRIM_400000_NS6detail17trampoline_kernelINS0_14default_configENS1_35radix_sort_onesweep_config_selectorIjN6thrust23THRUST_200600_302600_NS5tupleIffNS6_9null_typeES8_S8_S8_S8_S8_S8_S8_EEEEZNS1_34radix_sort_onesweep_global_offsetsIS3_Lb0ENS6_6detail15normal_iteratorINS6_10device_ptrIjEEEENSD_INSE_IS9_EEEEjNS0_19identity_decomposerEEE10hipError_tT1_T2_PT3_SN_jT4_jjP12ihipStream_tbEUlT_E_NS1_11comp_targetILNS1_3genE2ELNS1_11target_archE906ELNS1_3gpuE6ELNS1_3repE0EEENS1_52radix_sort_onesweep_histogram_config_static_selectorELNS0_4arch9wavefront6targetE1EEEvSL_
	.globl	_ZN7rocprim17ROCPRIM_400000_NS6detail17trampoline_kernelINS0_14default_configENS1_35radix_sort_onesweep_config_selectorIjN6thrust23THRUST_200600_302600_NS5tupleIffNS6_9null_typeES8_S8_S8_S8_S8_S8_S8_EEEEZNS1_34radix_sort_onesweep_global_offsetsIS3_Lb0ENS6_6detail15normal_iteratorINS6_10device_ptrIjEEEENSD_INSE_IS9_EEEEjNS0_19identity_decomposerEEE10hipError_tT1_T2_PT3_SN_jT4_jjP12ihipStream_tbEUlT_E_NS1_11comp_targetILNS1_3genE2ELNS1_11target_archE906ELNS1_3gpuE6ELNS1_3repE0EEENS1_52radix_sort_onesweep_histogram_config_static_selectorELNS0_4arch9wavefront6targetE1EEEvSL_
	.p2align	8
	.type	_ZN7rocprim17ROCPRIM_400000_NS6detail17trampoline_kernelINS0_14default_configENS1_35radix_sort_onesweep_config_selectorIjN6thrust23THRUST_200600_302600_NS5tupleIffNS6_9null_typeES8_S8_S8_S8_S8_S8_S8_EEEEZNS1_34radix_sort_onesweep_global_offsetsIS3_Lb0ENS6_6detail15normal_iteratorINS6_10device_ptrIjEEEENSD_INSE_IS9_EEEEjNS0_19identity_decomposerEEE10hipError_tT1_T2_PT3_SN_jT4_jjP12ihipStream_tbEUlT_E_NS1_11comp_targetILNS1_3genE2ELNS1_11target_archE906ELNS1_3gpuE6ELNS1_3repE0EEENS1_52radix_sort_onesweep_histogram_config_static_selectorELNS0_4arch9wavefront6targetE1EEEvSL_,@function
_ZN7rocprim17ROCPRIM_400000_NS6detail17trampoline_kernelINS0_14default_configENS1_35radix_sort_onesweep_config_selectorIjN6thrust23THRUST_200600_302600_NS5tupleIffNS6_9null_typeES8_S8_S8_S8_S8_S8_S8_EEEEZNS1_34radix_sort_onesweep_global_offsetsIS3_Lb0ENS6_6detail15normal_iteratorINS6_10device_ptrIjEEEENSD_INSE_IS9_EEEEjNS0_19identity_decomposerEEE10hipError_tT1_T2_PT3_SN_jT4_jjP12ihipStream_tbEUlT_E_NS1_11comp_targetILNS1_3genE2ELNS1_11target_archE906ELNS1_3gpuE6ELNS1_3repE0EEENS1_52radix_sort_onesweep_histogram_config_static_selectorELNS0_4arch9wavefront6targetE1EEEvSL_: ; @_ZN7rocprim17ROCPRIM_400000_NS6detail17trampoline_kernelINS0_14default_configENS1_35radix_sort_onesweep_config_selectorIjN6thrust23THRUST_200600_302600_NS5tupleIffNS6_9null_typeES8_S8_S8_S8_S8_S8_S8_EEEEZNS1_34radix_sort_onesweep_global_offsetsIS3_Lb0ENS6_6detail15normal_iteratorINS6_10device_ptrIjEEEENSD_INSE_IS9_EEEEjNS0_19identity_decomposerEEE10hipError_tT1_T2_PT3_SN_jT4_jjP12ihipStream_tbEUlT_E_NS1_11comp_targetILNS1_3genE2ELNS1_11target_archE906ELNS1_3gpuE6ELNS1_3repE0EEENS1_52radix_sort_onesweep_histogram_config_static_selectorELNS0_4arch9wavefront6targetE1EEEvSL_
; %bb.0:
	.section	.rodata,"a",@progbits
	.p2align	6, 0x0
	.amdhsa_kernel _ZN7rocprim17ROCPRIM_400000_NS6detail17trampoline_kernelINS0_14default_configENS1_35radix_sort_onesweep_config_selectorIjN6thrust23THRUST_200600_302600_NS5tupleIffNS6_9null_typeES8_S8_S8_S8_S8_S8_S8_EEEEZNS1_34radix_sort_onesweep_global_offsetsIS3_Lb0ENS6_6detail15normal_iteratorINS6_10device_ptrIjEEEENSD_INSE_IS9_EEEEjNS0_19identity_decomposerEEE10hipError_tT1_T2_PT3_SN_jT4_jjP12ihipStream_tbEUlT_E_NS1_11comp_targetILNS1_3genE2ELNS1_11target_archE906ELNS1_3gpuE6ELNS1_3repE0EEENS1_52radix_sort_onesweep_histogram_config_static_selectorELNS0_4arch9wavefront6targetE1EEEvSL_
		.amdhsa_group_segment_fixed_size 0
		.amdhsa_private_segment_fixed_size 0
		.amdhsa_kernarg_size 40
		.amdhsa_user_sgpr_count 6
		.amdhsa_user_sgpr_private_segment_buffer 1
		.amdhsa_user_sgpr_dispatch_ptr 0
		.amdhsa_user_sgpr_queue_ptr 0
		.amdhsa_user_sgpr_kernarg_segment_ptr 1
		.amdhsa_user_sgpr_dispatch_id 0
		.amdhsa_user_sgpr_flat_scratch_init 0
		.amdhsa_user_sgpr_kernarg_preload_length 0
		.amdhsa_user_sgpr_kernarg_preload_offset 0
		.amdhsa_user_sgpr_private_segment_size 0
		.amdhsa_uses_dynamic_stack 0
		.amdhsa_system_sgpr_private_segment_wavefront_offset 0
		.amdhsa_system_sgpr_workgroup_id_x 1
		.amdhsa_system_sgpr_workgroup_id_y 0
		.amdhsa_system_sgpr_workgroup_id_z 0
		.amdhsa_system_sgpr_workgroup_info 0
		.amdhsa_system_vgpr_workitem_id 0
		.amdhsa_next_free_vgpr 1
		.amdhsa_next_free_sgpr 0
		.amdhsa_accum_offset 4
		.amdhsa_reserve_vcc 0
		.amdhsa_reserve_flat_scratch 0
		.amdhsa_float_round_mode_32 0
		.amdhsa_float_round_mode_16_64 0
		.amdhsa_float_denorm_mode_32 3
		.amdhsa_float_denorm_mode_16_64 3
		.amdhsa_dx10_clamp 1
		.amdhsa_ieee_mode 1
		.amdhsa_fp16_overflow 0
		.amdhsa_tg_split 0
		.amdhsa_exception_fp_ieee_invalid_op 0
		.amdhsa_exception_fp_denorm_src 0
		.amdhsa_exception_fp_ieee_div_zero 0
		.amdhsa_exception_fp_ieee_overflow 0
		.amdhsa_exception_fp_ieee_underflow 0
		.amdhsa_exception_fp_ieee_inexact 0
		.amdhsa_exception_int_div_zero 0
	.end_amdhsa_kernel
	.section	.text._ZN7rocprim17ROCPRIM_400000_NS6detail17trampoline_kernelINS0_14default_configENS1_35radix_sort_onesweep_config_selectorIjN6thrust23THRUST_200600_302600_NS5tupleIffNS6_9null_typeES8_S8_S8_S8_S8_S8_S8_EEEEZNS1_34radix_sort_onesweep_global_offsetsIS3_Lb0ENS6_6detail15normal_iteratorINS6_10device_ptrIjEEEENSD_INSE_IS9_EEEEjNS0_19identity_decomposerEEE10hipError_tT1_T2_PT3_SN_jT4_jjP12ihipStream_tbEUlT_E_NS1_11comp_targetILNS1_3genE2ELNS1_11target_archE906ELNS1_3gpuE6ELNS1_3repE0EEENS1_52radix_sort_onesweep_histogram_config_static_selectorELNS0_4arch9wavefront6targetE1EEEvSL_,"axG",@progbits,_ZN7rocprim17ROCPRIM_400000_NS6detail17trampoline_kernelINS0_14default_configENS1_35radix_sort_onesweep_config_selectorIjN6thrust23THRUST_200600_302600_NS5tupleIffNS6_9null_typeES8_S8_S8_S8_S8_S8_S8_EEEEZNS1_34radix_sort_onesweep_global_offsetsIS3_Lb0ENS6_6detail15normal_iteratorINS6_10device_ptrIjEEEENSD_INSE_IS9_EEEEjNS0_19identity_decomposerEEE10hipError_tT1_T2_PT3_SN_jT4_jjP12ihipStream_tbEUlT_E_NS1_11comp_targetILNS1_3genE2ELNS1_11target_archE906ELNS1_3gpuE6ELNS1_3repE0EEENS1_52radix_sort_onesweep_histogram_config_static_selectorELNS0_4arch9wavefront6targetE1EEEvSL_,comdat
.Lfunc_end142:
	.size	_ZN7rocprim17ROCPRIM_400000_NS6detail17trampoline_kernelINS0_14default_configENS1_35radix_sort_onesweep_config_selectorIjN6thrust23THRUST_200600_302600_NS5tupleIffNS6_9null_typeES8_S8_S8_S8_S8_S8_S8_EEEEZNS1_34radix_sort_onesweep_global_offsetsIS3_Lb0ENS6_6detail15normal_iteratorINS6_10device_ptrIjEEEENSD_INSE_IS9_EEEEjNS0_19identity_decomposerEEE10hipError_tT1_T2_PT3_SN_jT4_jjP12ihipStream_tbEUlT_E_NS1_11comp_targetILNS1_3genE2ELNS1_11target_archE906ELNS1_3gpuE6ELNS1_3repE0EEENS1_52radix_sort_onesweep_histogram_config_static_selectorELNS0_4arch9wavefront6targetE1EEEvSL_, .Lfunc_end142-_ZN7rocprim17ROCPRIM_400000_NS6detail17trampoline_kernelINS0_14default_configENS1_35radix_sort_onesweep_config_selectorIjN6thrust23THRUST_200600_302600_NS5tupleIffNS6_9null_typeES8_S8_S8_S8_S8_S8_S8_EEEEZNS1_34radix_sort_onesweep_global_offsetsIS3_Lb0ENS6_6detail15normal_iteratorINS6_10device_ptrIjEEEENSD_INSE_IS9_EEEEjNS0_19identity_decomposerEEE10hipError_tT1_T2_PT3_SN_jT4_jjP12ihipStream_tbEUlT_E_NS1_11comp_targetILNS1_3genE2ELNS1_11target_archE906ELNS1_3gpuE6ELNS1_3repE0EEENS1_52radix_sort_onesweep_histogram_config_static_selectorELNS0_4arch9wavefront6targetE1EEEvSL_
                                        ; -- End function
	.section	.AMDGPU.csdata,"",@progbits
; Kernel info:
; codeLenInByte = 0
; NumSgprs: 4
; NumVgprs: 0
; NumAgprs: 0
; TotalNumVgprs: 0
; ScratchSize: 0
; MemoryBound: 0
; FloatMode: 240
; IeeeMode: 1
; LDSByteSize: 0 bytes/workgroup (compile time only)
; SGPRBlocks: 0
; VGPRBlocks: 0
; NumSGPRsForWavesPerEU: 4
; NumVGPRsForWavesPerEU: 1
; AccumOffset: 4
; Occupancy: 8
; WaveLimiterHint : 0
; COMPUTE_PGM_RSRC2:SCRATCH_EN: 0
; COMPUTE_PGM_RSRC2:USER_SGPR: 6
; COMPUTE_PGM_RSRC2:TRAP_HANDLER: 0
; COMPUTE_PGM_RSRC2:TGID_X_EN: 1
; COMPUTE_PGM_RSRC2:TGID_Y_EN: 0
; COMPUTE_PGM_RSRC2:TGID_Z_EN: 0
; COMPUTE_PGM_RSRC2:TIDIG_COMP_CNT: 0
; COMPUTE_PGM_RSRC3_GFX90A:ACCUM_OFFSET: 0
; COMPUTE_PGM_RSRC3_GFX90A:TG_SPLIT: 0
	.section	.text._ZN7rocprim17ROCPRIM_400000_NS6detail17trampoline_kernelINS0_14default_configENS1_35radix_sort_onesweep_config_selectorIjN6thrust23THRUST_200600_302600_NS5tupleIffNS6_9null_typeES8_S8_S8_S8_S8_S8_S8_EEEEZNS1_34radix_sort_onesweep_global_offsetsIS3_Lb0ENS6_6detail15normal_iteratorINS6_10device_ptrIjEEEENSD_INSE_IS9_EEEEjNS0_19identity_decomposerEEE10hipError_tT1_T2_PT3_SN_jT4_jjP12ihipStream_tbEUlT_E_NS1_11comp_targetILNS1_3genE4ELNS1_11target_archE910ELNS1_3gpuE8ELNS1_3repE0EEENS1_52radix_sort_onesweep_histogram_config_static_selectorELNS0_4arch9wavefront6targetE1EEEvSL_,"axG",@progbits,_ZN7rocprim17ROCPRIM_400000_NS6detail17trampoline_kernelINS0_14default_configENS1_35radix_sort_onesweep_config_selectorIjN6thrust23THRUST_200600_302600_NS5tupleIffNS6_9null_typeES8_S8_S8_S8_S8_S8_S8_EEEEZNS1_34radix_sort_onesweep_global_offsetsIS3_Lb0ENS6_6detail15normal_iteratorINS6_10device_ptrIjEEEENSD_INSE_IS9_EEEEjNS0_19identity_decomposerEEE10hipError_tT1_T2_PT3_SN_jT4_jjP12ihipStream_tbEUlT_E_NS1_11comp_targetILNS1_3genE4ELNS1_11target_archE910ELNS1_3gpuE8ELNS1_3repE0EEENS1_52radix_sort_onesweep_histogram_config_static_selectorELNS0_4arch9wavefront6targetE1EEEvSL_,comdat
	.protected	_ZN7rocprim17ROCPRIM_400000_NS6detail17trampoline_kernelINS0_14default_configENS1_35radix_sort_onesweep_config_selectorIjN6thrust23THRUST_200600_302600_NS5tupleIffNS6_9null_typeES8_S8_S8_S8_S8_S8_S8_EEEEZNS1_34radix_sort_onesweep_global_offsetsIS3_Lb0ENS6_6detail15normal_iteratorINS6_10device_ptrIjEEEENSD_INSE_IS9_EEEEjNS0_19identity_decomposerEEE10hipError_tT1_T2_PT3_SN_jT4_jjP12ihipStream_tbEUlT_E_NS1_11comp_targetILNS1_3genE4ELNS1_11target_archE910ELNS1_3gpuE8ELNS1_3repE0EEENS1_52radix_sort_onesweep_histogram_config_static_selectorELNS0_4arch9wavefront6targetE1EEEvSL_ ; -- Begin function _ZN7rocprim17ROCPRIM_400000_NS6detail17trampoline_kernelINS0_14default_configENS1_35radix_sort_onesweep_config_selectorIjN6thrust23THRUST_200600_302600_NS5tupleIffNS6_9null_typeES8_S8_S8_S8_S8_S8_S8_EEEEZNS1_34radix_sort_onesweep_global_offsetsIS3_Lb0ENS6_6detail15normal_iteratorINS6_10device_ptrIjEEEENSD_INSE_IS9_EEEEjNS0_19identity_decomposerEEE10hipError_tT1_T2_PT3_SN_jT4_jjP12ihipStream_tbEUlT_E_NS1_11comp_targetILNS1_3genE4ELNS1_11target_archE910ELNS1_3gpuE8ELNS1_3repE0EEENS1_52radix_sort_onesweep_histogram_config_static_selectorELNS0_4arch9wavefront6targetE1EEEvSL_
	.globl	_ZN7rocprim17ROCPRIM_400000_NS6detail17trampoline_kernelINS0_14default_configENS1_35radix_sort_onesweep_config_selectorIjN6thrust23THRUST_200600_302600_NS5tupleIffNS6_9null_typeES8_S8_S8_S8_S8_S8_S8_EEEEZNS1_34radix_sort_onesweep_global_offsetsIS3_Lb0ENS6_6detail15normal_iteratorINS6_10device_ptrIjEEEENSD_INSE_IS9_EEEEjNS0_19identity_decomposerEEE10hipError_tT1_T2_PT3_SN_jT4_jjP12ihipStream_tbEUlT_E_NS1_11comp_targetILNS1_3genE4ELNS1_11target_archE910ELNS1_3gpuE8ELNS1_3repE0EEENS1_52radix_sort_onesweep_histogram_config_static_selectorELNS0_4arch9wavefront6targetE1EEEvSL_
	.p2align	8
	.type	_ZN7rocprim17ROCPRIM_400000_NS6detail17trampoline_kernelINS0_14default_configENS1_35radix_sort_onesweep_config_selectorIjN6thrust23THRUST_200600_302600_NS5tupleIffNS6_9null_typeES8_S8_S8_S8_S8_S8_S8_EEEEZNS1_34radix_sort_onesweep_global_offsetsIS3_Lb0ENS6_6detail15normal_iteratorINS6_10device_ptrIjEEEENSD_INSE_IS9_EEEEjNS0_19identity_decomposerEEE10hipError_tT1_T2_PT3_SN_jT4_jjP12ihipStream_tbEUlT_E_NS1_11comp_targetILNS1_3genE4ELNS1_11target_archE910ELNS1_3gpuE8ELNS1_3repE0EEENS1_52radix_sort_onesweep_histogram_config_static_selectorELNS0_4arch9wavefront6targetE1EEEvSL_,@function
_ZN7rocprim17ROCPRIM_400000_NS6detail17trampoline_kernelINS0_14default_configENS1_35radix_sort_onesweep_config_selectorIjN6thrust23THRUST_200600_302600_NS5tupleIffNS6_9null_typeES8_S8_S8_S8_S8_S8_S8_EEEEZNS1_34radix_sort_onesweep_global_offsetsIS3_Lb0ENS6_6detail15normal_iteratorINS6_10device_ptrIjEEEENSD_INSE_IS9_EEEEjNS0_19identity_decomposerEEE10hipError_tT1_T2_PT3_SN_jT4_jjP12ihipStream_tbEUlT_E_NS1_11comp_targetILNS1_3genE4ELNS1_11target_archE910ELNS1_3gpuE8ELNS1_3repE0EEENS1_52radix_sort_onesweep_histogram_config_static_selectorELNS0_4arch9wavefront6targetE1EEEvSL_: ; @_ZN7rocprim17ROCPRIM_400000_NS6detail17trampoline_kernelINS0_14default_configENS1_35radix_sort_onesweep_config_selectorIjN6thrust23THRUST_200600_302600_NS5tupleIffNS6_9null_typeES8_S8_S8_S8_S8_S8_S8_EEEEZNS1_34radix_sort_onesweep_global_offsetsIS3_Lb0ENS6_6detail15normal_iteratorINS6_10device_ptrIjEEEENSD_INSE_IS9_EEEEjNS0_19identity_decomposerEEE10hipError_tT1_T2_PT3_SN_jT4_jjP12ihipStream_tbEUlT_E_NS1_11comp_targetILNS1_3genE4ELNS1_11target_archE910ELNS1_3gpuE8ELNS1_3repE0EEENS1_52radix_sort_onesweep_histogram_config_static_selectorELNS0_4arch9wavefront6targetE1EEEvSL_
; %bb.0:
	s_load_dword s7, s[4:5], 0x14
	s_load_dwordx4 s[8:11], s[4:5], 0x0
	s_load_dwordx2 s[2:3], s[4:5], 0x1c
	s_lshl_b32 s12, s6, 13
	s_mov_b64 s[0:1], -1
	s_waitcnt lgkmcnt(0)
	s_cmp_ge_u32 s6, s7
	s_cbranch_scc0 .LBB143_319
; %bb.1:
	s_load_dword s4, s[4:5], 0x10
	s_lshl_b32 s5, s7, 13
	s_mov_b32 s13, 0
	s_lshl_b64 s[0:1], s[12:13], 2
                                        ; implicit-def: $vgpr31
	s_waitcnt lgkmcnt(0)
	s_sub_i32 s13, s4, s5
	s_add_u32 s0, s8, s0
	s_addc_u32 s1, s9, s1
	v_cmp_gt_u32_e32 vcc, s13, v0
	s_and_saveexec_b64 s[4:5], vcc
	s_cbranch_execz .LBB143_3
; %bb.2:
	v_lshlrev_b32_e32 v1, 2, v0
	global_load_dword v31, v1, s[0:1]
.LBB143_3:
	s_or_b64 exec, exec, s[4:5]
	v_or_b32_e32 v32, 0x200, v0
	v_cmp_gt_u32_e32 vcc, s13, v32
                                        ; implicit-def: $vgpr30
	s_and_saveexec_b64 s[4:5], vcc
	s_cbranch_execz .LBB143_5
; %bb.4:
	v_lshlrev_b32_e32 v1, 2, v0
	global_load_dword v30, v1, s[0:1] offset:2048
.LBB143_5:
	s_or_b64 exec, exec, s[4:5]
	v_or_b32_e32 v29, 0x400, v0
	v_cmp_gt_u32_e32 vcc, s13, v29
                                        ; implicit-def: $vgpr28
	s_and_saveexec_b64 s[4:5], vcc
	s_cbranch_execz .LBB143_7
; %bb.6:
	v_lshlrev_b32_e32 v1, 2, v29
	global_load_dword v28, v1, s[0:1]
.LBB143_7:
	s_or_b64 exec, exec, s[4:5]
	v_or_b32_e32 v27, 0x600, v0
	v_cmp_gt_u32_e32 vcc, s13, v27
                                        ; implicit-def: $vgpr26
	s_and_saveexec_b64 s[4:5], vcc
	s_cbranch_execz .LBB143_9
; %bb.8:
	v_lshlrev_b32_e32 v1, 2, v27
	global_load_dword v26, v1, s[0:1]
.LBB143_9:
	s_or_b64 exec, exec, s[4:5]
	v_or_b32_e32 v25, 0x800, v0
	v_cmp_gt_u32_e32 vcc, s13, v25
                                        ; implicit-def: $vgpr24
	s_and_saveexec_b64 s[4:5], vcc
	s_cbranch_execz .LBB143_11
; %bb.10:
	v_lshlrev_b32_e32 v1, 2, v25
	global_load_dword v24, v1, s[0:1]
.LBB143_11:
	s_or_b64 exec, exec, s[4:5]
	v_or_b32_e32 v23, 0xa00, v0
	v_cmp_gt_u32_e32 vcc, s13, v23
                                        ; implicit-def: $vgpr22
	s_and_saveexec_b64 s[4:5], vcc
	s_cbranch_execz .LBB143_13
; %bb.12:
	v_lshlrev_b32_e32 v1, 2, v23
	global_load_dword v22, v1, s[0:1]
.LBB143_13:
	s_or_b64 exec, exec, s[4:5]
	v_or_b32_e32 v21, 0xc00, v0
	v_cmp_gt_u32_e32 vcc, s13, v21
                                        ; implicit-def: $vgpr20
	s_and_saveexec_b64 s[4:5], vcc
	s_cbranch_execz .LBB143_15
; %bb.14:
	v_lshlrev_b32_e32 v1, 2, v21
	global_load_dword v20, v1, s[0:1]
.LBB143_15:
	s_or_b64 exec, exec, s[4:5]
	v_or_b32_e32 v19, 0xe00, v0
	v_cmp_gt_u32_e32 vcc, s13, v19
                                        ; implicit-def: $vgpr18
	s_and_saveexec_b64 s[4:5], vcc
	s_cbranch_execz .LBB143_17
; %bb.16:
	v_lshlrev_b32_e32 v1, 2, v19
	global_load_dword v18, v1, s[0:1]
.LBB143_17:
	s_or_b64 exec, exec, s[4:5]
	v_or_b32_e32 v17, 0x1000, v0
	v_cmp_gt_u32_e32 vcc, s13, v17
                                        ; implicit-def: $vgpr16
	s_and_saveexec_b64 s[4:5], vcc
	s_cbranch_execz .LBB143_19
; %bb.18:
	v_lshlrev_b32_e32 v1, 2, v17
	global_load_dword v16, v1, s[0:1]
.LBB143_19:
	s_or_b64 exec, exec, s[4:5]
	v_or_b32_e32 v15, 0x1200, v0
	v_cmp_gt_u32_e32 vcc, s13, v15
                                        ; implicit-def: $vgpr14
	s_and_saveexec_b64 s[4:5], vcc
	s_cbranch_execz .LBB143_21
; %bb.20:
	v_lshlrev_b32_e32 v1, 2, v15
	global_load_dword v14, v1, s[0:1]
.LBB143_21:
	s_or_b64 exec, exec, s[4:5]
	v_or_b32_e32 v13, 0x1400, v0
	v_cmp_gt_u32_e32 vcc, s13, v13
                                        ; implicit-def: $vgpr12
	s_and_saveexec_b64 s[4:5], vcc
	s_cbranch_execz .LBB143_23
; %bb.22:
	v_lshlrev_b32_e32 v1, 2, v13
	global_load_dword v12, v1, s[0:1]
.LBB143_23:
	s_or_b64 exec, exec, s[4:5]
	v_or_b32_e32 v11, 0x1600, v0
	v_cmp_gt_u32_e32 vcc, s13, v11
                                        ; implicit-def: $vgpr10
	s_and_saveexec_b64 s[4:5], vcc
	s_cbranch_execz .LBB143_25
; %bb.24:
	v_lshlrev_b32_e32 v1, 2, v11
	global_load_dword v10, v1, s[0:1]
.LBB143_25:
	s_or_b64 exec, exec, s[4:5]
	v_or_b32_e32 v9, 0x1800, v0
	v_cmp_gt_u32_e32 vcc, s13, v9
                                        ; implicit-def: $vgpr8
	s_and_saveexec_b64 s[4:5], vcc
	s_cbranch_execz .LBB143_27
; %bb.26:
	v_lshlrev_b32_e32 v1, 2, v9
	global_load_dword v8, v1, s[0:1]
.LBB143_27:
	s_or_b64 exec, exec, s[4:5]
	v_or_b32_e32 v7, 0x1a00, v0
	v_cmp_gt_u32_e32 vcc, s13, v7
                                        ; implicit-def: $vgpr6
	s_and_saveexec_b64 s[4:5], vcc
	s_cbranch_execz .LBB143_29
; %bb.28:
	v_lshlrev_b32_e32 v1, 2, v7
	global_load_dword v6, v1, s[0:1]
.LBB143_29:
	s_or_b64 exec, exec, s[4:5]
	v_or_b32_e32 v5, 0x1c00, v0
	v_cmp_gt_u32_e32 vcc, s13, v5
                                        ; implicit-def: $vgpr4
	s_and_saveexec_b64 s[4:5], vcc
	s_cbranch_execz .LBB143_31
; %bb.30:
	v_lshlrev_b32_e32 v1, 2, v5
	global_load_dword v4, v1, s[0:1]
.LBB143_31:
	s_or_b64 exec, exec, s[4:5]
	v_or_b32_e32 v3, 0x1e00, v0
	v_cmp_gt_u32_e32 vcc, s13, v3
                                        ; implicit-def: $vgpr1
	s_and_saveexec_b64 s[4:5], vcc
	s_cbranch_execz .LBB143_33
; %bb.32:
	v_lshlrev_b32_e32 v1, 2, v3
	global_load_dword v1, v1, s[0:1]
.LBB143_33:
	s_or_b64 exec, exec, s[4:5]
	v_lshlrev_b32_e32 v2, 2, v0
	v_mov_b32_e32 v33, 0
	s_mov_b64 s[0:1], -1
	ds_write2st64_b32 v2, v33, v33 offset1:8
	ds_write2st64_b32 v2, v33, v33 offset0:16 offset1:24
	s_and_saveexec_b64 s[4:5], s[0:1]
	s_cbranch_execz .LBB143_35
; %bb.34:
	ds_write_b32 v2, v33 offset:8192
.LBB143_35:
	s_or_b64 exec, exec, s[4:5]
	s_and_saveexec_b64 s[4:5], s[0:1]
	s_cbranch_execz .LBB143_37
; %bb.36:
	v_mov_b32_e32 v33, 0
	ds_write_b32 v2, v33 offset:10240
.LBB143_37:
	s_or_b64 exec, exec, s[4:5]
	v_cmp_gt_u32_e64 s[0:1], 7, 6
	v_cmp_gt_u32_e64 s[6:7], 7, 5
	s_and_saveexec_b64 s[4:5], s[6:7]
	s_cbranch_execz .LBB143_39
; %bb.38:
	v_mov_b32_e32 v33, 0
	ds_write_b32 v2, v33 offset:12288
.LBB143_39:
	s_or_b64 exec, exec, s[4:5]
	s_and_saveexec_b64 s[4:5], s[0:1]
	s_cbranch_execz .LBB143_41
; %bb.40:
	v_mov_b32_e32 v33, 0
	ds_write_b32 v2, v33 offset:14336
.LBB143_41:
	s_or_b64 exec, exec, s[4:5]
	s_cmp_ge_u32 s2, s3
	s_cselect_b64 s[4:5], -1, 0
	v_cmp_le_u32_e32 vcc, s13, v0
	s_and_b64 s[0:1], s[4:5], exec
	s_cselect_b32 s18, 8, 10
	s_or_b64 s[0:1], s[4:5], vcc
	v_and_b32_e32 v2, 3, v0
	s_xor_b64 s[6:7], s[0:1], -1
	v_mov_b32_e32 v33, s18
	s_waitcnt lgkmcnt(0)
	s_barrier
	s_and_saveexec_b64 s[0:1], s[6:7]
	s_cbranch_execz .LBB143_43
; %bb.42:
	s_sub_i32 s6, s3, s2
	s_min_u32 s6, s6, 8
	s_waitcnt vmcnt(0)
	v_lshrrev_b32_e32 v33, s2, v31
	v_bfe_u32 v33, v33, 0, s6
	v_lshlrev_b32_e32 v34, 2, v2
	v_lshl_or_b32 v33, v33, 4, v34
	v_mov_b32_e32 v34, 1
	ds_add_u32 v33, v34
	v_mov_b32_e32 v33, 0
.LBB143_43:
	s_or_b64 exec, exec, s[0:1]
	v_cmp_gt_i32_e64 s[0:1], 10, v33
	s_mov_b64 s[14:15], -1
	s_and_saveexec_b64 s[6:7], s[0:1]
; %bb.44:
	v_cmp_eq_u32_e64 s[0:1], 0, v33
	s_orn2_b64 s[14:15], s[0:1], exec
; %bb.45:
	s_or_b64 exec, exec, s[6:7]
	s_and_saveexec_b64 s[6:7], s[14:15]
	s_cbranch_execz .LBB143_58
; %bb.46:
	s_add_i32 s14, s2, 8
	s_cmp_le_u32 s3, s14
	s_cselect_b64 s[0:1], -1, 0
	s_and_b64 s[16:17], s[0:1], exec
	s_cselect_b32 s15, 8, 10
	s_or_b64 s[0:1], s[0:1], vcc
	s_xor_b64 s[16:17], s[0:1], -1
	v_mov_b32_e32 v33, s15
	s_and_saveexec_b64 s[0:1], s[16:17]
	s_cbranch_execz .LBB143_48
; %bb.47:
	s_sub_i32 s15, s3, s14
	s_min_u32 s15, s15, 8
	s_waitcnt vmcnt(0)
	v_lshrrev_b32_e32 v33, s14, v31
	v_bfe_u32 v33, v33, 0, s15
	v_lshlrev_b32_e32 v34, 2, v2
	v_lshl_or_b32 v33, v33, 4, v34
	v_mov_b32_e32 v34, 1
	ds_add_u32 v33, v34 offset:4096
	v_mov_b32_e32 v33, 0
.LBB143_48:
	s_or_b64 exec, exec, s[0:1]
	v_cmp_gt_i32_e64 s[0:1], 10, v33
	s_mov_b64 s[14:15], -1
	s_and_saveexec_b64 s[16:17], s[0:1]
; %bb.49:
	v_cmp_eq_u32_e64 s[0:1], 0, v33
	s_orn2_b64 s[14:15], s[0:1], exec
; %bb.50:
	s_or_b64 exec, exec, s[16:17]
	s_and_b64 exec, exec, s[14:15]
	s_cbranch_execz .LBB143_58
; %bb.51:
	s_add_i32 s14, s2, 16
	s_cmp_le_u32 s3, s14
	s_cselect_b64 s[0:1], -1, 0
	s_and_b64 s[16:17], s[0:1], exec
	s_cselect_b32 s15, 8, 10
	s_or_b64 s[0:1], s[0:1], vcc
	s_xor_b64 s[16:17], s[0:1], -1
	v_mov_b32_e32 v33, s15
	s_and_saveexec_b64 s[0:1], s[16:17]
	s_cbranch_execz .LBB143_53
; %bb.52:
	s_sub_i32 s15, s3, s14
	s_min_u32 s15, s15, 8
	s_waitcnt vmcnt(0)
	v_lshrrev_b32_e32 v33, s14, v31
	v_bfe_u32 v33, v33, 0, s15
	v_lshlrev_b32_e32 v34, 2, v2
	v_lshl_or_b32 v33, v33, 4, v34
	v_mov_b32_e32 v34, 1
	ds_add_u32 v33, v34 offset:8192
	v_mov_b32_e32 v33, 0
.LBB143_53:
	s_or_b64 exec, exec, s[0:1]
	v_cmp_gt_i32_e64 s[0:1], 10, v33
	s_mov_b64 s[14:15], -1
	s_and_saveexec_b64 s[16:17], s[0:1]
; %bb.54:
	v_cmp_eq_u32_e64 s[0:1], 0, v33
	s_orn2_b64 s[14:15], s[0:1], exec
; %bb.55:
	s_or_b64 exec, exec, s[16:17]
	s_and_b64 exec, exec, s[14:15]
	s_cbranch_execz .LBB143_58
; %bb.56:
	s_add_i32 s0, s2, 24
	s_cmp_gt_u32 s3, s0
	s_cselect_b64 s[14:15], -1, 0
	s_xor_b64 s[16:17], vcc, -1
	s_and_b64 s[14:15], s[14:15], s[16:17]
	s_and_b64 exec, exec, s[14:15]
	s_cbranch_execz .LBB143_58
; %bb.57:
	s_sub_i32 s1, s3, s0
	s_min_u32 s1, s1, 8
	s_waitcnt vmcnt(0)
	v_lshrrev_b32_e32 v31, s0, v31
	v_bfe_u32 v31, v31, 0, s1
	v_lshlrev_b32_e32 v33, 2, v2
	v_lshl_or_b32 v31, v31, 4, v33
	v_mov_b32_e32 v33, 1
	ds_add_u32 v31, v33 offset:12288
.LBB143_58:
	s_or_b64 exec, exec, s[6:7]
	v_cmp_le_u32_e32 vcc, s13, v32
	s_or_b64 s[0:1], s[4:5], vcc
	s_xor_b64 s[6:7], s[0:1], -1
	s_waitcnt vmcnt(0)
	v_mov_b32_e32 v31, s18
	s_and_saveexec_b64 s[0:1], s[6:7]
	s_cbranch_execz .LBB143_60
; %bb.59:
	s_sub_i32 s6, s3, s2
	s_min_u32 s6, s6, 8
	v_lshrrev_b32_e32 v31, s2, v30
	v_bfe_u32 v31, v31, 0, s6
	v_lshlrev_b32_e32 v32, 2, v2
	v_lshl_or_b32 v31, v31, 4, v32
	v_mov_b32_e32 v32, 1
	ds_add_u32 v31, v32
	v_mov_b32_e32 v31, 0
.LBB143_60:
	s_or_b64 exec, exec, s[0:1]
	v_cmp_gt_i32_e64 s[0:1], 10, v31
	s_mov_b64 s[14:15], -1
	s_and_saveexec_b64 s[6:7], s[0:1]
; %bb.61:
	v_cmp_eq_u32_e64 s[0:1], 0, v31
	s_orn2_b64 s[14:15], s[0:1], exec
; %bb.62:
	s_or_b64 exec, exec, s[6:7]
	s_and_saveexec_b64 s[6:7], s[14:15]
	s_cbranch_execz .LBB143_75
; %bb.63:
	s_add_i32 s14, s2, 8
	s_cmp_le_u32 s3, s14
	s_cselect_b64 s[0:1], -1, 0
	s_and_b64 s[16:17], s[0:1], exec
	s_cselect_b32 s15, 8, 10
	s_or_b64 s[0:1], s[0:1], vcc
	s_xor_b64 s[16:17], s[0:1], -1
	v_mov_b32_e32 v31, s15
	s_and_saveexec_b64 s[0:1], s[16:17]
	s_cbranch_execz .LBB143_65
; %bb.64:
	s_sub_i32 s15, s3, s14
	s_min_u32 s15, s15, 8
	v_lshrrev_b32_e32 v31, s14, v30
	v_bfe_u32 v31, v31, 0, s15
	v_lshlrev_b32_e32 v32, 2, v2
	v_lshl_or_b32 v31, v31, 4, v32
	v_mov_b32_e32 v32, 1
	ds_add_u32 v31, v32 offset:4096
	v_mov_b32_e32 v31, 0
.LBB143_65:
	s_or_b64 exec, exec, s[0:1]
	v_cmp_gt_i32_e64 s[0:1], 10, v31
	s_mov_b64 s[14:15], -1
	s_and_saveexec_b64 s[16:17], s[0:1]
; %bb.66:
	v_cmp_eq_u32_e64 s[0:1], 0, v31
	s_orn2_b64 s[14:15], s[0:1], exec
; %bb.67:
	s_or_b64 exec, exec, s[16:17]
	s_and_b64 exec, exec, s[14:15]
	s_cbranch_execz .LBB143_75
; %bb.68:
	s_add_i32 s14, s2, 16
	s_cmp_le_u32 s3, s14
	s_cselect_b64 s[0:1], -1, 0
	s_and_b64 s[16:17], s[0:1], exec
	s_cselect_b32 s15, 8, 10
	s_or_b64 s[0:1], s[0:1], vcc
	s_xor_b64 s[16:17], s[0:1], -1
	v_mov_b32_e32 v31, s15
	s_and_saveexec_b64 s[0:1], s[16:17]
	s_cbranch_execz .LBB143_70
; %bb.69:
	s_sub_i32 s15, s3, s14
	s_min_u32 s15, s15, 8
	v_lshrrev_b32_e32 v31, s14, v30
	v_bfe_u32 v31, v31, 0, s15
	v_lshlrev_b32_e32 v32, 2, v2
	v_lshl_or_b32 v31, v31, 4, v32
	v_mov_b32_e32 v32, 1
	ds_add_u32 v31, v32 offset:8192
	v_mov_b32_e32 v31, 0
.LBB143_70:
	s_or_b64 exec, exec, s[0:1]
	v_cmp_gt_i32_e64 s[0:1], 10, v31
	s_mov_b64 s[14:15], -1
	s_and_saveexec_b64 s[16:17], s[0:1]
; %bb.71:
	v_cmp_eq_u32_e64 s[0:1], 0, v31
	s_orn2_b64 s[14:15], s[0:1], exec
; %bb.72:
	s_or_b64 exec, exec, s[16:17]
	s_and_b64 exec, exec, s[14:15]
	s_cbranch_execz .LBB143_75
; %bb.73:
	s_add_i32 s0, s2, 24
	s_cmp_gt_u32 s3, s0
	s_cselect_b64 s[14:15], -1, 0
	s_xor_b64 s[16:17], vcc, -1
	s_and_b64 s[14:15], s[14:15], s[16:17]
	s_and_b64 exec, exec, s[14:15]
	s_cbranch_execz .LBB143_75
; %bb.74:
	s_sub_i32 s1, s3, s0
	s_min_u32 s1, s1, 8
	v_lshrrev_b32_e32 v30, s0, v30
	v_bfe_u32 v30, v30, 0, s1
	v_lshlrev_b32_e32 v31, 2, v2
	v_lshl_or_b32 v30, v30, 4, v31
	v_mov_b32_e32 v31, 1
	ds_add_u32 v30, v31 offset:12288
.LBB143_75:
	s_or_b64 exec, exec, s[6:7]
	v_cmp_le_u32_e32 vcc, s13, v29
	s_or_b64 s[0:1], s[4:5], vcc
	s_xor_b64 s[6:7], s[0:1], -1
	v_mov_b32_e32 v29, s18
	s_and_saveexec_b64 s[0:1], s[6:7]
	s_cbranch_execz .LBB143_77
; %bb.76:
	s_sub_i32 s6, s3, s2
	s_min_u32 s6, s6, 8
	v_lshrrev_b32_e32 v29, s2, v28
	v_bfe_u32 v29, v29, 0, s6
	v_lshlrev_b32_e32 v30, 2, v2
	v_lshl_or_b32 v29, v29, 4, v30
	v_mov_b32_e32 v30, 1
	ds_add_u32 v29, v30
	v_mov_b32_e32 v29, 0
.LBB143_77:
	s_or_b64 exec, exec, s[0:1]
	v_cmp_gt_i32_e64 s[0:1], 10, v29
	s_mov_b64 s[14:15], -1
	s_and_saveexec_b64 s[6:7], s[0:1]
; %bb.78:
	v_cmp_eq_u32_e64 s[0:1], 0, v29
	s_orn2_b64 s[14:15], s[0:1], exec
; %bb.79:
	s_or_b64 exec, exec, s[6:7]
	s_and_saveexec_b64 s[6:7], s[14:15]
	s_cbranch_execz .LBB143_92
; %bb.80:
	s_add_i32 s14, s2, 8
	s_cmp_le_u32 s3, s14
	s_cselect_b64 s[0:1], -1, 0
	s_and_b64 s[16:17], s[0:1], exec
	s_cselect_b32 s15, 8, 10
	s_or_b64 s[0:1], s[0:1], vcc
	s_xor_b64 s[16:17], s[0:1], -1
	v_mov_b32_e32 v29, s15
	s_and_saveexec_b64 s[0:1], s[16:17]
	s_cbranch_execz .LBB143_82
; %bb.81:
	s_sub_i32 s15, s3, s14
	s_min_u32 s15, s15, 8
	v_lshrrev_b32_e32 v29, s14, v28
	v_bfe_u32 v29, v29, 0, s15
	v_lshlrev_b32_e32 v30, 2, v2
	v_lshl_or_b32 v29, v29, 4, v30
	v_mov_b32_e32 v30, 1
	ds_add_u32 v29, v30 offset:4096
	v_mov_b32_e32 v29, 0
.LBB143_82:
	s_or_b64 exec, exec, s[0:1]
	v_cmp_gt_i32_e64 s[0:1], 10, v29
	s_mov_b64 s[14:15], -1
	s_and_saveexec_b64 s[16:17], s[0:1]
; %bb.83:
	v_cmp_eq_u32_e64 s[0:1], 0, v29
	s_orn2_b64 s[14:15], s[0:1], exec
; %bb.84:
	s_or_b64 exec, exec, s[16:17]
	s_and_b64 exec, exec, s[14:15]
	s_cbranch_execz .LBB143_92
; %bb.85:
	s_add_i32 s14, s2, 16
	s_cmp_le_u32 s3, s14
	s_cselect_b64 s[0:1], -1, 0
	s_and_b64 s[16:17], s[0:1], exec
	s_cselect_b32 s15, 8, 10
	s_or_b64 s[0:1], s[0:1], vcc
	s_xor_b64 s[16:17], s[0:1], -1
	v_mov_b32_e32 v29, s15
	s_and_saveexec_b64 s[0:1], s[16:17]
	s_cbranch_execz .LBB143_87
; %bb.86:
	s_sub_i32 s15, s3, s14
	s_min_u32 s15, s15, 8
	v_lshrrev_b32_e32 v29, s14, v28
	v_bfe_u32 v29, v29, 0, s15
	v_lshlrev_b32_e32 v30, 2, v2
	v_lshl_or_b32 v29, v29, 4, v30
	v_mov_b32_e32 v30, 1
	ds_add_u32 v29, v30 offset:8192
	v_mov_b32_e32 v29, 0
.LBB143_87:
	s_or_b64 exec, exec, s[0:1]
	v_cmp_gt_i32_e64 s[0:1], 10, v29
	s_mov_b64 s[14:15], -1
	s_and_saveexec_b64 s[16:17], s[0:1]
; %bb.88:
	v_cmp_eq_u32_e64 s[0:1], 0, v29
	s_orn2_b64 s[14:15], s[0:1], exec
; %bb.89:
	s_or_b64 exec, exec, s[16:17]
	s_and_b64 exec, exec, s[14:15]
	s_cbranch_execz .LBB143_92
; %bb.90:
	s_add_i32 s0, s2, 24
	s_cmp_gt_u32 s3, s0
	s_cselect_b64 s[14:15], -1, 0
	s_xor_b64 s[16:17], vcc, -1
	s_and_b64 s[14:15], s[14:15], s[16:17]
	s_and_b64 exec, exec, s[14:15]
	s_cbranch_execz .LBB143_92
; %bb.91:
	s_sub_i32 s1, s3, s0
	s_min_u32 s1, s1, 8
	v_lshrrev_b32_e32 v28, s0, v28
	v_bfe_u32 v28, v28, 0, s1
	v_lshlrev_b32_e32 v29, 2, v2
	v_lshl_or_b32 v28, v28, 4, v29
	v_mov_b32_e32 v29, 1
	ds_add_u32 v28, v29 offset:12288
.LBB143_92:
	s_or_b64 exec, exec, s[6:7]
	v_cmp_le_u32_e32 vcc, s13, v27
	s_or_b64 s[0:1], s[4:5], vcc
	s_xor_b64 s[6:7], s[0:1], -1
	v_mov_b32_e32 v27, s18
	s_and_saveexec_b64 s[0:1], s[6:7]
	s_cbranch_execz .LBB143_94
; %bb.93:
	s_sub_i32 s6, s3, s2
	s_min_u32 s6, s6, 8
	v_lshrrev_b32_e32 v27, s2, v26
	v_bfe_u32 v27, v27, 0, s6
	v_lshlrev_b32_e32 v28, 2, v2
	v_lshl_or_b32 v27, v27, 4, v28
	v_mov_b32_e32 v28, 1
	ds_add_u32 v27, v28
	v_mov_b32_e32 v27, 0
.LBB143_94:
	s_or_b64 exec, exec, s[0:1]
	v_cmp_gt_i32_e64 s[0:1], 10, v27
	s_mov_b64 s[14:15], -1
	s_and_saveexec_b64 s[6:7], s[0:1]
; %bb.95:
	v_cmp_eq_u32_e64 s[0:1], 0, v27
	s_orn2_b64 s[14:15], s[0:1], exec
; %bb.96:
	s_or_b64 exec, exec, s[6:7]
	s_and_saveexec_b64 s[6:7], s[14:15]
	s_cbranch_execz .LBB143_109
; %bb.97:
	s_add_i32 s14, s2, 8
	s_cmp_le_u32 s3, s14
	s_cselect_b64 s[0:1], -1, 0
	s_and_b64 s[16:17], s[0:1], exec
	s_cselect_b32 s15, 8, 10
	s_or_b64 s[0:1], s[0:1], vcc
	s_xor_b64 s[16:17], s[0:1], -1
	v_mov_b32_e32 v27, s15
	s_and_saveexec_b64 s[0:1], s[16:17]
	s_cbranch_execz .LBB143_99
; %bb.98:
	s_sub_i32 s15, s3, s14
	s_min_u32 s15, s15, 8
	v_lshrrev_b32_e32 v27, s14, v26
	v_bfe_u32 v27, v27, 0, s15
	v_lshlrev_b32_e32 v28, 2, v2
	v_lshl_or_b32 v27, v27, 4, v28
	v_mov_b32_e32 v28, 1
	ds_add_u32 v27, v28 offset:4096
	v_mov_b32_e32 v27, 0
.LBB143_99:
	s_or_b64 exec, exec, s[0:1]
	v_cmp_gt_i32_e64 s[0:1], 10, v27
	s_mov_b64 s[14:15], -1
	s_and_saveexec_b64 s[16:17], s[0:1]
; %bb.100:
	v_cmp_eq_u32_e64 s[0:1], 0, v27
	s_orn2_b64 s[14:15], s[0:1], exec
; %bb.101:
	s_or_b64 exec, exec, s[16:17]
	s_and_b64 exec, exec, s[14:15]
	s_cbranch_execz .LBB143_109
; %bb.102:
	s_add_i32 s14, s2, 16
	s_cmp_le_u32 s3, s14
	s_cselect_b64 s[0:1], -1, 0
	s_and_b64 s[16:17], s[0:1], exec
	s_cselect_b32 s15, 8, 10
	s_or_b64 s[0:1], s[0:1], vcc
	s_xor_b64 s[16:17], s[0:1], -1
	v_mov_b32_e32 v27, s15
	s_and_saveexec_b64 s[0:1], s[16:17]
	s_cbranch_execz .LBB143_104
; %bb.103:
	s_sub_i32 s15, s3, s14
	s_min_u32 s15, s15, 8
	v_lshrrev_b32_e32 v27, s14, v26
	v_bfe_u32 v27, v27, 0, s15
	v_lshlrev_b32_e32 v28, 2, v2
	v_lshl_or_b32 v27, v27, 4, v28
	v_mov_b32_e32 v28, 1
	ds_add_u32 v27, v28 offset:8192
	v_mov_b32_e32 v27, 0
.LBB143_104:
	s_or_b64 exec, exec, s[0:1]
	v_cmp_gt_i32_e64 s[0:1], 10, v27
	s_mov_b64 s[14:15], -1
	s_and_saveexec_b64 s[16:17], s[0:1]
; %bb.105:
	v_cmp_eq_u32_e64 s[0:1], 0, v27
	s_orn2_b64 s[14:15], s[0:1], exec
; %bb.106:
	s_or_b64 exec, exec, s[16:17]
	s_and_b64 exec, exec, s[14:15]
	s_cbranch_execz .LBB143_109
; %bb.107:
	s_add_i32 s0, s2, 24
	s_cmp_gt_u32 s3, s0
	s_cselect_b64 s[14:15], -1, 0
	s_xor_b64 s[16:17], vcc, -1
	s_and_b64 s[14:15], s[14:15], s[16:17]
	s_and_b64 exec, exec, s[14:15]
	s_cbranch_execz .LBB143_109
; %bb.108:
	s_sub_i32 s1, s3, s0
	s_min_u32 s1, s1, 8
	v_lshrrev_b32_e32 v26, s0, v26
	v_bfe_u32 v26, v26, 0, s1
	v_lshlrev_b32_e32 v27, 2, v2
	v_lshl_or_b32 v26, v26, 4, v27
	v_mov_b32_e32 v27, 1
	ds_add_u32 v26, v27 offset:12288
.LBB143_109:
	s_or_b64 exec, exec, s[6:7]
	v_cmp_le_u32_e32 vcc, s13, v25
	s_or_b64 s[0:1], s[4:5], vcc
	s_xor_b64 s[6:7], s[0:1], -1
	v_mov_b32_e32 v25, s18
	s_and_saveexec_b64 s[0:1], s[6:7]
	s_cbranch_execz .LBB143_111
; %bb.110:
	s_sub_i32 s6, s3, s2
	s_min_u32 s6, s6, 8
	v_lshrrev_b32_e32 v25, s2, v24
	v_bfe_u32 v25, v25, 0, s6
	v_lshlrev_b32_e32 v26, 2, v2
	v_lshl_or_b32 v25, v25, 4, v26
	v_mov_b32_e32 v26, 1
	ds_add_u32 v25, v26
	v_mov_b32_e32 v25, 0
.LBB143_111:
	s_or_b64 exec, exec, s[0:1]
	v_cmp_gt_i32_e64 s[0:1], 10, v25
	s_mov_b64 s[14:15], -1
	s_and_saveexec_b64 s[6:7], s[0:1]
; %bb.112:
	v_cmp_eq_u32_e64 s[0:1], 0, v25
	s_orn2_b64 s[14:15], s[0:1], exec
; %bb.113:
	s_or_b64 exec, exec, s[6:7]
	s_and_saveexec_b64 s[6:7], s[14:15]
	s_cbranch_execz .LBB143_126
; %bb.114:
	s_add_i32 s14, s2, 8
	s_cmp_le_u32 s3, s14
	s_cselect_b64 s[0:1], -1, 0
	s_and_b64 s[16:17], s[0:1], exec
	s_cselect_b32 s15, 8, 10
	s_or_b64 s[0:1], s[0:1], vcc
	s_xor_b64 s[16:17], s[0:1], -1
	v_mov_b32_e32 v25, s15
	s_and_saveexec_b64 s[0:1], s[16:17]
	s_cbranch_execz .LBB143_116
; %bb.115:
	s_sub_i32 s15, s3, s14
	s_min_u32 s15, s15, 8
	v_lshrrev_b32_e32 v25, s14, v24
	v_bfe_u32 v25, v25, 0, s15
	v_lshlrev_b32_e32 v26, 2, v2
	v_lshl_or_b32 v25, v25, 4, v26
	v_mov_b32_e32 v26, 1
	ds_add_u32 v25, v26 offset:4096
	v_mov_b32_e32 v25, 0
.LBB143_116:
	s_or_b64 exec, exec, s[0:1]
	v_cmp_gt_i32_e64 s[0:1], 10, v25
	s_mov_b64 s[14:15], -1
	s_and_saveexec_b64 s[16:17], s[0:1]
; %bb.117:
	v_cmp_eq_u32_e64 s[0:1], 0, v25
	s_orn2_b64 s[14:15], s[0:1], exec
; %bb.118:
	s_or_b64 exec, exec, s[16:17]
	s_and_b64 exec, exec, s[14:15]
	s_cbranch_execz .LBB143_126
; %bb.119:
	s_add_i32 s14, s2, 16
	s_cmp_le_u32 s3, s14
	s_cselect_b64 s[0:1], -1, 0
	s_and_b64 s[16:17], s[0:1], exec
	s_cselect_b32 s15, 8, 10
	s_or_b64 s[0:1], s[0:1], vcc
	s_xor_b64 s[16:17], s[0:1], -1
	v_mov_b32_e32 v25, s15
	s_and_saveexec_b64 s[0:1], s[16:17]
	s_cbranch_execz .LBB143_121
; %bb.120:
	s_sub_i32 s15, s3, s14
	s_min_u32 s15, s15, 8
	v_lshrrev_b32_e32 v25, s14, v24
	v_bfe_u32 v25, v25, 0, s15
	v_lshlrev_b32_e32 v26, 2, v2
	v_lshl_or_b32 v25, v25, 4, v26
	v_mov_b32_e32 v26, 1
	ds_add_u32 v25, v26 offset:8192
	v_mov_b32_e32 v25, 0
.LBB143_121:
	s_or_b64 exec, exec, s[0:1]
	v_cmp_gt_i32_e64 s[0:1], 10, v25
	s_mov_b64 s[14:15], -1
	s_and_saveexec_b64 s[16:17], s[0:1]
; %bb.122:
	v_cmp_eq_u32_e64 s[0:1], 0, v25
	s_orn2_b64 s[14:15], s[0:1], exec
; %bb.123:
	s_or_b64 exec, exec, s[16:17]
	s_and_b64 exec, exec, s[14:15]
	s_cbranch_execz .LBB143_126
; %bb.124:
	s_add_i32 s0, s2, 24
	s_cmp_gt_u32 s3, s0
	s_cselect_b64 s[14:15], -1, 0
	s_xor_b64 s[16:17], vcc, -1
	s_and_b64 s[14:15], s[14:15], s[16:17]
	s_and_b64 exec, exec, s[14:15]
	s_cbranch_execz .LBB143_126
; %bb.125:
	s_sub_i32 s1, s3, s0
	s_min_u32 s1, s1, 8
	v_lshrrev_b32_e32 v24, s0, v24
	v_bfe_u32 v24, v24, 0, s1
	v_lshlrev_b32_e32 v25, 2, v2
	v_lshl_or_b32 v24, v24, 4, v25
	v_mov_b32_e32 v25, 1
	ds_add_u32 v24, v25 offset:12288
.LBB143_126:
	s_or_b64 exec, exec, s[6:7]
	v_cmp_le_u32_e32 vcc, s13, v23
	s_or_b64 s[0:1], s[4:5], vcc
	s_xor_b64 s[6:7], s[0:1], -1
	v_mov_b32_e32 v23, s18
	s_and_saveexec_b64 s[0:1], s[6:7]
	s_cbranch_execz .LBB143_128
; %bb.127:
	s_sub_i32 s6, s3, s2
	s_min_u32 s6, s6, 8
	v_lshrrev_b32_e32 v23, s2, v22
	v_bfe_u32 v23, v23, 0, s6
	v_lshlrev_b32_e32 v24, 2, v2
	v_lshl_or_b32 v23, v23, 4, v24
	v_mov_b32_e32 v24, 1
	ds_add_u32 v23, v24
	v_mov_b32_e32 v23, 0
.LBB143_128:
	s_or_b64 exec, exec, s[0:1]
	v_cmp_gt_i32_e64 s[0:1], 10, v23
	s_mov_b64 s[14:15], -1
	s_and_saveexec_b64 s[6:7], s[0:1]
; %bb.129:
	v_cmp_eq_u32_e64 s[0:1], 0, v23
	s_orn2_b64 s[14:15], s[0:1], exec
; %bb.130:
	s_or_b64 exec, exec, s[6:7]
	s_and_saveexec_b64 s[6:7], s[14:15]
	s_cbranch_execz .LBB143_143
; %bb.131:
	s_add_i32 s14, s2, 8
	s_cmp_le_u32 s3, s14
	s_cselect_b64 s[0:1], -1, 0
	s_and_b64 s[16:17], s[0:1], exec
	s_cselect_b32 s15, 8, 10
	s_or_b64 s[0:1], s[0:1], vcc
	s_xor_b64 s[16:17], s[0:1], -1
	v_mov_b32_e32 v23, s15
	s_and_saveexec_b64 s[0:1], s[16:17]
	s_cbranch_execz .LBB143_133
; %bb.132:
	s_sub_i32 s15, s3, s14
	s_min_u32 s15, s15, 8
	v_lshrrev_b32_e32 v23, s14, v22
	v_bfe_u32 v23, v23, 0, s15
	v_lshlrev_b32_e32 v24, 2, v2
	v_lshl_or_b32 v23, v23, 4, v24
	v_mov_b32_e32 v24, 1
	ds_add_u32 v23, v24 offset:4096
	v_mov_b32_e32 v23, 0
.LBB143_133:
	s_or_b64 exec, exec, s[0:1]
	v_cmp_gt_i32_e64 s[0:1], 10, v23
	s_mov_b64 s[14:15], -1
	s_and_saveexec_b64 s[16:17], s[0:1]
; %bb.134:
	v_cmp_eq_u32_e64 s[0:1], 0, v23
	s_orn2_b64 s[14:15], s[0:1], exec
; %bb.135:
	s_or_b64 exec, exec, s[16:17]
	s_and_b64 exec, exec, s[14:15]
	s_cbranch_execz .LBB143_143
; %bb.136:
	s_add_i32 s14, s2, 16
	s_cmp_le_u32 s3, s14
	s_cselect_b64 s[0:1], -1, 0
	s_and_b64 s[16:17], s[0:1], exec
	s_cselect_b32 s15, 8, 10
	s_or_b64 s[0:1], s[0:1], vcc
	s_xor_b64 s[16:17], s[0:1], -1
	v_mov_b32_e32 v23, s15
	s_and_saveexec_b64 s[0:1], s[16:17]
	s_cbranch_execz .LBB143_138
; %bb.137:
	s_sub_i32 s15, s3, s14
	s_min_u32 s15, s15, 8
	v_lshrrev_b32_e32 v23, s14, v22
	v_bfe_u32 v23, v23, 0, s15
	v_lshlrev_b32_e32 v24, 2, v2
	v_lshl_or_b32 v23, v23, 4, v24
	v_mov_b32_e32 v24, 1
	ds_add_u32 v23, v24 offset:8192
	v_mov_b32_e32 v23, 0
.LBB143_138:
	s_or_b64 exec, exec, s[0:1]
	v_cmp_gt_i32_e64 s[0:1], 10, v23
	s_mov_b64 s[14:15], -1
	s_and_saveexec_b64 s[16:17], s[0:1]
; %bb.139:
	v_cmp_eq_u32_e64 s[0:1], 0, v23
	s_orn2_b64 s[14:15], s[0:1], exec
; %bb.140:
	s_or_b64 exec, exec, s[16:17]
	s_and_b64 exec, exec, s[14:15]
	s_cbranch_execz .LBB143_143
; %bb.141:
	s_add_i32 s0, s2, 24
	s_cmp_gt_u32 s3, s0
	s_cselect_b64 s[14:15], -1, 0
	s_xor_b64 s[16:17], vcc, -1
	s_and_b64 s[14:15], s[14:15], s[16:17]
	s_and_b64 exec, exec, s[14:15]
	s_cbranch_execz .LBB143_143
; %bb.142:
	s_sub_i32 s1, s3, s0
	s_min_u32 s1, s1, 8
	v_lshrrev_b32_e32 v22, s0, v22
	v_bfe_u32 v22, v22, 0, s1
	v_lshlrev_b32_e32 v23, 2, v2
	v_lshl_or_b32 v22, v22, 4, v23
	v_mov_b32_e32 v23, 1
	ds_add_u32 v22, v23 offset:12288
.LBB143_143:
	s_or_b64 exec, exec, s[6:7]
	v_cmp_le_u32_e32 vcc, s13, v21
	s_or_b64 s[0:1], s[4:5], vcc
	s_xor_b64 s[6:7], s[0:1], -1
	v_mov_b32_e32 v21, s18
	s_and_saveexec_b64 s[0:1], s[6:7]
	s_cbranch_execz .LBB143_145
; %bb.144:
	s_sub_i32 s6, s3, s2
	s_min_u32 s6, s6, 8
	v_lshrrev_b32_e32 v21, s2, v20
	v_bfe_u32 v21, v21, 0, s6
	v_lshlrev_b32_e32 v22, 2, v2
	v_lshl_or_b32 v21, v21, 4, v22
	v_mov_b32_e32 v22, 1
	ds_add_u32 v21, v22
	v_mov_b32_e32 v21, 0
.LBB143_145:
	s_or_b64 exec, exec, s[0:1]
	v_cmp_gt_i32_e64 s[0:1], 10, v21
	s_mov_b64 s[14:15], -1
	s_and_saveexec_b64 s[6:7], s[0:1]
; %bb.146:
	v_cmp_eq_u32_e64 s[0:1], 0, v21
	s_orn2_b64 s[14:15], s[0:1], exec
; %bb.147:
	s_or_b64 exec, exec, s[6:7]
	s_and_saveexec_b64 s[6:7], s[14:15]
	s_cbranch_execz .LBB143_160
; %bb.148:
	s_add_i32 s14, s2, 8
	s_cmp_le_u32 s3, s14
	s_cselect_b64 s[0:1], -1, 0
	s_and_b64 s[16:17], s[0:1], exec
	s_cselect_b32 s15, 8, 10
	s_or_b64 s[0:1], s[0:1], vcc
	s_xor_b64 s[16:17], s[0:1], -1
	v_mov_b32_e32 v21, s15
	s_and_saveexec_b64 s[0:1], s[16:17]
	s_cbranch_execz .LBB143_150
; %bb.149:
	s_sub_i32 s15, s3, s14
	s_min_u32 s15, s15, 8
	v_lshrrev_b32_e32 v21, s14, v20
	v_bfe_u32 v21, v21, 0, s15
	v_lshlrev_b32_e32 v22, 2, v2
	v_lshl_or_b32 v21, v21, 4, v22
	v_mov_b32_e32 v22, 1
	ds_add_u32 v21, v22 offset:4096
	v_mov_b32_e32 v21, 0
.LBB143_150:
	s_or_b64 exec, exec, s[0:1]
	v_cmp_gt_i32_e64 s[0:1], 10, v21
	s_mov_b64 s[14:15], -1
	s_and_saveexec_b64 s[16:17], s[0:1]
; %bb.151:
	v_cmp_eq_u32_e64 s[0:1], 0, v21
	s_orn2_b64 s[14:15], s[0:1], exec
; %bb.152:
	s_or_b64 exec, exec, s[16:17]
	s_and_b64 exec, exec, s[14:15]
	s_cbranch_execz .LBB143_160
; %bb.153:
	s_add_i32 s14, s2, 16
	s_cmp_le_u32 s3, s14
	s_cselect_b64 s[0:1], -1, 0
	s_and_b64 s[16:17], s[0:1], exec
	s_cselect_b32 s15, 8, 10
	s_or_b64 s[0:1], s[0:1], vcc
	s_xor_b64 s[16:17], s[0:1], -1
	v_mov_b32_e32 v21, s15
	s_and_saveexec_b64 s[0:1], s[16:17]
	s_cbranch_execz .LBB143_155
; %bb.154:
	s_sub_i32 s15, s3, s14
	s_min_u32 s15, s15, 8
	v_lshrrev_b32_e32 v21, s14, v20
	v_bfe_u32 v21, v21, 0, s15
	v_lshlrev_b32_e32 v22, 2, v2
	v_lshl_or_b32 v21, v21, 4, v22
	v_mov_b32_e32 v22, 1
	ds_add_u32 v21, v22 offset:8192
	v_mov_b32_e32 v21, 0
.LBB143_155:
	s_or_b64 exec, exec, s[0:1]
	v_cmp_gt_i32_e64 s[0:1], 10, v21
	s_mov_b64 s[14:15], -1
	s_and_saveexec_b64 s[16:17], s[0:1]
; %bb.156:
	v_cmp_eq_u32_e64 s[0:1], 0, v21
	s_orn2_b64 s[14:15], s[0:1], exec
; %bb.157:
	s_or_b64 exec, exec, s[16:17]
	s_and_b64 exec, exec, s[14:15]
	s_cbranch_execz .LBB143_160
; %bb.158:
	s_add_i32 s0, s2, 24
	s_cmp_gt_u32 s3, s0
	s_cselect_b64 s[14:15], -1, 0
	s_xor_b64 s[16:17], vcc, -1
	s_and_b64 s[14:15], s[14:15], s[16:17]
	s_and_b64 exec, exec, s[14:15]
	s_cbranch_execz .LBB143_160
; %bb.159:
	s_sub_i32 s1, s3, s0
	s_min_u32 s1, s1, 8
	v_lshrrev_b32_e32 v20, s0, v20
	v_bfe_u32 v20, v20, 0, s1
	v_lshlrev_b32_e32 v21, 2, v2
	v_lshl_or_b32 v20, v20, 4, v21
	v_mov_b32_e32 v21, 1
	ds_add_u32 v20, v21 offset:12288
.LBB143_160:
	s_or_b64 exec, exec, s[6:7]
	v_cmp_le_u32_e32 vcc, s13, v19
	s_or_b64 s[0:1], s[4:5], vcc
	s_xor_b64 s[6:7], s[0:1], -1
	v_mov_b32_e32 v19, s18
	s_and_saveexec_b64 s[0:1], s[6:7]
	s_cbranch_execz .LBB143_162
; %bb.161:
	s_sub_i32 s6, s3, s2
	s_min_u32 s6, s6, 8
	v_lshrrev_b32_e32 v19, s2, v18
	v_bfe_u32 v19, v19, 0, s6
	v_lshlrev_b32_e32 v20, 2, v2
	v_lshl_or_b32 v19, v19, 4, v20
	v_mov_b32_e32 v20, 1
	ds_add_u32 v19, v20
	v_mov_b32_e32 v19, 0
.LBB143_162:
	s_or_b64 exec, exec, s[0:1]
	v_cmp_gt_i32_e64 s[0:1], 10, v19
	s_mov_b64 s[14:15], -1
	s_and_saveexec_b64 s[6:7], s[0:1]
; %bb.163:
	v_cmp_eq_u32_e64 s[0:1], 0, v19
	s_orn2_b64 s[14:15], s[0:1], exec
; %bb.164:
	s_or_b64 exec, exec, s[6:7]
	s_and_saveexec_b64 s[6:7], s[14:15]
	s_cbranch_execz .LBB143_177
; %bb.165:
	s_add_i32 s14, s2, 8
	s_cmp_le_u32 s3, s14
	s_cselect_b64 s[0:1], -1, 0
	s_and_b64 s[16:17], s[0:1], exec
	s_cselect_b32 s15, 8, 10
	s_or_b64 s[0:1], s[0:1], vcc
	s_xor_b64 s[16:17], s[0:1], -1
	v_mov_b32_e32 v19, s15
	s_and_saveexec_b64 s[0:1], s[16:17]
	s_cbranch_execz .LBB143_167
; %bb.166:
	s_sub_i32 s15, s3, s14
	s_min_u32 s15, s15, 8
	v_lshrrev_b32_e32 v19, s14, v18
	v_bfe_u32 v19, v19, 0, s15
	v_lshlrev_b32_e32 v20, 2, v2
	v_lshl_or_b32 v19, v19, 4, v20
	v_mov_b32_e32 v20, 1
	ds_add_u32 v19, v20 offset:4096
	v_mov_b32_e32 v19, 0
.LBB143_167:
	s_or_b64 exec, exec, s[0:1]
	v_cmp_gt_i32_e64 s[0:1], 10, v19
	s_mov_b64 s[14:15], -1
	s_and_saveexec_b64 s[16:17], s[0:1]
; %bb.168:
	v_cmp_eq_u32_e64 s[0:1], 0, v19
	s_orn2_b64 s[14:15], s[0:1], exec
; %bb.169:
	s_or_b64 exec, exec, s[16:17]
	s_and_b64 exec, exec, s[14:15]
	s_cbranch_execz .LBB143_177
; %bb.170:
	s_add_i32 s14, s2, 16
	s_cmp_le_u32 s3, s14
	s_cselect_b64 s[0:1], -1, 0
	s_and_b64 s[16:17], s[0:1], exec
	s_cselect_b32 s15, 8, 10
	s_or_b64 s[0:1], s[0:1], vcc
	s_xor_b64 s[16:17], s[0:1], -1
	v_mov_b32_e32 v19, s15
	s_and_saveexec_b64 s[0:1], s[16:17]
	s_cbranch_execz .LBB143_172
; %bb.171:
	s_sub_i32 s15, s3, s14
	s_min_u32 s15, s15, 8
	v_lshrrev_b32_e32 v19, s14, v18
	v_bfe_u32 v19, v19, 0, s15
	v_lshlrev_b32_e32 v20, 2, v2
	v_lshl_or_b32 v19, v19, 4, v20
	v_mov_b32_e32 v20, 1
	ds_add_u32 v19, v20 offset:8192
	v_mov_b32_e32 v19, 0
.LBB143_172:
	s_or_b64 exec, exec, s[0:1]
	v_cmp_gt_i32_e64 s[0:1], 10, v19
	s_mov_b64 s[14:15], -1
	s_and_saveexec_b64 s[16:17], s[0:1]
; %bb.173:
	v_cmp_eq_u32_e64 s[0:1], 0, v19
	s_orn2_b64 s[14:15], s[0:1], exec
; %bb.174:
	s_or_b64 exec, exec, s[16:17]
	s_and_b64 exec, exec, s[14:15]
	s_cbranch_execz .LBB143_177
; %bb.175:
	s_add_i32 s0, s2, 24
	s_cmp_gt_u32 s3, s0
	s_cselect_b64 s[14:15], -1, 0
	s_xor_b64 s[16:17], vcc, -1
	s_and_b64 s[14:15], s[14:15], s[16:17]
	s_and_b64 exec, exec, s[14:15]
	s_cbranch_execz .LBB143_177
; %bb.176:
	s_sub_i32 s1, s3, s0
	s_min_u32 s1, s1, 8
	v_lshrrev_b32_e32 v18, s0, v18
	v_bfe_u32 v18, v18, 0, s1
	v_lshlrev_b32_e32 v19, 2, v2
	v_lshl_or_b32 v18, v18, 4, v19
	v_mov_b32_e32 v19, 1
	ds_add_u32 v18, v19 offset:12288
.LBB143_177:
	s_or_b64 exec, exec, s[6:7]
	v_cmp_le_u32_e32 vcc, s13, v17
	s_or_b64 s[0:1], s[4:5], vcc
	s_xor_b64 s[6:7], s[0:1], -1
	v_mov_b32_e32 v17, s18
	s_and_saveexec_b64 s[0:1], s[6:7]
	s_cbranch_execz .LBB143_179
; %bb.178:
	s_sub_i32 s6, s3, s2
	s_min_u32 s6, s6, 8
	v_lshrrev_b32_e32 v17, s2, v16
	v_bfe_u32 v17, v17, 0, s6
	v_lshlrev_b32_e32 v18, 2, v2
	v_lshl_or_b32 v17, v17, 4, v18
	v_mov_b32_e32 v18, 1
	ds_add_u32 v17, v18
	v_mov_b32_e32 v17, 0
.LBB143_179:
	s_or_b64 exec, exec, s[0:1]
	v_cmp_gt_i32_e64 s[0:1], 10, v17
	s_mov_b64 s[14:15], -1
	s_and_saveexec_b64 s[6:7], s[0:1]
; %bb.180:
	v_cmp_eq_u32_e64 s[0:1], 0, v17
	s_orn2_b64 s[14:15], s[0:1], exec
; %bb.181:
	s_or_b64 exec, exec, s[6:7]
	s_and_saveexec_b64 s[6:7], s[14:15]
	s_cbranch_execz .LBB143_194
; %bb.182:
	s_add_i32 s14, s2, 8
	s_cmp_le_u32 s3, s14
	s_cselect_b64 s[0:1], -1, 0
	s_and_b64 s[16:17], s[0:1], exec
	s_cselect_b32 s15, 8, 10
	s_or_b64 s[0:1], s[0:1], vcc
	s_xor_b64 s[16:17], s[0:1], -1
	v_mov_b32_e32 v17, s15
	s_and_saveexec_b64 s[0:1], s[16:17]
	s_cbranch_execz .LBB143_184
; %bb.183:
	s_sub_i32 s15, s3, s14
	s_min_u32 s15, s15, 8
	v_lshrrev_b32_e32 v17, s14, v16
	v_bfe_u32 v17, v17, 0, s15
	v_lshlrev_b32_e32 v18, 2, v2
	v_lshl_or_b32 v17, v17, 4, v18
	v_mov_b32_e32 v18, 1
	ds_add_u32 v17, v18 offset:4096
	v_mov_b32_e32 v17, 0
.LBB143_184:
	s_or_b64 exec, exec, s[0:1]
	v_cmp_gt_i32_e64 s[0:1], 10, v17
	s_mov_b64 s[14:15], -1
	s_and_saveexec_b64 s[16:17], s[0:1]
; %bb.185:
	v_cmp_eq_u32_e64 s[0:1], 0, v17
	s_orn2_b64 s[14:15], s[0:1], exec
; %bb.186:
	s_or_b64 exec, exec, s[16:17]
	s_and_b64 exec, exec, s[14:15]
	s_cbranch_execz .LBB143_194
; %bb.187:
	s_add_i32 s14, s2, 16
	s_cmp_le_u32 s3, s14
	s_cselect_b64 s[0:1], -1, 0
	s_and_b64 s[16:17], s[0:1], exec
	s_cselect_b32 s15, 8, 10
	s_or_b64 s[0:1], s[0:1], vcc
	s_xor_b64 s[16:17], s[0:1], -1
	v_mov_b32_e32 v17, s15
	s_and_saveexec_b64 s[0:1], s[16:17]
	s_cbranch_execz .LBB143_189
; %bb.188:
	s_sub_i32 s15, s3, s14
	s_min_u32 s15, s15, 8
	v_lshrrev_b32_e32 v17, s14, v16
	v_bfe_u32 v17, v17, 0, s15
	v_lshlrev_b32_e32 v18, 2, v2
	v_lshl_or_b32 v17, v17, 4, v18
	v_mov_b32_e32 v18, 1
	ds_add_u32 v17, v18 offset:8192
	v_mov_b32_e32 v17, 0
.LBB143_189:
	s_or_b64 exec, exec, s[0:1]
	v_cmp_gt_i32_e64 s[0:1], 10, v17
	s_mov_b64 s[14:15], -1
	s_and_saveexec_b64 s[16:17], s[0:1]
; %bb.190:
	v_cmp_eq_u32_e64 s[0:1], 0, v17
	s_orn2_b64 s[14:15], s[0:1], exec
; %bb.191:
	s_or_b64 exec, exec, s[16:17]
	s_and_b64 exec, exec, s[14:15]
	s_cbranch_execz .LBB143_194
; %bb.192:
	s_add_i32 s0, s2, 24
	s_cmp_gt_u32 s3, s0
	s_cselect_b64 s[14:15], -1, 0
	s_xor_b64 s[16:17], vcc, -1
	s_and_b64 s[14:15], s[14:15], s[16:17]
	s_and_b64 exec, exec, s[14:15]
	s_cbranch_execz .LBB143_194
; %bb.193:
	s_sub_i32 s1, s3, s0
	s_min_u32 s1, s1, 8
	v_lshrrev_b32_e32 v16, s0, v16
	v_bfe_u32 v16, v16, 0, s1
	v_lshlrev_b32_e32 v17, 2, v2
	v_lshl_or_b32 v16, v16, 4, v17
	v_mov_b32_e32 v17, 1
	ds_add_u32 v16, v17 offset:12288
.LBB143_194:
	s_or_b64 exec, exec, s[6:7]
	v_cmp_le_u32_e32 vcc, s13, v15
	s_or_b64 s[0:1], s[4:5], vcc
	s_xor_b64 s[6:7], s[0:1], -1
	v_mov_b32_e32 v15, s18
	s_and_saveexec_b64 s[0:1], s[6:7]
	s_cbranch_execz .LBB143_196
; %bb.195:
	s_sub_i32 s6, s3, s2
	s_min_u32 s6, s6, 8
	v_lshrrev_b32_e32 v15, s2, v14
	v_bfe_u32 v15, v15, 0, s6
	v_lshlrev_b32_e32 v16, 2, v2
	v_lshl_or_b32 v15, v15, 4, v16
	v_mov_b32_e32 v16, 1
	ds_add_u32 v15, v16
	v_mov_b32_e32 v15, 0
.LBB143_196:
	s_or_b64 exec, exec, s[0:1]
	v_cmp_gt_i32_e64 s[0:1], 10, v15
	s_mov_b64 s[14:15], -1
	s_and_saveexec_b64 s[6:7], s[0:1]
; %bb.197:
	v_cmp_eq_u32_e64 s[0:1], 0, v15
	s_orn2_b64 s[14:15], s[0:1], exec
; %bb.198:
	s_or_b64 exec, exec, s[6:7]
	s_and_saveexec_b64 s[6:7], s[14:15]
	s_cbranch_execz .LBB143_211
; %bb.199:
	s_add_i32 s14, s2, 8
	s_cmp_le_u32 s3, s14
	s_cselect_b64 s[0:1], -1, 0
	s_and_b64 s[16:17], s[0:1], exec
	s_cselect_b32 s15, 8, 10
	s_or_b64 s[0:1], s[0:1], vcc
	s_xor_b64 s[16:17], s[0:1], -1
	v_mov_b32_e32 v15, s15
	s_and_saveexec_b64 s[0:1], s[16:17]
	s_cbranch_execz .LBB143_201
; %bb.200:
	s_sub_i32 s15, s3, s14
	s_min_u32 s15, s15, 8
	v_lshrrev_b32_e32 v15, s14, v14
	v_bfe_u32 v15, v15, 0, s15
	v_lshlrev_b32_e32 v16, 2, v2
	v_lshl_or_b32 v15, v15, 4, v16
	v_mov_b32_e32 v16, 1
	ds_add_u32 v15, v16 offset:4096
	v_mov_b32_e32 v15, 0
.LBB143_201:
	s_or_b64 exec, exec, s[0:1]
	v_cmp_gt_i32_e64 s[0:1], 10, v15
	s_mov_b64 s[14:15], -1
	s_and_saveexec_b64 s[16:17], s[0:1]
; %bb.202:
	v_cmp_eq_u32_e64 s[0:1], 0, v15
	s_orn2_b64 s[14:15], s[0:1], exec
; %bb.203:
	s_or_b64 exec, exec, s[16:17]
	s_and_b64 exec, exec, s[14:15]
	s_cbranch_execz .LBB143_211
; %bb.204:
	s_add_i32 s14, s2, 16
	s_cmp_le_u32 s3, s14
	s_cselect_b64 s[0:1], -1, 0
	s_and_b64 s[16:17], s[0:1], exec
	s_cselect_b32 s15, 8, 10
	s_or_b64 s[0:1], s[0:1], vcc
	s_xor_b64 s[16:17], s[0:1], -1
	v_mov_b32_e32 v15, s15
	s_and_saveexec_b64 s[0:1], s[16:17]
	s_cbranch_execz .LBB143_206
; %bb.205:
	s_sub_i32 s15, s3, s14
	s_min_u32 s15, s15, 8
	v_lshrrev_b32_e32 v15, s14, v14
	v_bfe_u32 v15, v15, 0, s15
	v_lshlrev_b32_e32 v16, 2, v2
	v_lshl_or_b32 v15, v15, 4, v16
	v_mov_b32_e32 v16, 1
	ds_add_u32 v15, v16 offset:8192
	v_mov_b32_e32 v15, 0
.LBB143_206:
	s_or_b64 exec, exec, s[0:1]
	v_cmp_gt_i32_e64 s[0:1], 10, v15
	s_mov_b64 s[14:15], -1
	s_and_saveexec_b64 s[16:17], s[0:1]
; %bb.207:
	v_cmp_eq_u32_e64 s[0:1], 0, v15
	s_orn2_b64 s[14:15], s[0:1], exec
; %bb.208:
	s_or_b64 exec, exec, s[16:17]
	s_and_b64 exec, exec, s[14:15]
	s_cbranch_execz .LBB143_211
; %bb.209:
	s_add_i32 s0, s2, 24
	s_cmp_gt_u32 s3, s0
	s_cselect_b64 s[14:15], -1, 0
	s_xor_b64 s[16:17], vcc, -1
	s_and_b64 s[14:15], s[14:15], s[16:17]
	s_and_b64 exec, exec, s[14:15]
	s_cbranch_execz .LBB143_211
; %bb.210:
	s_sub_i32 s1, s3, s0
	s_min_u32 s1, s1, 8
	v_lshrrev_b32_e32 v14, s0, v14
	v_bfe_u32 v14, v14, 0, s1
	v_lshlrev_b32_e32 v15, 2, v2
	v_lshl_or_b32 v14, v14, 4, v15
	v_mov_b32_e32 v15, 1
	ds_add_u32 v14, v15 offset:12288
.LBB143_211:
	s_or_b64 exec, exec, s[6:7]
	v_cmp_le_u32_e32 vcc, s13, v13
	s_or_b64 s[0:1], s[4:5], vcc
	s_xor_b64 s[6:7], s[0:1], -1
	v_mov_b32_e32 v13, s18
	s_and_saveexec_b64 s[0:1], s[6:7]
	s_cbranch_execz .LBB143_213
; %bb.212:
	s_sub_i32 s6, s3, s2
	s_min_u32 s6, s6, 8
	v_lshrrev_b32_e32 v13, s2, v12
	v_bfe_u32 v13, v13, 0, s6
	v_lshlrev_b32_e32 v14, 2, v2
	v_lshl_or_b32 v13, v13, 4, v14
	v_mov_b32_e32 v14, 1
	ds_add_u32 v13, v14
	v_mov_b32_e32 v13, 0
.LBB143_213:
	s_or_b64 exec, exec, s[0:1]
	v_cmp_gt_i32_e64 s[0:1], 10, v13
	s_mov_b64 s[14:15], -1
	s_and_saveexec_b64 s[6:7], s[0:1]
; %bb.214:
	v_cmp_eq_u32_e64 s[0:1], 0, v13
	s_orn2_b64 s[14:15], s[0:1], exec
; %bb.215:
	s_or_b64 exec, exec, s[6:7]
	s_and_saveexec_b64 s[6:7], s[14:15]
	s_cbranch_execz .LBB143_228
; %bb.216:
	s_add_i32 s14, s2, 8
	s_cmp_le_u32 s3, s14
	s_cselect_b64 s[0:1], -1, 0
	s_and_b64 s[16:17], s[0:1], exec
	s_cselect_b32 s15, 8, 10
	s_or_b64 s[0:1], s[0:1], vcc
	s_xor_b64 s[16:17], s[0:1], -1
	v_mov_b32_e32 v13, s15
	s_and_saveexec_b64 s[0:1], s[16:17]
	s_cbranch_execz .LBB143_218
; %bb.217:
	s_sub_i32 s15, s3, s14
	s_min_u32 s15, s15, 8
	v_lshrrev_b32_e32 v13, s14, v12
	v_bfe_u32 v13, v13, 0, s15
	v_lshlrev_b32_e32 v14, 2, v2
	v_lshl_or_b32 v13, v13, 4, v14
	v_mov_b32_e32 v14, 1
	ds_add_u32 v13, v14 offset:4096
	v_mov_b32_e32 v13, 0
.LBB143_218:
	s_or_b64 exec, exec, s[0:1]
	v_cmp_gt_i32_e64 s[0:1], 10, v13
	s_mov_b64 s[14:15], -1
	s_and_saveexec_b64 s[16:17], s[0:1]
; %bb.219:
	v_cmp_eq_u32_e64 s[0:1], 0, v13
	s_orn2_b64 s[14:15], s[0:1], exec
; %bb.220:
	s_or_b64 exec, exec, s[16:17]
	s_and_b64 exec, exec, s[14:15]
	s_cbranch_execz .LBB143_228
; %bb.221:
	s_add_i32 s14, s2, 16
	s_cmp_le_u32 s3, s14
	s_cselect_b64 s[0:1], -1, 0
	s_and_b64 s[16:17], s[0:1], exec
	s_cselect_b32 s15, 8, 10
	s_or_b64 s[0:1], s[0:1], vcc
	s_xor_b64 s[16:17], s[0:1], -1
	v_mov_b32_e32 v13, s15
	s_and_saveexec_b64 s[0:1], s[16:17]
	s_cbranch_execz .LBB143_223
; %bb.222:
	s_sub_i32 s15, s3, s14
	s_min_u32 s15, s15, 8
	v_lshrrev_b32_e32 v13, s14, v12
	v_bfe_u32 v13, v13, 0, s15
	v_lshlrev_b32_e32 v14, 2, v2
	v_lshl_or_b32 v13, v13, 4, v14
	v_mov_b32_e32 v14, 1
	ds_add_u32 v13, v14 offset:8192
	v_mov_b32_e32 v13, 0
.LBB143_223:
	s_or_b64 exec, exec, s[0:1]
	v_cmp_gt_i32_e64 s[0:1], 10, v13
	s_mov_b64 s[14:15], -1
	s_and_saveexec_b64 s[16:17], s[0:1]
; %bb.224:
	v_cmp_eq_u32_e64 s[0:1], 0, v13
	s_orn2_b64 s[14:15], s[0:1], exec
; %bb.225:
	s_or_b64 exec, exec, s[16:17]
	s_and_b64 exec, exec, s[14:15]
	s_cbranch_execz .LBB143_228
; %bb.226:
	s_add_i32 s0, s2, 24
	s_cmp_gt_u32 s3, s0
	s_cselect_b64 s[14:15], -1, 0
	s_xor_b64 s[16:17], vcc, -1
	s_and_b64 s[14:15], s[14:15], s[16:17]
	s_and_b64 exec, exec, s[14:15]
	s_cbranch_execz .LBB143_228
; %bb.227:
	s_sub_i32 s1, s3, s0
	s_min_u32 s1, s1, 8
	v_lshrrev_b32_e32 v12, s0, v12
	v_bfe_u32 v12, v12, 0, s1
	v_lshlrev_b32_e32 v13, 2, v2
	v_lshl_or_b32 v12, v12, 4, v13
	v_mov_b32_e32 v13, 1
	ds_add_u32 v12, v13 offset:12288
.LBB143_228:
	s_or_b64 exec, exec, s[6:7]
	v_cmp_le_u32_e32 vcc, s13, v11
	s_or_b64 s[0:1], s[4:5], vcc
	s_xor_b64 s[6:7], s[0:1], -1
	v_mov_b32_e32 v11, s18
	s_and_saveexec_b64 s[0:1], s[6:7]
	s_cbranch_execz .LBB143_230
; %bb.229:
	s_sub_i32 s6, s3, s2
	s_min_u32 s6, s6, 8
	v_lshrrev_b32_e32 v11, s2, v10
	v_bfe_u32 v11, v11, 0, s6
	v_lshlrev_b32_e32 v12, 2, v2
	v_lshl_or_b32 v11, v11, 4, v12
	v_mov_b32_e32 v12, 1
	ds_add_u32 v11, v12
	v_mov_b32_e32 v11, 0
.LBB143_230:
	s_or_b64 exec, exec, s[0:1]
	v_cmp_gt_i32_e64 s[0:1], 10, v11
	s_mov_b64 s[14:15], -1
	s_and_saveexec_b64 s[6:7], s[0:1]
; %bb.231:
	v_cmp_eq_u32_e64 s[0:1], 0, v11
	s_orn2_b64 s[14:15], s[0:1], exec
; %bb.232:
	s_or_b64 exec, exec, s[6:7]
	s_and_saveexec_b64 s[6:7], s[14:15]
	s_cbranch_execz .LBB143_245
; %bb.233:
	s_add_i32 s14, s2, 8
	s_cmp_le_u32 s3, s14
	s_cselect_b64 s[0:1], -1, 0
	s_and_b64 s[16:17], s[0:1], exec
	s_cselect_b32 s15, 8, 10
	s_or_b64 s[0:1], s[0:1], vcc
	s_xor_b64 s[16:17], s[0:1], -1
	v_mov_b32_e32 v11, s15
	s_and_saveexec_b64 s[0:1], s[16:17]
	s_cbranch_execz .LBB143_235
; %bb.234:
	s_sub_i32 s15, s3, s14
	s_min_u32 s15, s15, 8
	v_lshrrev_b32_e32 v11, s14, v10
	v_bfe_u32 v11, v11, 0, s15
	v_lshlrev_b32_e32 v12, 2, v2
	v_lshl_or_b32 v11, v11, 4, v12
	v_mov_b32_e32 v12, 1
	ds_add_u32 v11, v12 offset:4096
	v_mov_b32_e32 v11, 0
.LBB143_235:
	s_or_b64 exec, exec, s[0:1]
	v_cmp_gt_i32_e64 s[0:1], 10, v11
	s_mov_b64 s[14:15], -1
	s_and_saveexec_b64 s[16:17], s[0:1]
; %bb.236:
	v_cmp_eq_u32_e64 s[0:1], 0, v11
	s_orn2_b64 s[14:15], s[0:1], exec
; %bb.237:
	s_or_b64 exec, exec, s[16:17]
	s_and_b64 exec, exec, s[14:15]
	s_cbranch_execz .LBB143_245
; %bb.238:
	s_add_i32 s14, s2, 16
	s_cmp_le_u32 s3, s14
	s_cselect_b64 s[0:1], -1, 0
	s_and_b64 s[16:17], s[0:1], exec
	s_cselect_b32 s15, 8, 10
	s_or_b64 s[0:1], s[0:1], vcc
	s_xor_b64 s[16:17], s[0:1], -1
	v_mov_b32_e32 v11, s15
	s_and_saveexec_b64 s[0:1], s[16:17]
	s_cbranch_execz .LBB143_240
; %bb.239:
	s_sub_i32 s15, s3, s14
	s_min_u32 s15, s15, 8
	v_lshrrev_b32_e32 v11, s14, v10
	v_bfe_u32 v11, v11, 0, s15
	v_lshlrev_b32_e32 v12, 2, v2
	v_lshl_or_b32 v11, v11, 4, v12
	v_mov_b32_e32 v12, 1
	ds_add_u32 v11, v12 offset:8192
	v_mov_b32_e32 v11, 0
.LBB143_240:
	s_or_b64 exec, exec, s[0:1]
	v_cmp_gt_i32_e64 s[0:1], 10, v11
	s_mov_b64 s[14:15], -1
	s_and_saveexec_b64 s[16:17], s[0:1]
; %bb.241:
	v_cmp_eq_u32_e64 s[0:1], 0, v11
	s_orn2_b64 s[14:15], s[0:1], exec
; %bb.242:
	s_or_b64 exec, exec, s[16:17]
	s_and_b64 exec, exec, s[14:15]
	s_cbranch_execz .LBB143_245
; %bb.243:
	s_add_i32 s0, s2, 24
	s_cmp_gt_u32 s3, s0
	s_cselect_b64 s[14:15], -1, 0
	s_xor_b64 s[16:17], vcc, -1
	s_and_b64 s[14:15], s[14:15], s[16:17]
	s_and_b64 exec, exec, s[14:15]
	s_cbranch_execz .LBB143_245
; %bb.244:
	s_sub_i32 s1, s3, s0
	s_min_u32 s1, s1, 8
	v_lshrrev_b32_e32 v10, s0, v10
	v_bfe_u32 v10, v10, 0, s1
	v_lshlrev_b32_e32 v11, 2, v2
	v_lshl_or_b32 v10, v10, 4, v11
	v_mov_b32_e32 v11, 1
	ds_add_u32 v10, v11 offset:12288
.LBB143_245:
	s_or_b64 exec, exec, s[6:7]
	v_cmp_le_u32_e32 vcc, s13, v9
	s_or_b64 s[0:1], s[4:5], vcc
	s_xor_b64 s[6:7], s[0:1], -1
	v_mov_b32_e32 v9, s18
	s_and_saveexec_b64 s[0:1], s[6:7]
	s_cbranch_execz .LBB143_247
; %bb.246:
	s_sub_i32 s6, s3, s2
	s_min_u32 s6, s6, 8
	v_lshrrev_b32_e32 v9, s2, v8
	v_bfe_u32 v9, v9, 0, s6
	v_lshlrev_b32_e32 v10, 2, v2
	v_lshl_or_b32 v9, v9, 4, v10
	v_mov_b32_e32 v10, 1
	ds_add_u32 v9, v10
	v_mov_b32_e32 v9, 0
.LBB143_247:
	s_or_b64 exec, exec, s[0:1]
	v_cmp_gt_i32_e64 s[0:1], 10, v9
	s_mov_b64 s[14:15], -1
	s_and_saveexec_b64 s[6:7], s[0:1]
; %bb.248:
	v_cmp_eq_u32_e64 s[0:1], 0, v9
	s_orn2_b64 s[14:15], s[0:1], exec
; %bb.249:
	s_or_b64 exec, exec, s[6:7]
	s_and_saveexec_b64 s[6:7], s[14:15]
	s_cbranch_execz .LBB143_262
; %bb.250:
	s_add_i32 s14, s2, 8
	s_cmp_le_u32 s3, s14
	s_cselect_b64 s[0:1], -1, 0
	s_and_b64 s[16:17], s[0:1], exec
	s_cselect_b32 s15, 8, 10
	s_or_b64 s[0:1], s[0:1], vcc
	s_xor_b64 s[16:17], s[0:1], -1
	v_mov_b32_e32 v9, s15
	s_and_saveexec_b64 s[0:1], s[16:17]
	s_cbranch_execz .LBB143_252
; %bb.251:
	s_sub_i32 s15, s3, s14
	s_min_u32 s15, s15, 8
	v_lshrrev_b32_e32 v9, s14, v8
	v_bfe_u32 v9, v9, 0, s15
	v_lshlrev_b32_e32 v10, 2, v2
	v_lshl_or_b32 v9, v9, 4, v10
	v_mov_b32_e32 v10, 1
	ds_add_u32 v9, v10 offset:4096
	v_mov_b32_e32 v9, 0
.LBB143_252:
	s_or_b64 exec, exec, s[0:1]
	v_cmp_gt_i32_e64 s[0:1], 10, v9
	s_mov_b64 s[14:15], -1
	s_and_saveexec_b64 s[16:17], s[0:1]
; %bb.253:
	v_cmp_eq_u32_e64 s[0:1], 0, v9
	s_orn2_b64 s[14:15], s[0:1], exec
; %bb.254:
	s_or_b64 exec, exec, s[16:17]
	s_and_b64 exec, exec, s[14:15]
	s_cbranch_execz .LBB143_262
; %bb.255:
	s_add_i32 s14, s2, 16
	s_cmp_le_u32 s3, s14
	s_cselect_b64 s[0:1], -1, 0
	s_and_b64 s[16:17], s[0:1], exec
	s_cselect_b32 s15, 8, 10
	s_or_b64 s[0:1], s[0:1], vcc
	s_xor_b64 s[16:17], s[0:1], -1
	v_mov_b32_e32 v9, s15
	s_and_saveexec_b64 s[0:1], s[16:17]
	s_cbranch_execz .LBB143_257
; %bb.256:
	s_sub_i32 s15, s3, s14
	s_min_u32 s15, s15, 8
	v_lshrrev_b32_e32 v9, s14, v8
	v_bfe_u32 v9, v9, 0, s15
	v_lshlrev_b32_e32 v10, 2, v2
	v_lshl_or_b32 v9, v9, 4, v10
	v_mov_b32_e32 v10, 1
	ds_add_u32 v9, v10 offset:8192
	v_mov_b32_e32 v9, 0
.LBB143_257:
	s_or_b64 exec, exec, s[0:1]
	v_cmp_gt_i32_e64 s[0:1], 10, v9
	s_mov_b64 s[14:15], -1
	s_and_saveexec_b64 s[16:17], s[0:1]
; %bb.258:
	v_cmp_eq_u32_e64 s[0:1], 0, v9
	s_orn2_b64 s[14:15], s[0:1], exec
; %bb.259:
	s_or_b64 exec, exec, s[16:17]
	s_and_b64 exec, exec, s[14:15]
	s_cbranch_execz .LBB143_262
; %bb.260:
	s_add_i32 s0, s2, 24
	s_cmp_gt_u32 s3, s0
	s_cselect_b64 s[14:15], -1, 0
	s_xor_b64 s[16:17], vcc, -1
	s_and_b64 s[14:15], s[14:15], s[16:17]
	s_and_b64 exec, exec, s[14:15]
	s_cbranch_execz .LBB143_262
; %bb.261:
	s_sub_i32 s1, s3, s0
	s_min_u32 s1, s1, 8
	v_lshrrev_b32_e32 v8, s0, v8
	v_bfe_u32 v8, v8, 0, s1
	v_lshlrev_b32_e32 v9, 2, v2
	v_lshl_or_b32 v8, v8, 4, v9
	v_mov_b32_e32 v9, 1
	ds_add_u32 v8, v9 offset:12288
.LBB143_262:
	s_or_b64 exec, exec, s[6:7]
	v_cmp_le_u32_e32 vcc, s13, v7
	s_or_b64 s[0:1], s[4:5], vcc
	s_xor_b64 s[6:7], s[0:1], -1
	v_mov_b32_e32 v7, s18
	s_and_saveexec_b64 s[0:1], s[6:7]
	s_cbranch_execz .LBB143_264
; %bb.263:
	s_sub_i32 s6, s3, s2
	s_min_u32 s6, s6, 8
	v_lshrrev_b32_e32 v7, s2, v6
	v_bfe_u32 v7, v7, 0, s6
	v_lshlrev_b32_e32 v8, 2, v2
	v_lshl_or_b32 v7, v7, 4, v8
	v_mov_b32_e32 v8, 1
	ds_add_u32 v7, v8
	v_mov_b32_e32 v7, 0
.LBB143_264:
	s_or_b64 exec, exec, s[0:1]
	v_cmp_gt_i32_e64 s[0:1], 10, v7
	s_mov_b64 s[14:15], -1
	s_and_saveexec_b64 s[6:7], s[0:1]
; %bb.265:
	v_cmp_eq_u32_e64 s[0:1], 0, v7
	s_orn2_b64 s[14:15], s[0:1], exec
; %bb.266:
	s_or_b64 exec, exec, s[6:7]
	s_and_saveexec_b64 s[6:7], s[14:15]
	s_cbranch_execz .LBB143_279
; %bb.267:
	s_add_i32 s14, s2, 8
	s_cmp_le_u32 s3, s14
	s_cselect_b64 s[0:1], -1, 0
	s_and_b64 s[16:17], s[0:1], exec
	s_cselect_b32 s15, 8, 10
	s_or_b64 s[0:1], s[0:1], vcc
	s_xor_b64 s[16:17], s[0:1], -1
	v_mov_b32_e32 v7, s15
	s_and_saveexec_b64 s[0:1], s[16:17]
	s_cbranch_execz .LBB143_269
; %bb.268:
	s_sub_i32 s15, s3, s14
	s_min_u32 s15, s15, 8
	v_lshrrev_b32_e32 v7, s14, v6
	v_bfe_u32 v7, v7, 0, s15
	v_lshlrev_b32_e32 v8, 2, v2
	v_lshl_or_b32 v7, v7, 4, v8
	v_mov_b32_e32 v8, 1
	ds_add_u32 v7, v8 offset:4096
	v_mov_b32_e32 v7, 0
.LBB143_269:
	s_or_b64 exec, exec, s[0:1]
	v_cmp_gt_i32_e64 s[0:1], 10, v7
	s_mov_b64 s[14:15], -1
	s_and_saveexec_b64 s[16:17], s[0:1]
; %bb.270:
	v_cmp_eq_u32_e64 s[0:1], 0, v7
	s_orn2_b64 s[14:15], s[0:1], exec
; %bb.271:
	s_or_b64 exec, exec, s[16:17]
	s_and_b64 exec, exec, s[14:15]
	s_cbranch_execz .LBB143_279
; %bb.272:
	s_add_i32 s14, s2, 16
	s_cmp_le_u32 s3, s14
	s_cselect_b64 s[0:1], -1, 0
	s_and_b64 s[16:17], s[0:1], exec
	s_cselect_b32 s15, 8, 10
	s_or_b64 s[0:1], s[0:1], vcc
	s_xor_b64 s[16:17], s[0:1], -1
	v_mov_b32_e32 v7, s15
	s_and_saveexec_b64 s[0:1], s[16:17]
	s_cbranch_execz .LBB143_274
; %bb.273:
	s_sub_i32 s15, s3, s14
	s_min_u32 s15, s15, 8
	v_lshrrev_b32_e32 v7, s14, v6
	v_bfe_u32 v7, v7, 0, s15
	v_lshlrev_b32_e32 v8, 2, v2
	v_lshl_or_b32 v7, v7, 4, v8
	v_mov_b32_e32 v8, 1
	ds_add_u32 v7, v8 offset:8192
	v_mov_b32_e32 v7, 0
.LBB143_274:
	s_or_b64 exec, exec, s[0:1]
	v_cmp_gt_i32_e64 s[0:1], 10, v7
	s_mov_b64 s[14:15], -1
	s_and_saveexec_b64 s[16:17], s[0:1]
; %bb.275:
	v_cmp_eq_u32_e64 s[0:1], 0, v7
	s_orn2_b64 s[14:15], s[0:1], exec
; %bb.276:
	s_or_b64 exec, exec, s[16:17]
	s_and_b64 exec, exec, s[14:15]
	s_cbranch_execz .LBB143_279
; %bb.277:
	s_add_i32 s0, s2, 24
	s_cmp_gt_u32 s3, s0
	s_cselect_b64 s[14:15], -1, 0
	s_xor_b64 s[16:17], vcc, -1
	s_and_b64 s[14:15], s[14:15], s[16:17]
	s_and_b64 exec, exec, s[14:15]
	s_cbranch_execz .LBB143_279
; %bb.278:
	s_sub_i32 s1, s3, s0
	s_min_u32 s1, s1, 8
	v_lshrrev_b32_e32 v6, s0, v6
	v_bfe_u32 v6, v6, 0, s1
	v_lshlrev_b32_e32 v7, 2, v2
	v_lshl_or_b32 v6, v6, 4, v7
	v_mov_b32_e32 v7, 1
	ds_add_u32 v6, v7 offset:12288
.LBB143_279:
	s_or_b64 exec, exec, s[6:7]
	v_cmp_le_u32_e32 vcc, s13, v5
	s_or_b64 s[0:1], s[4:5], vcc
	s_xor_b64 s[6:7], s[0:1], -1
	v_mov_b32_e32 v5, s18
	s_and_saveexec_b64 s[0:1], s[6:7]
	s_cbranch_execz .LBB143_281
; %bb.280:
	s_sub_i32 s6, s3, s2
	s_min_u32 s6, s6, 8
	v_lshrrev_b32_e32 v5, s2, v4
	v_bfe_u32 v5, v5, 0, s6
	v_lshlrev_b32_e32 v6, 2, v2
	v_lshl_or_b32 v5, v5, 4, v6
	v_mov_b32_e32 v6, 1
	ds_add_u32 v5, v6
	v_mov_b32_e32 v5, 0
.LBB143_281:
	s_or_b64 exec, exec, s[0:1]
	v_cmp_gt_i32_e64 s[0:1], 10, v5
	s_mov_b64 s[14:15], -1
	s_and_saveexec_b64 s[6:7], s[0:1]
; %bb.282:
	v_cmp_eq_u32_e64 s[0:1], 0, v5
	s_orn2_b64 s[14:15], s[0:1], exec
; %bb.283:
	s_or_b64 exec, exec, s[6:7]
	s_and_saveexec_b64 s[6:7], s[14:15]
	s_cbranch_execz .LBB143_296
; %bb.284:
	s_add_i32 s14, s2, 8
	s_cmp_le_u32 s3, s14
	s_cselect_b64 s[0:1], -1, 0
	s_and_b64 s[16:17], s[0:1], exec
	s_cselect_b32 s15, 8, 10
	s_or_b64 s[0:1], s[0:1], vcc
	s_xor_b64 s[16:17], s[0:1], -1
	v_mov_b32_e32 v5, s15
	s_and_saveexec_b64 s[0:1], s[16:17]
	s_cbranch_execz .LBB143_286
; %bb.285:
	s_sub_i32 s15, s3, s14
	s_min_u32 s15, s15, 8
	v_lshrrev_b32_e32 v5, s14, v4
	v_bfe_u32 v5, v5, 0, s15
	v_lshlrev_b32_e32 v6, 2, v2
	v_lshl_or_b32 v5, v5, 4, v6
	v_mov_b32_e32 v6, 1
	ds_add_u32 v5, v6 offset:4096
	v_mov_b32_e32 v5, 0
.LBB143_286:
	s_or_b64 exec, exec, s[0:1]
	v_cmp_gt_i32_e64 s[0:1], 10, v5
	s_mov_b64 s[14:15], -1
	s_and_saveexec_b64 s[16:17], s[0:1]
; %bb.287:
	v_cmp_eq_u32_e64 s[0:1], 0, v5
	s_orn2_b64 s[14:15], s[0:1], exec
; %bb.288:
	s_or_b64 exec, exec, s[16:17]
	s_and_b64 exec, exec, s[14:15]
	s_cbranch_execz .LBB143_296
; %bb.289:
	s_add_i32 s14, s2, 16
	s_cmp_le_u32 s3, s14
	s_cselect_b64 s[0:1], -1, 0
	s_and_b64 s[16:17], s[0:1], exec
	s_cselect_b32 s15, 8, 10
	s_or_b64 s[0:1], s[0:1], vcc
	s_xor_b64 s[16:17], s[0:1], -1
	v_mov_b32_e32 v5, s15
	s_and_saveexec_b64 s[0:1], s[16:17]
	s_cbranch_execz .LBB143_291
; %bb.290:
	s_sub_i32 s15, s3, s14
	s_min_u32 s15, s15, 8
	v_lshrrev_b32_e32 v5, s14, v4
	v_bfe_u32 v5, v5, 0, s15
	v_lshlrev_b32_e32 v6, 2, v2
	v_lshl_or_b32 v5, v5, 4, v6
	v_mov_b32_e32 v6, 1
	ds_add_u32 v5, v6 offset:8192
	v_mov_b32_e32 v5, 0
.LBB143_291:
	s_or_b64 exec, exec, s[0:1]
	v_cmp_gt_i32_e64 s[0:1], 10, v5
	s_mov_b64 s[14:15], -1
	s_and_saveexec_b64 s[16:17], s[0:1]
; %bb.292:
	v_cmp_eq_u32_e64 s[0:1], 0, v5
	s_orn2_b64 s[14:15], s[0:1], exec
; %bb.293:
	s_or_b64 exec, exec, s[16:17]
	s_and_b64 exec, exec, s[14:15]
	s_cbranch_execz .LBB143_296
; %bb.294:
	s_add_i32 s0, s2, 24
	s_cmp_gt_u32 s3, s0
	s_cselect_b64 s[14:15], -1, 0
	s_xor_b64 s[16:17], vcc, -1
	s_and_b64 s[14:15], s[14:15], s[16:17]
	s_and_b64 exec, exec, s[14:15]
	s_cbranch_execz .LBB143_296
; %bb.295:
	s_sub_i32 s1, s3, s0
	s_min_u32 s1, s1, 8
	v_lshrrev_b32_e32 v4, s0, v4
	v_bfe_u32 v4, v4, 0, s1
	v_lshlrev_b32_e32 v5, 2, v2
	v_lshl_or_b32 v4, v4, 4, v5
	v_mov_b32_e32 v5, 1
	ds_add_u32 v4, v5 offset:12288
.LBB143_296:
	s_or_b64 exec, exec, s[6:7]
	v_cmp_le_u32_e32 vcc, s13, v3
	s_or_b64 s[0:1], s[4:5], vcc
	s_xor_b64 s[4:5], s[0:1], -1
	v_mov_b32_e32 v3, s18
	s_and_saveexec_b64 s[0:1], s[4:5]
	s_cbranch_execz .LBB143_298
; %bb.297:
	s_sub_i32 s4, s3, s2
	s_min_u32 s4, s4, 8
	v_lshrrev_b32_e32 v3, s2, v1
	v_bfe_u32 v3, v3, 0, s4
	v_lshlrev_b32_e32 v4, 2, v2
	v_lshl_or_b32 v3, v3, 4, v4
	v_mov_b32_e32 v4, 1
	ds_add_u32 v3, v4
	v_mov_b32_e32 v3, 0
.LBB143_298:
	s_or_b64 exec, exec, s[0:1]
	v_cmp_gt_i32_e64 s[0:1], 10, v3
	s_mov_b64 s[6:7], -1
	s_and_saveexec_b64 s[4:5], s[0:1]
; %bb.299:
	v_cmp_eq_u32_e64 s[0:1], 0, v3
	s_orn2_b64 s[6:7], s[0:1], exec
; %bb.300:
	s_or_b64 exec, exec, s[4:5]
	s_and_saveexec_b64 s[4:5], s[6:7]
	s_cbranch_execz .LBB143_313
; %bb.301:
	s_add_i32 s6, s2, 8
	s_cmp_le_u32 s3, s6
	s_cselect_b64 s[0:1], -1, 0
	s_and_b64 s[14:15], s[0:1], exec
	s_cselect_b32 s7, 8, 10
	s_or_b64 s[0:1], s[0:1], vcc
	s_xor_b64 s[14:15], s[0:1], -1
	v_mov_b32_e32 v3, s7
	s_and_saveexec_b64 s[0:1], s[14:15]
	s_cbranch_execz .LBB143_303
; %bb.302:
	s_sub_i32 s7, s3, s6
	s_min_u32 s7, s7, 8
	v_lshrrev_b32_e32 v3, s6, v1
	v_bfe_u32 v3, v3, 0, s7
	v_lshlrev_b32_e32 v4, 2, v2
	v_lshl_or_b32 v3, v3, 4, v4
	v_mov_b32_e32 v4, 1
	ds_add_u32 v3, v4 offset:4096
	v_mov_b32_e32 v3, 0
.LBB143_303:
	s_or_b64 exec, exec, s[0:1]
	v_cmp_gt_i32_e64 s[0:1], 10, v3
	s_mov_b64 s[6:7], -1
	s_and_saveexec_b64 s[14:15], s[0:1]
; %bb.304:
	v_cmp_eq_u32_e64 s[0:1], 0, v3
	s_orn2_b64 s[6:7], s[0:1], exec
; %bb.305:
	s_or_b64 exec, exec, s[14:15]
	s_and_b64 exec, exec, s[6:7]
	s_cbranch_execz .LBB143_313
; %bb.306:
	s_add_i32 s6, s2, 16
	s_cmp_le_u32 s3, s6
	s_cselect_b64 s[0:1], -1, 0
	s_and_b64 s[14:15], s[0:1], exec
	s_cselect_b32 s7, 8, 10
	s_or_b64 s[0:1], s[0:1], vcc
	s_xor_b64 s[14:15], s[0:1], -1
	v_mov_b32_e32 v3, s7
	s_and_saveexec_b64 s[0:1], s[14:15]
	s_cbranch_execz .LBB143_308
; %bb.307:
	s_sub_i32 s7, s3, s6
	s_min_u32 s7, s7, 8
	v_lshrrev_b32_e32 v3, s6, v1
	v_bfe_u32 v3, v3, 0, s7
	v_lshlrev_b32_e32 v4, 2, v2
	v_lshl_or_b32 v3, v3, 4, v4
	v_mov_b32_e32 v4, 1
	ds_add_u32 v3, v4 offset:8192
	v_mov_b32_e32 v3, 0
.LBB143_308:
	s_or_b64 exec, exec, s[0:1]
	v_cmp_gt_i32_e64 s[0:1], 10, v3
	s_mov_b64 s[6:7], -1
	s_and_saveexec_b64 s[14:15], s[0:1]
; %bb.309:
	v_cmp_eq_u32_e64 s[0:1], 0, v3
	s_orn2_b64 s[6:7], s[0:1], exec
; %bb.310:
	s_or_b64 exec, exec, s[14:15]
	s_and_b64 exec, exec, s[6:7]
	s_cbranch_execz .LBB143_313
; %bb.311:
	s_add_i32 s0, s2, 24
	s_cmp_gt_u32 s3, s0
	s_cselect_b64 s[6:7], -1, 0
	s_xor_b64 s[14:15], vcc, -1
	s_and_b64 s[6:7], s[6:7], s[14:15]
	s_and_b64 exec, exec, s[6:7]
	s_cbranch_execz .LBB143_313
; %bb.312:
	s_sub_i32 s1, s3, s0
	s_min_u32 s1, s1, 8
	v_lshrrev_b32_e32 v1, s0, v1
	v_bfe_u32 v1, v1, 0, s1
	v_lshlrev_b32_e32 v2, 2, v2
	v_lshl_or_b32 v1, v1, 4, v2
	v_mov_b32_e32 v2, 1
	ds_add_u32 v1, v2 offset:12288
.LBB143_313:
	s_or_b64 exec, exec, s[4:5]
	s_cmp_lt_u32 s2, s3
	s_waitcnt lgkmcnt(0)
	s_barrier
	s_cbranch_scc0 .LBB143_318
; %bb.314:
	s_movk_i32 s0, 0x100
	v_cmp_gt_u32_e32 vcc, s0, v0
	v_lshlrev_b32_e32 v1, 4, v0
	v_mov_b32_e32 v3, 0
	v_mov_b32_e32 v2, v0
	s_mov_b32 s6, s2
	s_branch .LBB143_316
.LBB143_315:                            ;   in Loop: Header=BB143_316 Depth=1
	s_or_b64 exec, exec, s[4:5]
	s_add_i32 s6, s6, 8
	v_add_u32_e32 v2, 0x100, v2
	s_cmp_lt_u32 s6, s3
	v_add_u32_e32 v1, 0x1000, v1
	s_cbranch_scc0 .LBB143_318
.LBB143_316:                            ; =>This Inner Loop Header: Depth=1
	s_and_saveexec_b64 s[4:5], vcc
	s_cbranch_execz .LBB143_315
; %bb.317:                              ;   in Loop: Header=BB143_316 Depth=1
	ds_read2_b32 v[4:5], v1 offset1:1
	ds_read2_b32 v[6:7], v1 offset0:2 offset1:3
	v_lshlrev_b64 v[8:9], 2, v[2:3]
	v_mov_b32_e32 v10, s11
	s_waitcnt lgkmcnt(1)
	v_add_u32_e32 v4, v5, v4
	s_waitcnt lgkmcnt(0)
	v_add3_u32 v6, v4, v6, v7
	v_add_co_u32_e64 v4, s[0:1], s10, v8
	v_addc_co_u32_e64 v5, s[0:1], v10, v9, s[0:1]
	global_atomic_add v[4:5], v6, off
	s_branch .LBB143_315
.LBB143_318:
	s_mov_b64 s[0:1], 0
.LBB143_319:
	s_and_b64 vcc, exec, s[0:1]
	s_cbranch_vccz .LBB143_443
; %bb.320:
	s_cmp_eq_u32 s2, 0
	s_cselect_b64 s[0:1], -1, 0
	s_cmp_eq_u32 s3, 32
	s_mov_b32 s13, 0
	s_cselect_b64 s[4:5], -1, 0
	s_and_b64 s[0:1], s[0:1], s[4:5]
	s_lshl_b64 s[4:5], s[12:13], 2
	s_add_u32 s4, s8, s4
	s_addc_u32 s5, s9, s5
	v_lshlrev_b32_e32 v1, 2, v0
	v_mov_b32_e32 v2, s5
	v_add_co_u32_e32 v18, vcc, s4, v1
	v_addc_co_u32_e32 v26, vcc, 0, v2, vcc
	s_movk_i32 s6, 0x1000
	v_add_co_u32_e32 v2, vcc, s6, v18
	v_addc_co_u32_e32 v3, vcc, 0, v26, vcc
	s_movk_i32 s6, 0x2000
	;; [unrolled: 3-line block ×5, first 2 shown]
	v_add_co_u32_e32 v22, vcc, s6, v18
	v_addc_co_u32_e32 v23, vcc, 0, v26, vcc
	v_add_co_u32_e32 v24, vcc, 0x6000, v18
	global_load_dword v15, v[20:21], off
	global_load_dword v14, v[20:21], off offset:2048
	global_load_dword v12, v[6:7], off offset:-4096
	global_load_dword v11, v[6:7], off
	global_load_dword v9, v[6:7], off offset:2048
	v_addc_co_u32_e32 v25, vcc, 0, v26, vcc
	global_load_dword v19, v1, s[4:5]
	global_load_dword v17, v1, s[4:5] offset:2048
	global_load_dword v16, v[2:3], off offset:2048
	global_load_dword v13, v[4:5], off offset:2048
	global_load_dword v10, v[22:23], off
	global_load_dword v8, v[22:23], off offset:2048
	global_load_dword v7, v[24:25], off
	global_load_dword v6, v[24:25], off offset:2048
	v_add_co_u32_e32 v2, vcc, 0x7000, v18
	v_addc_co_u32_e32 v3, vcc, 0, v26, vcc
	global_load_dword v5, v[2:3], off
	global_load_dword v18, v[20:21], off offset:-4096
	global_load_dword v4, v[2:3], off offset:2048
	s_mov_b64 s[4:5], -1
	s_and_b64 vcc, exec, s[0:1]
	v_cmp_gt_u32_e64 s[0:1], 7, 4
	v_cmp_gt_u32_e64 s[6:7], 7, 3
	s_cbranch_vccnz .LBB143_432
; %bb.321:
	v_mov_b32_e32 v2, 0
	ds_write2st64_b32 v1, v2, v2 offset1:8
	ds_write2st64_b32 v1, v2, v2 offset0:16 offset1:24
	s_and_saveexec_b64 s[4:5], s[6:7]
	s_cbranch_execz .LBB143_323
; %bb.322:
	ds_write_b32 v1, v2 offset:8192
.LBB143_323:
	s_or_b64 exec, exec, s[4:5]
	s_and_saveexec_b64 s[4:5], s[0:1]
	s_cbranch_execz .LBB143_325
; %bb.324:
	v_mov_b32_e32 v2, 0
	ds_write_b32 v1, v2 offset:10240
.LBB143_325:
	s_or_b64 exec, exec, s[4:5]
	v_cmp_gt_u32_e64 s[0:1], 7, 6
	v_cmp_gt_u32_e64 s[6:7], 7, 5
	s_and_saveexec_b64 s[4:5], s[6:7]
	s_cbranch_execz .LBB143_327
; %bb.326:
	v_mov_b32_e32 v2, 0
	ds_write_b32 v1, v2 offset:12288
.LBB143_327:
	s_or_b64 exec, exec, s[4:5]
	s_and_saveexec_b64 s[4:5], s[0:1]
	s_cbranch_execz .LBB143_329
; %bb.328:
	v_mov_b32_e32 v2, 0
	ds_write_b32 v1, v2 offset:14336
.LBB143_329:
	s_or_b64 exec, exec, s[4:5]
	s_cmp_lt_u32 s2, s3
	s_cselect_b64 s[0:1], -1, 0
	s_and_b64 vcc, exec, s[0:1]
	s_waitcnt lgkmcnt(0)
	s_barrier
	s_cbranch_vccz .LBB143_426
; %bb.330:
	s_sub_i32 s4, s3, s2
	s_min_u32 s4, s4, 8
	s_lshl_b32 s4, -1, s4
	v_and_b32_e32 v2, 3, v0
	s_not_b32 s13, s4
	s_waitcnt vmcnt(10)
	v_lshrrev_b32_e32 v3, s2, v19
	v_and_b32_e32 v20, s13, v3
	v_lshlrev_b32_e32 v3, 2, v2
	v_lshl_or_b32 v20, v20, 4, v3
	v_mov_b32_e32 v21, 1
	ds_add_u32 v20, v21
	s_add_i32 s12, s2, 8
	s_cmp_le_u32 s3, s12
	s_cselect_b64 s[4:5], -1, 0
	s_waitcnt vmcnt(9)
	v_lshrrev_b32_e32 v20, s2, v17
	s_and_b64 vcc, exec, s[4:5]
	v_and_b32_e32 v20, s13, v20
	s_cbranch_vccz .LBB143_332
; %bb.331:
	v_lshl_or_b32 v21, v20, 2, v2
	s_mov_b64 s[6:7], -1
	s_cbranch_execz .LBB143_333
	s_branch .LBB143_340
.LBB143_332:
	s_mov_b64 s[6:7], 0
                                        ; implicit-def: $vgpr21
.LBB143_333:
	s_sub_i32 s8, s3, s12
	s_min_u32 s8, s8, 8
	s_lshl_b32 s8, -1, s8
	s_not_b32 s15, s8
	v_lshrrev_b32_e32 v21, s12, v19
	v_and_b32_e32 v21, s15, v21
	v_lshl_or_b32 v22, v21, 4, v3
	v_mov_b32_e32 v21, 1
	ds_add_u32 v22, v21 offset:4096
	s_add_i32 s14, s2, 16
	s_cmp_gt_u32 s3, s14
	s_cselect_b64 s[8:9], -1, 0
	s_cmp_le_u32 s3, s14
	s_cbranch_scc1 .LBB143_336
; %bb.334:
	s_sub_i32 s16, s3, s14
	s_min_u32 s16, s16, 8
	v_lshrrev_b32_e32 v22, s14, v19
	v_bfe_u32 v22, v22, 0, s16
	v_lshl_or_b32 v22, v22, 4, v3
	ds_add_u32 v22, v21 offset:8192
	s_add_i32 s16, s2, 24
	s_cmp_le_u32 s3, s16
	s_cbranch_scc1 .LBB143_336
; %bb.335:
	s_sub_i32 s17, s3, s16
	s_min_u32 s17, s17, 8
	v_lshrrev_b32_e32 v22, s16, v19
	v_bfe_u32 v22, v22, 0, s17
	v_lshl_or_b32 v22, v22, 4, v3
	v_mov_b32_e32 v23, 1
	ds_add_u32 v22, v23 offset:12288
.LBB143_336:
	v_lshl_or_b32 v20, v20, 4, v3
	ds_add_u32 v20, v21
	v_lshrrev_b32_e32 v20, s12, v17
	v_and_b32_e32 v20, s15, v20
	v_lshl_or_b32 v20, v20, 4, v3
	ds_add_u32 v20, v21 offset:4096
	s_andn2_b64 vcc, exec, s[8:9]
	s_cbranch_vccnz .LBB143_339
; %bb.337:
	s_sub_i32 s8, s3, s14
	s_min_u32 s8, s8, 8
	v_lshrrev_b32_e32 v20, s14, v17
	v_bfe_u32 v20, v20, 0, s8
	v_lshl_or_b32 v20, v20, 4, v3
	v_mov_b32_e32 v21, 1
	ds_add_u32 v20, v21 offset:8192
	s_add_i32 s8, s2, 24
	s_cmp_gt_u32 s3, s8
	s_cbranch_scc0 .LBB143_339
; %bb.338:
	s_sub_i32 s6, s3, s8
	s_min_u32 s6, s6, 8
	v_lshrrev_b32_e32 v20, s8, v17
	v_bfe_u32 v20, v20, 0, s6
	v_lshl_or_b32 v20, v20, 2, v2
	v_add_u32_e32 v21, 0xc00, v20
	s_mov_b64 s[6:7], -1
	s_branch .LBB143_340
.LBB143_339:
                                        ; implicit-def: $vgpr21
.LBB143_340:
	s_and_b64 vcc, exec, s[6:7]
	s_cbranch_vccz .LBB143_342
; %bb.341:
	v_lshlrev_b32_e32 v20, 2, v21
	v_mov_b32_e32 v21, 1
	ds_add_u32 v20, v21
.LBB143_342:
	s_waitcnt vmcnt(1)
	v_lshrrev_b32_e32 v20, s2, v18
	v_and_b32_e32 v20, s13, v20
	v_lshl_or_b32 v20, v20, 4, v3
	v_mov_b32_e32 v21, 1
	ds_add_u32 v20, v21
	v_lshrrev_b32_e32 v20, s2, v16
	s_and_b64 vcc, exec, s[4:5]
	v_and_b32_e32 v20, s13, v20
	s_cbranch_vccz .LBB143_344
; %bb.343:
	v_lshl_or_b32 v21, v20, 2, v2
	s_mov_b64 s[6:7], -1
	s_cbranch_execz .LBB143_345
	s_branch .LBB143_352
.LBB143_344:
	s_mov_b64 s[6:7], 0
                                        ; implicit-def: $vgpr21
.LBB143_345:
	s_sub_i32 s8, s3, s12
	s_min_u32 s8, s8, 8
	s_lshl_b32 s8, -1, s8
	s_not_b32 s15, s8
	v_lshrrev_b32_e32 v21, s12, v18
	v_and_b32_e32 v21, s15, v21
	v_lshl_or_b32 v22, v21, 4, v3
	v_mov_b32_e32 v21, 1
	ds_add_u32 v22, v21 offset:4096
	s_add_i32 s14, s2, 16
	s_cmp_gt_u32 s3, s14
	s_cselect_b64 s[8:9], -1, 0
	s_cmp_le_u32 s3, s14
	s_cbranch_scc1 .LBB143_348
; %bb.346:
	s_sub_i32 s16, s3, s14
	s_min_u32 s16, s16, 8
	v_lshrrev_b32_e32 v22, s14, v18
	v_bfe_u32 v22, v22, 0, s16
	v_lshl_or_b32 v22, v22, 4, v3
	ds_add_u32 v22, v21 offset:8192
	s_add_i32 s16, s2, 24
	s_cmp_le_u32 s3, s16
	s_cbranch_scc1 .LBB143_348
; %bb.347:
	s_sub_i32 s17, s3, s16
	s_min_u32 s17, s17, 8
	v_lshrrev_b32_e32 v22, s16, v18
	v_bfe_u32 v22, v22, 0, s17
	v_lshl_or_b32 v22, v22, 4, v3
	v_mov_b32_e32 v23, 1
	ds_add_u32 v22, v23 offset:12288
.LBB143_348:
	v_lshl_or_b32 v20, v20, 4, v3
	ds_add_u32 v20, v21
	v_lshrrev_b32_e32 v20, s12, v16
	v_and_b32_e32 v20, s15, v20
	v_lshl_or_b32 v20, v20, 4, v3
	ds_add_u32 v20, v21 offset:4096
	s_andn2_b64 vcc, exec, s[8:9]
	s_cbranch_vccnz .LBB143_351
; %bb.349:
	s_sub_i32 s8, s3, s14
	s_min_u32 s8, s8, 8
	v_lshrrev_b32_e32 v20, s14, v16
	v_bfe_u32 v20, v20, 0, s8
	v_lshl_or_b32 v20, v20, 4, v3
	v_mov_b32_e32 v21, 1
	ds_add_u32 v20, v21 offset:8192
	s_add_i32 s8, s2, 24
	s_cmp_gt_u32 s3, s8
	s_cbranch_scc0 .LBB143_351
; %bb.350:
	s_sub_i32 s6, s3, s8
	s_min_u32 s6, s6, 8
	v_lshrrev_b32_e32 v20, s8, v16
	v_bfe_u32 v20, v20, 0, s6
	v_lshl_or_b32 v20, v20, 2, v2
	v_add_u32_e32 v21, 0xc00, v20
	s_mov_b64 s[6:7], -1
	s_branch .LBB143_352
.LBB143_351:
                                        ; implicit-def: $vgpr21
.LBB143_352:
	s_and_b64 vcc, exec, s[6:7]
	s_cbranch_vccz .LBB143_354
; %bb.353:
	v_lshlrev_b32_e32 v20, 2, v21
	v_mov_b32_e32 v21, 1
	ds_add_u32 v20, v21
.LBB143_354:
	v_lshrrev_b32_e32 v20, s2, v15
	v_and_b32_e32 v20, s13, v20
	v_lshl_or_b32 v20, v20, 4, v3
	v_mov_b32_e32 v21, 1
	ds_add_u32 v20, v21
	v_lshrrev_b32_e32 v20, s2, v14
	s_and_b64 vcc, exec, s[4:5]
	v_and_b32_e32 v20, s13, v20
	s_cbranch_vccz .LBB143_356
; %bb.355:
	v_lshl_or_b32 v21, v20, 2, v2
	s_mov_b64 s[6:7], -1
	s_cbranch_execz .LBB143_357
	s_branch .LBB143_364
.LBB143_356:
	s_mov_b64 s[6:7], 0
                                        ; implicit-def: $vgpr21
.LBB143_357:
	s_sub_i32 s8, s3, s12
	s_min_u32 s8, s8, 8
	s_lshl_b32 s8, -1, s8
	s_not_b32 s15, s8
	v_lshrrev_b32_e32 v21, s12, v15
	v_and_b32_e32 v21, s15, v21
	v_lshl_or_b32 v22, v21, 4, v3
	v_mov_b32_e32 v21, 1
	ds_add_u32 v22, v21 offset:4096
	s_add_i32 s14, s2, 16
	s_cmp_gt_u32 s3, s14
	s_cselect_b64 s[8:9], -1, 0
	s_cmp_le_u32 s3, s14
	s_cbranch_scc1 .LBB143_360
; %bb.358:
	s_sub_i32 s16, s3, s14
	s_min_u32 s16, s16, 8
	v_lshrrev_b32_e32 v22, s14, v15
	v_bfe_u32 v22, v22, 0, s16
	v_lshl_or_b32 v22, v22, 4, v3
	ds_add_u32 v22, v21 offset:8192
	s_add_i32 s16, s2, 24
	s_cmp_le_u32 s3, s16
	s_cbranch_scc1 .LBB143_360
; %bb.359:
	s_sub_i32 s17, s3, s16
	s_min_u32 s17, s17, 8
	v_lshrrev_b32_e32 v22, s16, v15
	v_bfe_u32 v22, v22, 0, s17
	v_lshl_or_b32 v22, v22, 4, v3
	v_mov_b32_e32 v23, 1
	ds_add_u32 v22, v23 offset:12288
.LBB143_360:
	v_lshl_or_b32 v20, v20, 4, v3
	ds_add_u32 v20, v21
	v_lshrrev_b32_e32 v20, s12, v14
	v_and_b32_e32 v20, s15, v20
	v_lshl_or_b32 v20, v20, 4, v3
	ds_add_u32 v20, v21 offset:4096
	s_andn2_b64 vcc, exec, s[8:9]
	s_cbranch_vccnz .LBB143_363
; %bb.361:
	s_sub_i32 s8, s3, s14
	s_min_u32 s8, s8, 8
	v_lshrrev_b32_e32 v20, s14, v14
	v_bfe_u32 v20, v20, 0, s8
	v_lshl_or_b32 v20, v20, 4, v3
	v_mov_b32_e32 v21, 1
	ds_add_u32 v20, v21 offset:8192
	s_add_i32 s8, s2, 24
	s_cmp_gt_u32 s3, s8
	s_cbranch_scc0 .LBB143_363
; %bb.362:
	s_sub_i32 s6, s3, s8
	s_min_u32 s6, s6, 8
	v_lshrrev_b32_e32 v20, s8, v14
	v_bfe_u32 v20, v20, 0, s6
	v_lshl_or_b32 v20, v20, 2, v2
	v_add_u32_e32 v21, 0xc00, v20
	s_mov_b64 s[6:7], -1
	s_branch .LBB143_364
.LBB143_363:
                                        ; implicit-def: $vgpr21
.LBB143_364:
	s_and_b64 vcc, exec, s[6:7]
	s_cbranch_vccz .LBB143_366
; %bb.365:
	v_lshlrev_b32_e32 v20, 2, v21
	v_mov_b32_e32 v21, 1
	ds_add_u32 v20, v21
.LBB143_366:
	v_lshrrev_b32_e32 v20, s2, v12
	v_and_b32_e32 v20, s13, v20
	v_lshl_or_b32 v20, v20, 4, v3
	v_mov_b32_e32 v21, 1
	ds_add_u32 v20, v21
	v_lshrrev_b32_e32 v20, s2, v13
	s_and_b64 vcc, exec, s[4:5]
	v_and_b32_e32 v20, s13, v20
	s_cbranch_vccz .LBB143_368
; %bb.367:
	v_lshl_or_b32 v21, v20, 2, v2
	s_mov_b64 s[6:7], -1
	s_cbranch_execz .LBB143_369
	s_branch .LBB143_376
.LBB143_368:
	s_mov_b64 s[6:7], 0
                                        ; implicit-def: $vgpr21
.LBB143_369:
	s_sub_i32 s8, s3, s12
	s_min_u32 s8, s8, 8
	s_lshl_b32 s8, -1, s8
	s_not_b32 s15, s8
	v_lshrrev_b32_e32 v21, s12, v12
	v_and_b32_e32 v21, s15, v21
	v_lshl_or_b32 v22, v21, 4, v3
	v_mov_b32_e32 v21, 1
	ds_add_u32 v22, v21 offset:4096
	s_add_i32 s14, s2, 16
	s_cmp_gt_u32 s3, s14
	s_cselect_b64 s[8:9], -1, 0
	s_cmp_le_u32 s3, s14
	s_cbranch_scc1 .LBB143_372
; %bb.370:
	s_sub_i32 s16, s3, s14
	s_min_u32 s16, s16, 8
	v_lshrrev_b32_e32 v22, s14, v12
	v_bfe_u32 v22, v22, 0, s16
	v_lshl_or_b32 v22, v22, 4, v3
	ds_add_u32 v22, v21 offset:8192
	s_add_i32 s16, s2, 24
	s_cmp_le_u32 s3, s16
	s_cbranch_scc1 .LBB143_372
; %bb.371:
	s_sub_i32 s17, s3, s16
	s_min_u32 s17, s17, 8
	v_lshrrev_b32_e32 v22, s16, v12
	v_bfe_u32 v22, v22, 0, s17
	v_lshl_or_b32 v22, v22, 4, v3
	v_mov_b32_e32 v23, 1
	ds_add_u32 v22, v23 offset:12288
.LBB143_372:
	v_lshl_or_b32 v20, v20, 4, v3
	ds_add_u32 v20, v21
	v_lshrrev_b32_e32 v20, s12, v13
	v_and_b32_e32 v20, s15, v20
	v_lshl_or_b32 v20, v20, 4, v3
	ds_add_u32 v20, v21 offset:4096
	s_andn2_b64 vcc, exec, s[8:9]
	s_cbranch_vccnz .LBB143_375
; %bb.373:
	s_sub_i32 s8, s3, s14
	s_min_u32 s8, s8, 8
	v_lshrrev_b32_e32 v20, s14, v13
	v_bfe_u32 v20, v20, 0, s8
	v_lshl_or_b32 v20, v20, 4, v3
	v_mov_b32_e32 v21, 1
	ds_add_u32 v20, v21 offset:8192
	s_add_i32 s8, s2, 24
	s_cmp_gt_u32 s3, s8
	s_cbranch_scc0 .LBB143_375
; %bb.374:
	s_sub_i32 s6, s3, s8
	s_min_u32 s6, s6, 8
	v_lshrrev_b32_e32 v20, s8, v13
	v_bfe_u32 v20, v20, 0, s6
	v_lshl_or_b32 v20, v20, 2, v2
	v_add_u32_e32 v21, 0xc00, v20
	s_mov_b64 s[6:7], -1
	s_branch .LBB143_376
.LBB143_375:
                                        ; implicit-def: $vgpr21
.LBB143_376:
	s_and_b64 vcc, exec, s[6:7]
	s_cbranch_vccz .LBB143_378
; %bb.377:
	v_lshlrev_b32_e32 v20, 2, v21
	v_mov_b32_e32 v21, 1
	ds_add_u32 v20, v21
.LBB143_378:
	v_lshrrev_b32_e32 v20, s2, v11
	v_and_b32_e32 v20, s13, v20
	v_lshl_or_b32 v20, v20, 4, v3
	v_mov_b32_e32 v21, 1
	ds_add_u32 v20, v21
	v_lshrrev_b32_e32 v20, s2, v9
	s_and_b64 vcc, exec, s[4:5]
	v_and_b32_e32 v20, s13, v20
	s_cbranch_vccz .LBB143_380
; %bb.379:
	v_lshl_or_b32 v21, v20, 2, v2
	s_mov_b64 s[6:7], -1
	s_cbranch_execz .LBB143_381
	s_branch .LBB143_388
.LBB143_380:
	s_mov_b64 s[6:7], 0
                                        ; implicit-def: $vgpr21
.LBB143_381:
	s_sub_i32 s8, s3, s12
	s_min_u32 s8, s8, 8
	s_lshl_b32 s8, -1, s8
	s_not_b32 s15, s8
	v_lshrrev_b32_e32 v21, s12, v11
	v_and_b32_e32 v21, s15, v21
	v_lshl_or_b32 v22, v21, 4, v3
	v_mov_b32_e32 v21, 1
	ds_add_u32 v22, v21 offset:4096
	s_add_i32 s14, s2, 16
	s_cmp_gt_u32 s3, s14
	s_cselect_b64 s[8:9], -1, 0
	s_cmp_le_u32 s3, s14
	s_cbranch_scc1 .LBB143_384
; %bb.382:
	s_sub_i32 s16, s3, s14
	s_min_u32 s16, s16, 8
	v_lshrrev_b32_e32 v22, s14, v11
	v_bfe_u32 v22, v22, 0, s16
	v_lshl_or_b32 v22, v22, 4, v3
	ds_add_u32 v22, v21 offset:8192
	s_add_i32 s16, s2, 24
	s_cmp_le_u32 s3, s16
	s_cbranch_scc1 .LBB143_384
; %bb.383:
	s_sub_i32 s17, s3, s16
	s_min_u32 s17, s17, 8
	v_lshrrev_b32_e32 v22, s16, v11
	v_bfe_u32 v22, v22, 0, s17
	v_lshl_or_b32 v22, v22, 4, v3
	v_mov_b32_e32 v23, 1
	ds_add_u32 v22, v23 offset:12288
.LBB143_384:
	v_lshl_or_b32 v20, v20, 4, v3
	ds_add_u32 v20, v21
	v_lshrrev_b32_e32 v20, s12, v9
	v_and_b32_e32 v20, s15, v20
	v_lshl_or_b32 v20, v20, 4, v3
	ds_add_u32 v20, v21 offset:4096
	s_andn2_b64 vcc, exec, s[8:9]
	s_cbranch_vccnz .LBB143_387
; %bb.385:
	s_sub_i32 s8, s3, s14
	s_min_u32 s8, s8, 8
	v_lshrrev_b32_e32 v20, s14, v9
	v_bfe_u32 v20, v20, 0, s8
	v_lshl_or_b32 v20, v20, 4, v3
	v_mov_b32_e32 v21, 1
	ds_add_u32 v20, v21 offset:8192
	s_add_i32 s8, s2, 24
	s_cmp_gt_u32 s3, s8
	s_cbranch_scc0 .LBB143_387
; %bb.386:
	s_sub_i32 s6, s3, s8
	s_min_u32 s6, s6, 8
	v_lshrrev_b32_e32 v20, s8, v9
	v_bfe_u32 v20, v20, 0, s6
	v_lshl_or_b32 v20, v20, 2, v2
	v_add_u32_e32 v21, 0xc00, v20
	s_mov_b64 s[6:7], -1
	s_branch .LBB143_388
.LBB143_387:
                                        ; implicit-def: $vgpr21
.LBB143_388:
	s_and_b64 vcc, exec, s[6:7]
	s_cbranch_vccz .LBB143_390
; %bb.389:
	v_lshlrev_b32_e32 v20, 2, v21
	v_mov_b32_e32 v21, 1
	ds_add_u32 v20, v21
.LBB143_390:
	v_lshrrev_b32_e32 v20, s2, v10
	v_and_b32_e32 v20, s13, v20
	v_lshl_or_b32 v20, v20, 4, v3
	v_mov_b32_e32 v21, 1
	ds_add_u32 v20, v21
	v_lshrrev_b32_e32 v20, s2, v8
	s_and_b64 vcc, exec, s[4:5]
	v_and_b32_e32 v20, s13, v20
	s_cbranch_vccz .LBB143_392
; %bb.391:
	v_lshl_or_b32 v21, v20, 2, v2
	s_mov_b64 s[6:7], -1
	s_cbranch_execz .LBB143_393
	s_branch .LBB143_400
.LBB143_392:
	s_mov_b64 s[6:7], 0
                                        ; implicit-def: $vgpr21
.LBB143_393:
	s_sub_i32 s8, s3, s12
	s_min_u32 s8, s8, 8
	s_lshl_b32 s8, -1, s8
	s_not_b32 s15, s8
	v_lshrrev_b32_e32 v21, s12, v10
	v_and_b32_e32 v21, s15, v21
	v_lshl_or_b32 v22, v21, 4, v3
	v_mov_b32_e32 v21, 1
	ds_add_u32 v22, v21 offset:4096
	s_add_i32 s14, s2, 16
	s_cmp_gt_u32 s3, s14
	s_cselect_b64 s[8:9], -1, 0
	s_cmp_le_u32 s3, s14
	s_cbranch_scc1 .LBB143_396
; %bb.394:
	s_sub_i32 s16, s3, s14
	s_min_u32 s16, s16, 8
	v_lshrrev_b32_e32 v22, s14, v10
	v_bfe_u32 v22, v22, 0, s16
	v_lshl_or_b32 v22, v22, 4, v3
	ds_add_u32 v22, v21 offset:8192
	s_add_i32 s16, s2, 24
	s_cmp_le_u32 s3, s16
	s_cbranch_scc1 .LBB143_396
; %bb.395:
	v_lshrrev_b32_e32 v22, s16, v10
	s_sub_i32 s16, s3, s16
	s_min_u32 s16, s16, 8
	v_bfe_u32 v22, v22, 0, s16
	v_lshl_or_b32 v22, v22, 4, v3
	v_mov_b32_e32 v23, 1
	ds_add_u32 v22, v23 offset:12288
.LBB143_396:
	v_lshl_or_b32 v20, v20, 4, v3
	ds_add_u32 v20, v21
	v_lshrrev_b32_e32 v20, s12, v8
	v_and_b32_e32 v20, s15, v20
	v_lshl_or_b32 v20, v20, 4, v3
	ds_add_u32 v20, v21 offset:4096
	s_andn2_b64 vcc, exec, s[8:9]
	s_cbranch_vccnz .LBB143_399
; %bb.397:
	s_sub_i32 s8, s3, s14
	s_min_u32 s8, s8, 8
	v_lshrrev_b32_e32 v20, s14, v8
	v_bfe_u32 v20, v20, 0, s8
	v_lshl_or_b32 v20, v20, 4, v3
	v_mov_b32_e32 v21, 1
	ds_add_u32 v20, v21 offset:8192
	s_add_i32 s8, s2, 24
	s_cmp_gt_u32 s3, s8
	s_cbranch_scc0 .LBB143_399
; %bb.398:
	s_sub_i32 s6, s3, s8
	s_min_u32 s6, s6, 8
	v_lshrrev_b32_e32 v20, s8, v8
	v_bfe_u32 v20, v20, 0, s6
	v_lshl_or_b32 v20, v20, 2, v2
	v_add_u32_e32 v21, 0xc00, v20
	s_mov_b64 s[6:7], -1
	s_branch .LBB143_400
.LBB143_399:
                                        ; implicit-def: $vgpr21
.LBB143_400:
	s_and_b64 vcc, exec, s[6:7]
	s_cbranch_vccz .LBB143_402
; %bb.401:
	v_lshlrev_b32_e32 v20, 2, v21
	v_mov_b32_e32 v21, 1
	ds_add_u32 v20, v21
.LBB143_402:
	v_lshrrev_b32_e32 v20, s2, v7
	v_and_b32_e32 v20, s13, v20
	v_lshl_or_b32 v20, v20, 4, v3
	v_mov_b32_e32 v21, 1
	ds_add_u32 v20, v21
	v_lshrrev_b32_e32 v20, s2, v6
	s_and_b64 vcc, exec, s[4:5]
	v_and_b32_e32 v20, s13, v20
	s_cbranch_vccz .LBB143_404
; %bb.403:
	v_lshl_or_b32 v21, v20, 2, v2
	s_mov_b64 s[6:7], -1
	s_cbranch_execz .LBB143_405
	s_branch .LBB143_412
.LBB143_404:
	s_mov_b64 s[6:7], 0
                                        ; implicit-def: $vgpr21
.LBB143_405:
	s_sub_i32 s8, s3, s12
	s_min_u32 s8, s8, 8
	s_lshl_b32 s8, -1, s8
	s_not_b32 s15, s8
	v_lshrrev_b32_e32 v21, s12, v7
	v_and_b32_e32 v21, s15, v21
	v_lshl_or_b32 v22, v21, 4, v3
	v_mov_b32_e32 v21, 1
	ds_add_u32 v22, v21 offset:4096
	s_add_i32 s14, s2, 16
	s_cmp_gt_u32 s3, s14
	s_cselect_b64 s[8:9], -1, 0
	s_cmp_le_u32 s3, s14
	s_cbranch_scc1 .LBB143_408
; %bb.406:
	s_sub_i32 s16, s3, s14
	s_min_u32 s16, s16, 8
	v_lshrrev_b32_e32 v22, s14, v7
	v_bfe_u32 v22, v22, 0, s16
	v_lshl_or_b32 v22, v22, 4, v3
	ds_add_u32 v22, v21 offset:8192
	s_add_i32 s16, s2, 24
	s_cmp_le_u32 s3, s16
	s_cbranch_scc1 .LBB143_408
; %bb.407:
	s_sub_i32 s17, s3, s16
	s_min_u32 s17, s17, 8
	v_lshrrev_b32_e32 v22, s16, v7
	v_bfe_u32 v22, v22, 0, s17
	v_lshl_or_b32 v22, v22, 4, v3
	v_mov_b32_e32 v23, 1
	ds_add_u32 v22, v23 offset:12288
.LBB143_408:
	v_lshl_or_b32 v20, v20, 4, v3
	ds_add_u32 v20, v21
	v_lshrrev_b32_e32 v20, s12, v6
	v_and_b32_e32 v20, s15, v20
	v_lshl_or_b32 v20, v20, 4, v3
	ds_add_u32 v20, v21 offset:4096
	s_andn2_b64 vcc, exec, s[8:9]
	s_cbranch_vccnz .LBB143_411
; %bb.409:
	s_sub_i32 s8, s3, s14
	s_min_u32 s8, s8, 8
	v_lshrrev_b32_e32 v20, s14, v6
	v_bfe_u32 v20, v20, 0, s8
	v_lshl_or_b32 v20, v20, 4, v3
	v_mov_b32_e32 v21, 1
	ds_add_u32 v20, v21 offset:8192
	s_add_i32 s8, s2, 24
	s_cmp_gt_u32 s3, s8
	s_cbranch_scc0 .LBB143_411
; %bb.410:
	s_sub_i32 s6, s3, s8
	s_min_u32 s6, s6, 8
	v_lshrrev_b32_e32 v20, s8, v6
	v_bfe_u32 v20, v20, 0, s6
	v_lshl_or_b32 v20, v20, 2, v2
	v_add_u32_e32 v21, 0xc00, v20
	s_mov_b64 s[6:7], -1
	s_branch .LBB143_412
.LBB143_411:
                                        ; implicit-def: $vgpr21
.LBB143_412:
	s_and_b64 vcc, exec, s[6:7]
	s_cbranch_vccz .LBB143_414
; %bb.413:
	v_lshlrev_b32_e32 v20, 2, v21
	v_mov_b32_e32 v21, 1
	ds_add_u32 v20, v21
.LBB143_414:
	v_lshrrev_b32_e32 v20, s2, v5
	v_and_b32_e32 v20, s13, v20
	v_lshl_or_b32 v20, v20, 4, v3
	v_mov_b32_e32 v21, 1
	ds_add_u32 v20, v21
	s_waitcnt vmcnt(0)
	v_lshrrev_b32_e32 v20, s2, v4
	s_and_b64 vcc, exec, s[4:5]
	v_and_b32_e32 v20, s13, v20
	s_cbranch_vccz .LBB143_416
; %bb.415:
	v_lshl_or_b32 v21, v20, 2, v2
	s_mov_b64 s[4:5], -1
	s_cbranch_execz .LBB143_417
	s_branch .LBB143_424
.LBB143_416:
	s_mov_b64 s[4:5], 0
                                        ; implicit-def: $vgpr21
.LBB143_417:
	s_sub_i32 s6, s3, s12
	s_min_u32 s6, s6, 8
	s_lshl_b32 s6, -1, s6
	s_not_b32 s9, s6
	v_lshrrev_b32_e32 v21, s12, v5
	v_and_b32_e32 v21, s9, v21
	v_lshl_or_b32 v22, v21, 4, v3
	v_mov_b32_e32 v21, 1
	ds_add_u32 v22, v21 offset:4096
	s_add_i32 s8, s2, 16
	s_cmp_gt_u32 s3, s8
	s_cselect_b64 s[6:7], -1, 0
	s_cmp_le_u32 s3, s8
	s_cbranch_scc1 .LBB143_420
; %bb.418:
	s_sub_i32 s13, s3, s8
	s_min_u32 s13, s13, 8
	v_lshrrev_b32_e32 v22, s8, v5
	v_bfe_u32 v22, v22, 0, s13
	v_lshl_or_b32 v22, v22, 4, v3
	ds_add_u32 v22, v21 offset:8192
	s_add_i32 s13, s2, 24
	s_cmp_le_u32 s3, s13
	s_cbranch_scc1 .LBB143_420
; %bb.419:
	s_sub_i32 s14, s3, s13
	s_min_u32 s14, s14, 8
	v_lshrrev_b32_e32 v22, s13, v5
	v_bfe_u32 v22, v22, 0, s14
	v_lshl_or_b32 v22, v22, 4, v3
	v_mov_b32_e32 v23, 1
	ds_add_u32 v22, v23 offset:12288
.LBB143_420:
	v_lshl_or_b32 v20, v20, 4, v3
	ds_add_u32 v20, v21
	v_lshrrev_b32_e32 v20, s12, v4
	v_and_b32_e32 v20, s9, v20
	v_lshl_or_b32 v20, v20, 4, v3
	ds_add_u32 v20, v21 offset:4096
	s_andn2_b64 vcc, exec, s[6:7]
	s_cbranch_vccnz .LBB143_423
; %bb.421:
	s_sub_i32 s6, s3, s8
	s_min_u32 s6, s6, 8
	v_lshrrev_b32_e32 v20, s8, v4
	v_bfe_u32 v20, v20, 0, s6
	v_lshl_or_b32 v3, v20, 4, v3
	v_mov_b32_e32 v20, 1
	ds_add_u32 v3, v20 offset:8192
	s_add_i32 s6, s2, 24
	s_cmp_gt_u32 s3, s6
	s_cbranch_scc0 .LBB143_423
; %bb.422:
	s_sub_i32 s4, s3, s6
	s_min_u32 s4, s4, 8
	v_lshrrev_b32_e32 v3, s6, v4
	v_bfe_u32 v3, v3, 0, s4
	v_lshl_or_b32 v2, v3, 2, v2
	v_add_u32_e32 v21, 0xc00, v2
	s_mov_b64 s[4:5], -1
	s_branch .LBB143_424
.LBB143_423:
                                        ; implicit-def: $vgpr21
.LBB143_424:
	s_and_b64 vcc, exec, s[4:5]
	s_cbranch_vccz .LBB143_426
; %bb.425:
	v_lshlrev_b32_e32 v2, 2, v21
	v_mov_b32_e32 v3, 1
	ds_add_u32 v2, v3
.LBB143_426:
	s_and_b64 vcc, exec, s[0:1]
	s_waitcnt lgkmcnt(0)
	s_barrier
	s_cbranch_vccz .LBB143_431
; %bb.427:
	s_movk_i32 s0, 0x100
	v_cmp_gt_u32_e32 vcc, s0, v0
	v_lshlrev_b32_e32 v20, 4, v0
	v_mov_b32_e32 v3, 0
	v_mov_b32_e32 v2, v0
	s_branch .LBB143_429
.LBB143_428:                            ;   in Loop: Header=BB143_429 Depth=1
	s_or_b64 exec, exec, s[4:5]
	s_add_i32 s2, s2, 8
	v_add_u32_e32 v2, 0x100, v2
	s_cmp_ge_u32 s2, s3
	v_add_u32_e32 v20, 0x1000, v20
	s_cbranch_scc1 .LBB143_431
.LBB143_429:                            ; =>This Inner Loop Header: Depth=1
	s_and_saveexec_b64 s[4:5], vcc
	s_cbranch_execz .LBB143_428
; %bb.430:                              ;   in Loop: Header=BB143_429 Depth=1
	ds_read2_b32 v[22:23], v20 offset1:1
	ds_read2_b32 v[24:25], v20 offset0:2 offset1:3
	v_lshlrev_b64 v[26:27], 2, v[2:3]
	v_mov_b32_e32 v21, s11
	s_waitcnt lgkmcnt(1)
	v_add_u32_e32 v22, v23, v22
	s_waitcnt lgkmcnt(0)
	v_add3_u32 v24, v22, v24, v25
	v_add_co_u32_e64 v22, s[0:1], s10, v26
	v_addc_co_u32_e64 v23, s[0:1], v21, v27, s[0:1]
	global_atomic_add v[22:23], v24, off
	s_branch .LBB143_428
.LBB143_431:
	s_mov_b64 s[4:5], 0
.LBB143_432:
	s_and_b64 vcc, exec, s[4:5]
	s_cbranch_vccz .LBB143_443
; %bb.433:
	v_mov_b32_e32 v2, 0
	v_cmp_gt_u32_e64 s[0:1], 7, 4
	v_cmp_gt_u32_e64 s[4:5], 7, 3
	ds_write2st64_b32 v1, v2, v2 offset1:8
	ds_write2st64_b32 v1, v2, v2 offset0:16 offset1:24
	s_and_saveexec_b64 s[2:3], s[4:5]
	s_cbranch_execz .LBB143_435
; %bb.434:
	ds_write_b32 v1, v2 offset:8192
.LBB143_435:
	s_or_b64 exec, exec, s[2:3]
	s_and_saveexec_b64 s[2:3], s[0:1]
	s_cbranch_execz .LBB143_437
; %bb.436:
	v_mov_b32_e32 v2, 0
	ds_write_b32 v1, v2 offset:10240
.LBB143_437:
	s_or_b64 exec, exec, s[2:3]
	v_cmp_gt_u32_e64 s[0:1], 7, 6
	v_cmp_gt_u32_e64 s[4:5], 7, 5
	s_and_saveexec_b64 s[2:3], s[4:5]
	s_cbranch_execz .LBB143_439
; %bb.438:
	v_mov_b32_e32 v2, 0
	ds_write_b32 v1, v2 offset:12288
.LBB143_439:
	s_or_b64 exec, exec, s[2:3]
	s_and_saveexec_b64 s[2:3], s[0:1]
	s_cbranch_execz .LBB143_441
; %bb.440:
	v_mov_b32_e32 v2, 0
	ds_write_b32 v1, v2 offset:14336
.LBB143_441:
	s_or_b64 exec, exec, s[2:3]
	v_and_b32_e32 v2, 3, v0
	s_waitcnt vmcnt(10)
	v_lshlrev_b32_e32 v3, 2, v19
	s_movk_i32 s0, 0x3fc
	v_and_or_b32 v3, v3, s0, v2
	v_lshlrev_b32_e32 v3, 2, v3
	v_mov_b32_e32 v20, 1
	s_waitcnt lgkmcnt(0)
	s_barrier
	ds_add_u32 v3, v20
	v_bfe_u32 v3, v19, 8, 8
	v_lshl_or_b32 v3, v3, 2, v2
	v_lshlrev_b32_e32 v3, 2, v3
	ds_add_u32 v3, v20 offset:4096
	v_bfe_u32 v3, v19, 16, 8
	v_lshl_or_b32 v3, v3, 2, v2
	v_lshlrev_b32_e32 v3, 2, v3
	ds_add_u32 v3, v20 offset:8192
	v_lshrrev_b32_e32 v3, 24, v19
	v_lshl_or_b32 v3, v3, 2, v2
	v_lshlrev_b32_e32 v3, 2, v3
	ds_add_u32 v3, v20 offset:12288
	s_waitcnt vmcnt(9)
	v_lshlrev_b32_e32 v3, 2, v17
	v_and_or_b32 v3, v3, s0, v2
	v_lshlrev_b32_e32 v3, 2, v3
	ds_add_u32 v3, v20
	v_bfe_u32 v3, v17, 8, 8
	v_lshl_or_b32 v3, v3, 2, v2
	v_lshlrev_b32_e32 v3, 2, v3
	ds_add_u32 v3, v20 offset:4096
	v_bfe_u32 v3, v17, 16, 8
	v_lshl_or_b32 v3, v3, 2, v2
	v_lshlrev_b32_e32 v3, 2, v3
	ds_add_u32 v3, v20 offset:8192
	v_lshrrev_b32_e32 v3, 24, v17
	v_lshl_or_b32 v3, v3, 2, v2
	v_lshlrev_b32_e32 v3, 2, v3
	ds_add_u32 v3, v20 offset:12288
	s_waitcnt vmcnt(1)
	v_lshlrev_b32_e32 v3, 2, v18
	v_and_or_b32 v3, v3, s0, v2
	v_lshlrev_b32_e32 v3, 2, v3
	ds_add_u32 v3, v20
	v_bfe_u32 v3, v18, 8, 8
	v_lshl_or_b32 v3, v3, 2, v2
	v_lshlrev_b32_e32 v3, 2, v3
	ds_add_u32 v3, v20 offset:4096
	v_bfe_u32 v3, v18, 16, 8
	v_lshl_or_b32 v3, v3, 2, v2
	v_lshlrev_b32_e32 v3, 2, v3
	ds_add_u32 v3, v20 offset:8192
	v_lshrrev_b32_e32 v3, 24, v18
	v_lshl_or_b32 v3, v3, 2, v2
	v_lshlrev_b32_e32 v3, 2, v3
	ds_add_u32 v3, v20 offset:12288
	v_lshlrev_b32_e32 v3, 2, v16
	v_and_or_b32 v3, v3, s0, v2
	v_lshlrev_b32_e32 v3, 2, v3
	ds_add_u32 v3, v20
	v_bfe_u32 v3, v16, 8, 8
	v_lshl_or_b32 v3, v3, 2, v2
	v_lshlrev_b32_e32 v3, 2, v3
	ds_add_u32 v3, v20 offset:4096
	v_bfe_u32 v3, v16, 16, 8
	v_lshl_or_b32 v3, v3, 2, v2
	v_lshlrev_b32_e32 v3, 2, v3
	ds_add_u32 v3, v20 offset:8192
	v_lshrrev_b32_e32 v3, 24, v16
	v_lshl_or_b32 v3, v3, 2, v2
	v_lshlrev_b32_e32 v3, 2, v3
	ds_add_u32 v3, v20 offset:12288
	;; [unrolled: 16-line block ×13, first 2 shown]
	s_waitcnt vmcnt(0)
	v_lshlrev_b32_e32 v3, 2, v4
	v_and_or_b32 v3, v3, s0, v2
	v_lshlrev_b32_e32 v3, 2, v3
	ds_add_u32 v3, v20
	v_bfe_u32 v3, v4, 8, 8
	v_lshl_or_b32 v3, v3, 2, v2
	v_lshlrev_b32_e32 v3, 2, v3
	ds_add_u32 v3, v20 offset:4096
	v_bfe_u32 v3, v4, 16, 8
	v_lshl_or_b32 v3, v3, 2, v2
	v_lshlrev_b32_e32 v3, 2, v3
	ds_add_u32 v3, v20 offset:8192
	v_lshrrev_b32_e32 v3, 24, v4
	v_lshl_or_b32 v2, v3, 2, v2
	v_lshlrev_b32_e32 v2, 2, v2
	ds_add_u32 v2, v20 offset:12288
	s_movk_i32 s0, 0x100
	v_cmp_gt_u32_e32 vcc, s0, v0
	s_waitcnt lgkmcnt(0)
	s_barrier
	s_and_saveexec_b64 s[0:1], vcc
	s_cbranch_execz .LBB143_443
; %bb.442:
	v_lshlrev_b32_e32 v0, 4, v0
	ds_read2_b32 v[2:3], v0 offset1:1
	ds_read2_b32 v[4:5], v0 offset0:2 offset1:3
	v_add_u32_e32 v6, 0x1000, v0
	v_add_u32_e32 v7, 0x1008, v0
	s_waitcnt lgkmcnt(1)
	v_add_u32_e32 v2, v3, v2
	s_waitcnt lgkmcnt(0)
	v_add3_u32 v2, v2, v4, v5
	global_atomic_add v1, v2, s[10:11]
	ds_read2_b32 v[2:3], v6 offset1:1
	ds_read2_b32 v[4:5], v7 offset1:1
	v_or_b32_e32 v6, 0x2000, v0
	v_or_b32_e32 v7, 0x2008, v0
	s_waitcnt lgkmcnt(1)
	v_add_u32_e32 v2, v3, v2
	s_waitcnt lgkmcnt(0)
	v_add3_u32 v2, v2, v4, v5
	global_atomic_add v1, v2, s[10:11] offset:1024
	ds_read2_b32 v[2:3], v6 offset1:1
	ds_read2_b32 v[4:5], v7 offset1:1
	v_add_u32_e32 v6, 0x3000, v0
	v_add_u32_e32 v0, 0x3008, v0
	s_waitcnt lgkmcnt(1)
	v_add_u32_e32 v2, v3, v2
	s_waitcnt lgkmcnt(0)
	v_add3_u32 v2, v2, v4, v5
	global_atomic_add v1, v2, s[10:11] offset:2048
	ds_read2_b32 v[2:3], v6 offset1:1
	ds_read2_b32 v[4:5], v0 offset1:1
	s_waitcnt lgkmcnt(1)
	v_add_u32_e32 v0, v3, v2
	s_waitcnt lgkmcnt(0)
	v_add3_u32 v0, v0, v4, v5
	global_atomic_add v1, v0, s[10:11] offset:3072
.LBB143_443:
	s_endpgm
	.section	.rodata,"a",@progbits
	.p2align	6, 0x0
	.amdhsa_kernel _ZN7rocprim17ROCPRIM_400000_NS6detail17trampoline_kernelINS0_14default_configENS1_35radix_sort_onesweep_config_selectorIjN6thrust23THRUST_200600_302600_NS5tupleIffNS6_9null_typeES8_S8_S8_S8_S8_S8_S8_EEEEZNS1_34radix_sort_onesweep_global_offsetsIS3_Lb0ENS6_6detail15normal_iteratorINS6_10device_ptrIjEEEENSD_INSE_IS9_EEEEjNS0_19identity_decomposerEEE10hipError_tT1_T2_PT3_SN_jT4_jjP12ihipStream_tbEUlT_E_NS1_11comp_targetILNS1_3genE4ELNS1_11target_archE910ELNS1_3gpuE8ELNS1_3repE0EEENS1_52radix_sort_onesweep_histogram_config_static_selectorELNS0_4arch9wavefront6targetE1EEEvSL_
		.amdhsa_group_segment_fixed_size 16384
		.amdhsa_private_segment_fixed_size 0
		.amdhsa_kernarg_size 40
		.amdhsa_user_sgpr_count 6
		.amdhsa_user_sgpr_private_segment_buffer 1
		.amdhsa_user_sgpr_dispatch_ptr 0
		.amdhsa_user_sgpr_queue_ptr 0
		.amdhsa_user_sgpr_kernarg_segment_ptr 1
		.amdhsa_user_sgpr_dispatch_id 0
		.amdhsa_user_sgpr_flat_scratch_init 0
		.amdhsa_user_sgpr_kernarg_preload_length 0
		.amdhsa_user_sgpr_kernarg_preload_offset 0
		.amdhsa_user_sgpr_private_segment_size 0
		.amdhsa_uses_dynamic_stack 0
		.amdhsa_system_sgpr_private_segment_wavefront_offset 0
		.amdhsa_system_sgpr_workgroup_id_x 1
		.amdhsa_system_sgpr_workgroup_id_y 0
		.amdhsa_system_sgpr_workgroup_id_z 0
		.amdhsa_system_sgpr_workgroup_info 0
		.amdhsa_system_vgpr_workitem_id 0
		.amdhsa_next_free_vgpr 35
		.amdhsa_next_free_sgpr 19
		.amdhsa_accum_offset 36
		.amdhsa_reserve_vcc 1
		.amdhsa_reserve_flat_scratch 0
		.amdhsa_float_round_mode_32 0
		.amdhsa_float_round_mode_16_64 0
		.amdhsa_float_denorm_mode_32 3
		.amdhsa_float_denorm_mode_16_64 3
		.amdhsa_dx10_clamp 1
		.amdhsa_ieee_mode 1
		.amdhsa_fp16_overflow 0
		.amdhsa_tg_split 0
		.amdhsa_exception_fp_ieee_invalid_op 0
		.amdhsa_exception_fp_denorm_src 0
		.amdhsa_exception_fp_ieee_div_zero 0
		.amdhsa_exception_fp_ieee_overflow 0
		.amdhsa_exception_fp_ieee_underflow 0
		.amdhsa_exception_fp_ieee_inexact 0
		.amdhsa_exception_int_div_zero 0
	.end_amdhsa_kernel
	.section	.text._ZN7rocprim17ROCPRIM_400000_NS6detail17trampoline_kernelINS0_14default_configENS1_35radix_sort_onesweep_config_selectorIjN6thrust23THRUST_200600_302600_NS5tupleIffNS6_9null_typeES8_S8_S8_S8_S8_S8_S8_EEEEZNS1_34radix_sort_onesweep_global_offsetsIS3_Lb0ENS6_6detail15normal_iteratorINS6_10device_ptrIjEEEENSD_INSE_IS9_EEEEjNS0_19identity_decomposerEEE10hipError_tT1_T2_PT3_SN_jT4_jjP12ihipStream_tbEUlT_E_NS1_11comp_targetILNS1_3genE4ELNS1_11target_archE910ELNS1_3gpuE8ELNS1_3repE0EEENS1_52radix_sort_onesweep_histogram_config_static_selectorELNS0_4arch9wavefront6targetE1EEEvSL_,"axG",@progbits,_ZN7rocprim17ROCPRIM_400000_NS6detail17trampoline_kernelINS0_14default_configENS1_35radix_sort_onesweep_config_selectorIjN6thrust23THRUST_200600_302600_NS5tupleIffNS6_9null_typeES8_S8_S8_S8_S8_S8_S8_EEEEZNS1_34radix_sort_onesweep_global_offsetsIS3_Lb0ENS6_6detail15normal_iteratorINS6_10device_ptrIjEEEENSD_INSE_IS9_EEEEjNS0_19identity_decomposerEEE10hipError_tT1_T2_PT3_SN_jT4_jjP12ihipStream_tbEUlT_E_NS1_11comp_targetILNS1_3genE4ELNS1_11target_archE910ELNS1_3gpuE8ELNS1_3repE0EEENS1_52radix_sort_onesweep_histogram_config_static_selectorELNS0_4arch9wavefront6targetE1EEEvSL_,comdat
.Lfunc_end143:
	.size	_ZN7rocprim17ROCPRIM_400000_NS6detail17trampoline_kernelINS0_14default_configENS1_35radix_sort_onesweep_config_selectorIjN6thrust23THRUST_200600_302600_NS5tupleIffNS6_9null_typeES8_S8_S8_S8_S8_S8_S8_EEEEZNS1_34radix_sort_onesweep_global_offsetsIS3_Lb0ENS6_6detail15normal_iteratorINS6_10device_ptrIjEEEENSD_INSE_IS9_EEEEjNS0_19identity_decomposerEEE10hipError_tT1_T2_PT3_SN_jT4_jjP12ihipStream_tbEUlT_E_NS1_11comp_targetILNS1_3genE4ELNS1_11target_archE910ELNS1_3gpuE8ELNS1_3repE0EEENS1_52radix_sort_onesweep_histogram_config_static_selectorELNS0_4arch9wavefront6targetE1EEEvSL_, .Lfunc_end143-_ZN7rocprim17ROCPRIM_400000_NS6detail17trampoline_kernelINS0_14default_configENS1_35radix_sort_onesweep_config_selectorIjN6thrust23THRUST_200600_302600_NS5tupleIffNS6_9null_typeES8_S8_S8_S8_S8_S8_S8_EEEEZNS1_34radix_sort_onesweep_global_offsetsIS3_Lb0ENS6_6detail15normal_iteratorINS6_10device_ptrIjEEEENSD_INSE_IS9_EEEEjNS0_19identity_decomposerEEE10hipError_tT1_T2_PT3_SN_jT4_jjP12ihipStream_tbEUlT_E_NS1_11comp_targetILNS1_3genE4ELNS1_11target_archE910ELNS1_3gpuE8ELNS1_3repE0EEENS1_52radix_sort_onesweep_histogram_config_static_selectorELNS0_4arch9wavefront6targetE1EEEvSL_
                                        ; -- End function
	.section	.AMDGPU.csdata,"",@progbits
; Kernel info:
; codeLenInByte = 14168
; NumSgprs: 23
; NumVgprs: 35
; NumAgprs: 0
; TotalNumVgprs: 35
; ScratchSize: 0
; MemoryBound: 0
; FloatMode: 240
; IeeeMode: 1
; LDSByteSize: 16384 bytes/workgroup (compile time only)
; SGPRBlocks: 2
; VGPRBlocks: 4
; NumSGPRsForWavesPerEU: 23
; NumVGPRsForWavesPerEU: 35
; AccumOffset: 36
; Occupancy: 8
; WaveLimiterHint : 1
; COMPUTE_PGM_RSRC2:SCRATCH_EN: 0
; COMPUTE_PGM_RSRC2:USER_SGPR: 6
; COMPUTE_PGM_RSRC2:TRAP_HANDLER: 0
; COMPUTE_PGM_RSRC2:TGID_X_EN: 1
; COMPUTE_PGM_RSRC2:TGID_Y_EN: 0
; COMPUTE_PGM_RSRC2:TGID_Z_EN: 0
; COMPUTE_PGM_RSRC2:TIDIG_COMP_CNT: 0
; COMPUTE_PGM_RSRC3_GFX90A:ACCUM_OFFSET: 8
; COMPUTE_PGM_RSRC3_GFX90A:TG_SPLIT: 0
	.section	.text._ZN7rocprim17ROCPRIM_400000_NS6detail17trampoline_kernelINS0_14default_configENS1_35radix_sort_onesweep_config_selectorIjN6thrust23THRUST_200600_302600_NS5tupleIffNS6_9null_typeES8_S8_S8_S8_S8_S8_S8_EEEEZNS1_34radix_sort_onesweep_global_offsetsIS3_Lb0ENS6_6detail15normal_iteratorINS6_10device_ptrIjEEEENSD_INSE_IS9_EEEEjNS0_19identity_decomposerEEE10hipError_tT1_T2_PT3_SN_jT4_jjP12ihipStream_tbEUlT_E_NS1_11comp_targetILNS1_3genE3ELNS1_11target_archE908ELNS1_3gpuE7ELNS1_3repE0EEENS1_52radix_sort_onesweep_histogram_config_static_selectorELNS0_4arch9wavefront6targetE1EEEvSL_,"axG",@progbits,_ZN7rocprim17ROCPRIM_400000_NS6detail17trampoline_kernelINS0_14default_configENS1_35radix_sort_onesweep_config_selectorIjN6thrust23THRUST_200600_302600_NS5tupleIffNS6_9null_typeES8_S8_S8_S8_S8_S8_S8_EEEEZNS1_34radix_sort_onesweep_global_offsetsIS3_Lb0ENS6_6detail15normal_iteratorINS6_10device_ptrIjEEEENSD_INSE_IS9_EEEEjNS0_19identity_decomposerEEE10hipError_tT1_T2_PT3_SN_jT4_jjP12ihipStream_tbEUlT_E_NS1_11comp_targetILNS1_3genE3ELNS1_11target_archE908ELNS1_3gpuE7ELNS1_3repE0EEENS1_52radix_sort_onesweep_histogram_config_static_selectorELNS0_4arch9wavefront6targetE1EEEvSL_,comdat
	.protected	_ZN7rocprim17ROCPRIM_400000_NS6detail17trampoline_kernelINS0_14default_configENS1_35radix_sort_onesweep_config_selectorIjN6thrust23THRUST_200600_302600_NS5tupleIffNS6_9null_typeES8_S8_S8_S8_S8_S8_S8_EEEEZNS1_34radix_sort_onesweep_global_offsetsIS3_Lb0ENS6_6detail15normal_iteratorINS6_10device_ptrIjEEEENSD_INSE_IS9_EEEEjNS0_19identity_decomposerEEE10hipError_tT1_T2_PT3_SN_jT4_jjP12ihipStream_tbEUlT_E_NS1_11comp_targetILNS1_3genE3ELNS1_11target_archE908ELNS1_3gpuE7ELNS1_3repE0EEENS1_52radix_sort_onesweep_histogram_config_static_selectorELNS0_4arch9wavefront6targetE1EEEvSL_ ; -- Begin function _ZN7rocprim17ROCPRIM_400000_NS6detail17trampoline_kernelINS0_14default_configENS1_35radix_sort_onesweep_config_selectorIjN6thrust23THRUST_200600_302600_NS5tupleIffNS6_9null_typeES8_S8_S8_S8_S8_S8_S8_EEEEZNS1_34radix_sort_onesweep_global_offsetsIS3_Lb0ENS6_6detail15normal_iteratorINS6_10device_ptrIjEEEENSD_INSE_IS9_EEEEjNS0_19identity_decomposerEEE10hipError_tT1_T2_PT3_SN_jT4_jjP12ihipStream_tbEUlT_E_NS1_11comp_targetILNS1_3genE3ELNS1_11target_archE908ELNS1_3gpuE7ELNS1_3repE0EEENS1_52radix_sort_onesweep_histogram_config_static_selectorELNS0_4arch9wavefront6targetE1EEEvSL_
	.globl	_ZN7rocprim17ROCPRIM_400000_NS6detail17trampoline_kernelINS0_14default_configENS1_35radix_sort_onesweep_config_selectorIjN6thrust23THRUST_200600_302600_NS5tupleIffNS6_9null_typeES8_S8_S8_S8_S8_S8_S8_EEEEZNS1_34radix_sort_onesweep_global_offsetsIS3_Lb0ENS6_6detail15normal_iteratorINS6_10device_ptrIjEEEENSD_INSE_IS9_EEEEjNS0_19identity_decomposerEEE10hipError_tT1_T2_PT3_SN_jT4_jjP12ihipStream_tbEUlT_E_NS1_11comp_targetILNS1_3genE3ELNS1_11target_archE908ELNS1_3gpuE7ELNS1_3repE0EEENS1_52radix_sort_onesweep_histogram_config_static_selectorELNS0_4arch9wavefront6targetE1EEEvSL_
	.p2align	8
	.type	_ZN7rocprim17ROCPRIM_400000_NS6detail17trampoline_kernelINS0_14default_configENS1_35radix_sort_onesweep_config_selectorIjN6thrust23THRUST_200600_302600_NS5tupleIffNS6_9null_typeES8_S8_S8_S8_S8_S8_S8_EEEEZNS1_34radix_sort_onesweep_global_offsetsIS3_Lb0ENS6_6detail15normal_iteratorINS6_10device_ptrIjEEEENSD_INSE_IS9_EEEEjNS0_19identity_decomposerEEE10hipError_tT1_T2_PT3_SN_jT4_jjP12ihipStream_tbEUlT_E_NS1_11comp_targetILNS1_3genE3ELNS1_11target_archE908ELNS1_3gpuE7ELNS1_3repE0EEENS1_52radix_sort_onesweep_histogram_config_static_selectorELNS0_4arch9wavefront6targetE1EEEvSL_,@function
_ZN7rocprim17ROCPRIM_400000_NS6detail17trampoline_kernelINS0_14default_configENS1_35radix_sort_onesweep_config_selectorIjN6thrust23THRUST_200600_302600_NS5tupleIffNS6_9null_typeES8_S8_S8_S8_S8_S8_S8_EEEEZNS1_34radix_sort_onesweep_global_offsetsIS3_Lb0ENS6_6detail15normal_iteratorINS6_10device_ptrIjEEEENSD_INSE_IS9_EEEEjNS0_19identity_decomposerEEE10hipError_tT1_T2_PT3_SN_jT4_jjP12ihipStream_tbEUlT_E_NS1_11comp_targetILNS1_3genE3ELNS1_11target_archE908ELNS1_3gpuE7ELNS1_3repE0EEENS1_52radix_sort_onesweep_histogram_config_static_selectorELNS0_4arch9wavefront6targetE1EEEvSL_: ; @_ZN7rocprim17ROCPRIM_400000_NS6detail17trampoline_kernelINS0_14default_configENS1_35radix_sort_onesweep_config_selectorIjN6thrust23THRUST_200600_302600_NS5tupleIffNS6_9null_typeES8_S8_S8_S8_S8_S8_S8_EEEEZNS1_34radix_sort_onesweep_global_offsetsIS3_Lb0ENS6_6detail15normal_iteratorINS6_10device_ptrIjEEEENSD_INSE_IS9_EEEEjNS0_19identity_decomposerEEE10hipError_tT1_T2_PT3_SN_jT4_jjP12ihipStream_tbEUlT_E_NS1_11comp_targetILNS1_3genE3ELNS1_11target_archE908ELNS1_3gpuE7ELNS1_3repE0EEENS1_52radix_sort_onesweep_histogram_config_static_selectorELNS0_4arch9wavefront6targetE1EEEvSL_
; %bb.0:
	.section	.rodata,"a",@progbits
	.p2align	6, 0x0
	.amdhsa_kernel _ZN7rocprim17ROCPRIM_400000_NS6detail17trampoline_kernelINS0_14default_configENS1_35radix_sort_onesweep_config_selectorIjN6thrust23THRUST_200600_302600_NS5tupleIffNS6_9null_typeES8_S8_S8_S8_S8_S8_S8_EEEEZNS1_34radix_sort_onesweep_global_offsetsIS3_Lb0ENS6_6detail15normal_iteratorINS6_10device_ptrIjEEEENSD_INSE_IS9_EEEEjNS0_19identity_decomposerEEE10hipError_tT1_T2_PT3_SN_jT4_jjP12ihipStream_tbEUlT_E_NS1_11comp_targetILNS1_3genE3ELNS1_11target_archE908ELNS1_3gpuE7ELNS1_3repE0EEENS1_52radix_sort_onesweep_histogram_config_static_selectorELNS0_4arch9wavefront6targetE1EEEvSL_
		.amdhsa_group_segment_fixed_size 0
		.amdhsa_private_segment_fixed_size 0
		.amdhsa_kernarg_size 40
		.amdhsa_user_sgpr_count 6
		.amdhsa_user_sgpr_private_segment_buffer 1
		.amdhsa_user_sgpr_dispatch_ptr 0
		.amdhsa_user_sgpr_queue_ptr 0
		.amdhsa_user_sgpr_kernarg_segment_ptr 1
		.amdhsa_user_sgpr_dispatch_id 0
		.amdhsa_user_sgpr_flat_scratch_init 0
		.amdhsa_user_sgpr_kernarg_preload_length 0
		.amdhsa_user_sgpr_kernarg_preload_offset 0
		.amdhsa_user_sgpr_private_segment_size 0
		.amdhsa_uses_dynamic_stack 0
		.amdhsa_system_sgpr_private_segment_wavefront_offset 0
		.amdhsa_system_sgpr_workgroup_id_x 1
		.amdhsa_system_sgpr_workgroup_id_y 0
		.amdhsa_system_sgpr_workgroup_id_z 0
		.amdhsa_system_sgpr_workgroup_info 0
		.amdhsa_system_vgpr_workitem_id 0
		.amdhsa_next_free_vgpr 1
		.amdhsa_next_free_sgpr 0
		.amdhsa_accum_offset 4
		.amdhsa_reserve_vcc 0
		.amdhsa_reserve_flat_scratch 0
		.amdhsa_float_round_mode_32 0
		.amdhsa_float_round_mode_16_64 0
		.amdhsa_float_denorm_mode_32 3
		.amdhsa_float_denorm_mode_16_64 3
		.amdhsa_dx10_clamp 1
		.amdhsa_ieee_mode 1
		.amdhsa_fp16_overflow 0
		.amdhsa_tg_split 0
		.amdhsa_exception_fp_ieee_invalid_op 0
		.amdhsa_exception_fp_denorm_src 0
		.amdhsa_exception_fp_ieee_div_zero 0
		.amdhsa_exception_fp_ieee_overflow 0
		.amdhsa_exception_fp_ieee_underflow 0
		.amdhsa_exception_fp_ieee_inexact 0
		.amdhsa_exception_int_div_zero 0
	.end_amdhsa_kernel
	.section	.text._ZN7rocprim17ROCPRIM_400000_NS6detail17trampoline_kernelINS0_14default_configENS1_35radix_sort_onesweep_config_selectorIjN6thrust23THRUST_200600_302600_NS5tupleIffNS6_9null_typeES8_S8_S8_S8_S8_S8_S8_EEEEZNS1_34radix_sort_onesweep_global_offsetsIS3_Lb0ENS6_6detail15normal_iteratorINS6_10device_ptrIjEEEENSD_INSE_IS9_EEEEjNS0_19identity_decomposerEEE10hipError_tT1_T2_PT3_SN_jT4_jjP12ihipStream_tbEUlT_E_NS1_11comp_targetILNS1_3genE3ELNS1_11target_archE908ELNS1_3gpuE7ELNS1_3repE0EEENS1_52radix_sort_onesweep_histogram_config_static_selectorELNS0_4arch9wavefront6targetE1EEEvSL_,"axG",@progbits,_ZN7rocprim17ROCPRIM_400000_NS6detail17trampoline_kernelINS0_14default_configENS1_35radix_sort_onesweep_config_selectorIjN6thrust23THRUST_200600_302600_NS5tupleIffNS6_9null_typeES8_S8_S8_S8_S8_S8_S8_EEEEZNS1_34radix_sort_onesweep_global_offsetsIS3_Lb0ENS6_6detail15normal_iteratorINS6_10device_ptrIjEEEENSD_INSE_IS9_EEEEjNS0_19identity_decomposerEEE10hipError_tT1_T2_PT3_SN_jT4_jjP12ihipStream_tbEUlT_E_NS1_11comp_targetILNS1_3genE3ELNS1_11target_archE908ELNS1_3gpuE7ELNS1_3repE0EEENS1_52radix_sort_onesweep_histogram_config_static_selectorELNS0_4arch9wavefront6targetE1EEEvSL_,comdat
.Lfunc_end144:
	.size	_ZN7rocprim17ROCPRIM_400000_NS6detail17trampoline_kernelINS0_14default_configENS1_35radix_sort_onesweep_config_selectorIjN6thrust23THRUST_200600_302600_NS5tupleIffNS6_9null_typeES8_S8_S8_S8_S8_S8_S8_EEEEZNS1_34radix_sort_onesweep_global_offsetsIS3_Lb0ENS6_6detail15normal_iteratorINS6_10device_ptrIjEEEENSD_INSE_IS9_EEEEjNS0_19identity_decomposerEEE10hipError_tT1_T2_PT3_SN_jT4_jjP12ihipStream_tbEUlT_E_NS1_11comp_targetILNS1_3genE3ELNS1_11target_archE908ELNS1_3gpuE7ELNS1_3repE0EEENS1_52radix_sort_onesweep_histogram_config_static_selectorELNS0_4arch9wavefront6targetE1EEEvSL_, .Lfunc_end144-_ZN7rocprim17ROCPRIM_400000_NS6detail17trampoline_kernelINS0_14default_configENS1_35radix_sort_onesweep_config_selectorIjN6thrust23THRUST_200600_302600_NS5tupleIffNS6_9null_typeES8_S8_S8_S8_S8_S8_S8_EEEEZNS1_34radix_sort_onesweep_global_offsetsIS3_Lb0ENS6_6detail15normal_iteratorINS6_10device_ptrIjEEEENSD_INSE_IS9_EEEEjNS0_19identity_decomposerEEE10hipError_tT1_T2_PT3_SN_jT4_jjP12ihipStream_tbEUlT_E_NS1_11comp_targetILNS1_3genE3ELNS1_11target_archE908ELNS1_3gpuE7ELNS1_3repE0EEENS1_52radix_sort_onesweep_histogram_config_static_selectorELNS0_4arch9wavefront6targetE1EEEvSL_
                                        ; -- End function
	.section	.AMDGPU.csdata,"",@progbits
; Kernel info:
; codeLenInByte = 0
; NumSgprs: 4
; NumVgprs: 0
; NumAgprs: 0
; TotalNumVgprs: 0
; ScratchSize: 0
; MemoryBound: 0
; FloatMode: 240
; IeeeMode: 1
; LDSByteSize: 0 bytes/workgroup (compile time only)
; SGPRBlocks: 0
; VGPRBlocks: 0
; NumSGPRsForWavesPerEU: 4
; NumVGPRsForWavesPerEU: 1
; AccumOffset: 4
; Occupancy: 8
; WaveLimiterHint : 0
; COMPUTE_PGM_RSRC2:SCRATCH_EN: 0
; COMPUTE_PGM_RSRC2:USER_SGPR: 6
; COMPUTE_PGM_RSRC2:TRAP_HANDLER: 0
; COMPUTE_PGM_RSRC2:TGID_X_EN: 1
; COMPUTE_PGM_RSRC2:TGID_Y_EN: 0
; COMPUTE_PGM_RSRC2:TGID_Z_EN: 0
; COMPUTE_PGM_RSRC2:TIDIG_COMP_CNT: 0
; COMPUTE_PGM_RSRC3_GFX90A:ACCUM_OFFSET: 0
; COMPUTE_PGM_RSRC3_GFX90A:TG_SPLIT: 0
	.section	.text._ZN7rocprim17ROCPRIM_400000_NS6detail17trampoline_kernelINS0_14default_configENS1_35radix_sort_onesweep_config_selectorIjN6thrust23THRUST_200600_302600_NS5tupleIffNS6_9null_typeES8_S8_S8_S8_S8_S8_S8_EEEEZNS1_34radix_sort_onesweep_global_offsetsIS3_Lb0ENS6_6detail15normal_iteratorINS6_10device_ptrIjEEEENSD_INSE_IS9_EEEEjNS0_19identity_decomposerEEE10hipError_tT1_T2_PT3_SN_jT4_jjP12ihipStream_tbEUlT_E_NS1_11comp_targetILNS1_3genE10ELNS1_11target_archE1201ELNS1_3gpuE5ELNS1_3repE0EEENS1_52radix_sort_onesweep_histogram_config_static_selectorELNS0_4arch9wavefront6targetE1EEEvSL_,"axG",@progbits,_ZN7rocprim17ROCPRIM_400000_NS6detail17trampoline_kernelINS0_14default_configENS1_35radix_sort_onesweep_config_selectorIjN6thrust23THRUST_200600_302600_NS5tupleIffNS6_9null_typeES8_S8_S8_S8_S8_S8_S8_EEEEZNS1_34radix_sort_onesweep_global_offsetsIS3_Lb0ENS6_6detail15normal_iteratorINS6_10device_ptrIjEEEENSD_INSE_IS9_EEEEjNS0_19identity_decomposerEEE10hipError_tT1_T2_PT3_SN_jT4_jjP12ihipStream_tbEUlT_E_NS1_11comp_targetILNS1_3genE10ELNS1_11target_archE1201ELNS1_3gpuE5ELNS1_3repE0EEENS1_52radix_sort_onesweep_histogram_config_static_selectorELNS0_4arch9wavefront6targetE1EEEvSL_,comdat
	.protected	_ZN7rocprim17ROCPRIM_400000_NS6detail17trampoline_kernelINS0_14default_configENS1_35radix_sort_onesweep_config_selectorIjN6thrust23THRUST_200600_302600_NS5tupleIffNS6_9null_typeES8_S8_S8_S8_S8_S8_S8_EEEEZNS1_34radix_sort_onesweep_global_offsetsIS3_Lb0ENS6_6detail15normal_iteratorINS6_10device_ptrIjEEEENSD_INSE_IS9_EEEEjNS0_19identity_decomposerEEE10hipError_tT1_T2_PT3_SN_jT4_jjP12ihipStream_tbEUlT_E_NS1_11comp_targetILNS1_3genE10ELNS1_11target_archE1201ELNS1_3gpuE5ELNS1_3repE0EEENS1_52radix_sort_onesweep_histogram_config_static_selectorELNS0_4arch9wavefront6targetE1EEEvSL_ ; -- Begin function _ZN7rocprim17ROCPRIM_400000_NS6detail17trampoline_kernelINS0_14default_configENS1_35radix_sort_onesweep_config_selectorIjN6thrust23THRUST_200600_302600_NS5tupleIffNS6_9null_typeES8_S8_S8_S8_S8_S8_S8_EEEEZNS1_34radix_sort_onesweep_global_offsetsIS3_Lb0ENS6_6detail15normal_iteratorINS6_10device_ptrIjEEEENSD_INSE_IS9_EEEEjNS0_19identity_decomposerEEE10hipError_tT1_T2_PT3_SN_jT4_jjP12ihipStream_tbEUlT_E_NS1_11comp_targetILNS1_3genE10ELNS1_11target_archE1201ELNS1_3gpuE5ELNS1_3repE0EEENS1_52radix_sort_onesweep_histogram_config_static_selectorELNS0_4arch9wavefront6targetE1EEEvSL_
	.globl	_ZN7rocprim17ROCPRIM_400000_NS6detail17trampoline_kernelINS0_14default_configENS1_35radix_sort_onesweep_config_selectorIjN6thrust23THRUST_200600_302600_NS5tupleIffNS6_9null_typeES8_S8_S8_S8_S8_S8_S8_EEEEZNS1_34radix_sort_onesweep_global_offsetsIS3_Lb0ENS6_6detail15normal_iteratorINS6_10device_ptrIjEEEENSD_INSE_IS9_EEEEjNS0_19identity_decomposerEEE10hipError_tT1_T2_PT3_SN_jT4_jjP12ihipStream_tbEUlT_E_NS1_11comp_targetILNS1_3genE10ELNS1_11target_archE1201ELNS1_3gpuE5ELNS1_3repE0EEENS1_52radix_sort_onesweep_histogram_config_static_selectorELNS0_4arch9wavefront6targetE1EEEvSL_
	.p2align	8
	.type	_ZN7rocprim17ROCPRIM_400000_NS6detail17trampoline_kernelINS0_14default_configENS1_35radix_sort_onesweep_config_selectorIjN6thrust23THRUST_200600_302600_NS5tupleIffNS6_9null_typeES8_S8_S8_S8_S8_S8_S8_EEEEZNS1_34radix_sort_onesweep_global_offsetsIS3_Lb0ENS6_6detail15normal_iteratorINS6_10device_ptrIjEEEENSD_INSE_IS9_EEEEjNS0_19identity_decomposerEEE10hipError_tT1_T2_PT3_SN_jT4_jjP12ihipStream_tbEUlT_E_NS1_11comp_targetILNS1_3genE10ELNS1_11target_archE1201ELNS1_3gpuE5ELNS1_3repE0EEENS1_52radix_sort_onesweep_histogram_config_static_selectorELNS0_4arch9wavefront6targetE1EEEvSL_,@function
_ZN7rocprim17ROCPRIM_400000_NS6detail17trampoline_kernelINS0_14default_configENS1_35radix_sort_onesweep_config_selectorIjN6thrust23THRUST_200600_302600_NS5tupleIffNS6_9null_typeES8_S8_S8_S8_S8_S8_S8_EEEEZNS1_34radix_sort_onesweep_global_offsetsIS3_Lb0ENS6_6detail15normal_iteratorINS6_10device_ptrIjEEEENSD_INSE_IS9_EEEEjNS0_19identity_decomposerEEE10hipError_tT1_T2_PT3_SN_jT4_jjP12ihipStream_tbEUlT_E_NS1_11comp_targetILNS1_3genE10ELNS1_11target_archE1201ELNS1_3gpuE5ELNS1_3repE0EEENS1_52radix_sort_onesweep_histogram_config_static_selectorELNS0_4arch9wavefront6targetE1EEEvSL_: ; @_ZN7rocprim17ROCPRIM_400000_NS6detail17trampoline_kernelINS0_14default_configENS1_35radix_sort_onesweep_config_selectorIjN6thrust23THRUST_200600_302600_NS5tupleIffNS6_9null_typeES8_S8_S8_S8_S8_S8_S8_EEEEZNS1_34radix_sort_onesweep_global_offsetsIS3_Lb0ENS6_6detail15normal_iteratorINS6_10device_ptrIjEEEENSD_INSE_IS9_EEEEjNS0_19identity_decomposerEEE10hipError_tT1_T2_PT3_SN_jT4_jjP12ihipStream_tbEUlT_E_NS1_11comp_targetILNS1_3genE10ELNS1_11target_archE1201ELNS1_3gpuE5ELNS1_3repE0EEENS1_52radix_sort_onesweep_histogram_config_static_selectorELNS0_4arch9wavefront6targetE1EEEvSL_
; %bb.0:
	.section	.rodata,"a",@progbits
	.p2align	6, 0x0
	.amdhsa_kernel _ZN7rocprim17ROCPRIM_400000_NS6detail17trampoline_kernelINS0_14default_configENS1_35radix_sort_onesweep_config_selectorIjN6thrust23THRUST_200600_302600_NS5tupleIffNS6_9null_typeES8_S8_S8_S8_S8_S8_S8_EEEEZNS1_34radix_sort_onesweep_global_offsetsIS3_Lb0ENS6_6detail15normal_iteratorINS6_10device_ptrIjEEEENSD_INSE_IS9_EEEEjNS0_19identity_decomposerEEE10hipError_tT1_T2_PT3_SN_jT4_jjP12ihipStream_tbEUlT_E_NS1_11comp_targetILNS1_3genE10ELNS1_11target_archE1201ELNS1_3gpuE5ELNS1_3repE0EEENS1_52radix_sort_onesweep_histogram_config_static_selectorELNS0_4arch9wavefront6targetE1EEEvSL_
		.amdhsa_group_segment_fixed_size 0
		.amdhsa_private_segment_fixed_size 0
		.amdhsa_kernarg_size 40
		.amdhsa_user_sgpr_count 6
		.amdhsa_user_sgpr_private_segment_buffer 1
		.amdhsa_user_sgpr_dispatch_ptr 0
		.amdhsa_user_sgpr_queue_ptr 0
		.amdhsa_user_sgpr_kernarg_segment_ptr 1
		.amdhsa_user_sgpr_dispatch_id 0
		.amdhsa_user_sgpr_flat_scratch_init 0
		.amdhsa_user_sgpr_kernarg_preload_length 0
		.amdhsa_user_sgpr_kernarg_preload_offset 0
		.amdhsa_user_sgpr_private_segment_size 0
		.amdhsa_uses_dynamic_stack 0
		.amdhsa_system_sgpr_private_segment_wavefront_offset 0
		.amdhsa_system_sgpr_workgroup_id_x 1
		.amdhsa_system_sgpr_workgroup_id_y 0
		.amdhsa_system_sgpr_workgroup_id_z 0
		.amdhsa_system_sgpr_workgroup_info 0
		.amdhsa_system_vgpr_workitem_id 0
		.amdhsa_next_free_vgpr 1
		.amdhsa_next_free_sgpr 0
		.amdhsa_accum_offset 4
		.amdhsa_reserve_vcc 0
		.amdhsa_reserve_flat_scratch 0
		.amdhsa_float_round_mode_32 0
		.amdhsa_float_round_mode_16_64 0
		.amdhsa_float_denorm_mode_32 3
		.amdhsa_float_denorm_mode_16_64 3
		.amdhsa_dx10_clamp 1
		.amdhsa_ieee_mode 1
		.amdhsa_fp16_overflow 0
		.amdhsa_tg_split 0
		.amdhsa_exception_fp_ieee_invalid_op 0
		.amdhsa_exception_fp_denorm_src 0
		.amdhsa_exception_fp_ieee_div_zero 0
		.amdhsa_exception_fp_ieee_overflow 0
		.amdhsa_exception_fp_ieee_underflow 0
		.amdhsa_exception_fp_ieee_inexact 0
		.amdhsa_exception_int_div_zero 0
	.end_amdhsa_kernel
	.section	.text._ZN7rocprim17ROCPRIM_400000_NS6detail17trampoline_kernelINS0_14default_configENS1_35radix_sort_onesweep_config_selectorIjN6thrust23THRUST_200600_302600_NS5tupleIffNS6_9null_typeES8_S8_S8_S8_S8_S8_S8_EEEEZNS1_34radix_sort_onesweep_global_offsetsIS3_Lb0ENS6_6detail15normal_iteratorINS6_10device_ptrIjEEEENSD_INSE_IS9_EEEEjNS0_19identity_decomposerEEE10hipError_tT1_T2_PT3_SN_jT4_jjP12ihipStream_tbEUlT_E_NS1_11comp_targetILNS1_3genE10ELNS1_11target_archE1201ELNS1_3gpuE5ELNS1_3repE0EEENS1_52radix_sort_onesweep_histogram_config_static_selectorELNS0_4arch9wavefront6targetE1EEEvSL_,"axG",@progbits,_ZN7rocprim17ROCPRIM_400000_NS6detail17trampoline_kernelINS0_14default_configENS1_35radix_sort_onesweep_config_selectorIjN6thrust23THRUST_200600_302600_NS5tupleIffNS6_9null_typeES8_S8_S8_S8_S8_S8_S8_EEEEZNS1_34radix_sort_onesweep_global_offsetsIS3_Lb0ENS6_6detail15normal_iteratorINS6_10device_ptrIjEEEENSD_INSE_IS9_EEEEjNS0_19identity_decomposerEEE10hipError_tT1_T2_PT3_SN_jT4_jjP12ihipStream_tbEUlT_E_NS1_11comp_targetILNS1_3genE10ELNS1_11target_archE1201ELNS1_3gpuE5ELNS1_3repE0EEENS1_52radix_sort_onesweep_histogram_config_static_selectorELNS0_4arch9wavefront6targetE1EEEvSL_,comdat
.Lfunc_end145:
	.size	_ZN7rocprim17ROCPRIM_400000_NS6detail17trampoline_kernelINS0_14default_configENS1_35radix_sort_onesweep_config_selectorIjN6thrust23THRUST_200600_302600_NS5tupleIffNS6_9null_typeES8_S8_S8_S8_S8_S8_S8_EEEEZNS1_34radix_sort_onesweep_global_offsetsIS3_Lb0ENS6_6detail15normal_iteratorINS6_10device_ptrIjEEEENSD_INSE_IS9_EEEEjNS0_19identity_decomposerEEE10hipError_tT1_T2_PT3_SN_jT4_jjP12ihipStream_tbEUlT_E_NS1_11comp_targetILNS1_3genE10ELNS1_11target_archE1201ELNS1_3gpuE5ELNS1_3repE0EEENS1_52radix_sort_onesweep_histogram_config_static_selectorELNS0_4arch9wavefront6targetE1EEEvSL_, .Lfunc_end145-_ZN7rocprim17ROCPRIM_400000_NS6detail17trampoline_kernelINS0_14default_configENS1_35radix_sort_onesweep_config_selectorIjN6thrust23THRUST_200600_302600_NS5tupleIffNS6_9null_typeES8_S8_S8_S8_S8_S8_S8_EEEEZNS1_34radix_sort_onesweep_global_offsetsIS3_Lb0ENS6_6detail15normal_iteratorINS6_10device_ptrIjEEEENSD_INSE_IS9_EEEEjNS0_19identity_decomposerEEE10hipError_tT1_T2_PT3_SN_jT4_jjP12ihipStream_tbEUlT_E_NS1_11comp_targetILNS1_3genE10ELNS1_11target_archE1201ELNS1_3gpuE5ELNS1_3repE0EEENS1_52radix_sort_onesweep_histogram_config_static_selectorELNS0_4arch9wavefront6targetE1EEEvSL_
                                        ; -- End function
	.section	.AMDGPU.csdata,"",@progbits
; Kernel info:
; codeLenInByte = 0
; NumSgprs: 4
; NumVgprs: 0
; NumAgprs: 0
; TotalNumVgprs: 0
; ScratchSize: 0
; MemoryBound: 0
; FloatMode: 240
; IeeeMode: 1
; LDSByteSize: 0 bytes/workgroup (compile time only)
; SGPRBlocks: 0
; VGPRBlocks: 0
; NumSGPRsForWavesPerEU: 4
; NumVGPRsForWavesPerEU: 1
; AccumOffset: 4
; Occupancy: 8
; WaveLimiterHint : 0
; COMPUTE_PGM_RSRC2:SCRATCH_EN: 0
; COMPUTE_PGM_RSRC2:USER_SGPR: 6
; COMPUTE_PGM_RSRC2:TRAP_HANDLER: 0
; COMPUTE_PGM_RSRC2:TGID_X_EN: 1
; COMPUTE_PGM_RSRC2:TGID_Y_EN: 0
; COMPUTE_PGM_RSRC2:TGID_Z_EN: 0
; COMPUTE_PGM_RSRC2:TIDIG_COMP_CNT: 0
; COMPUTE_PGM_RSRC3_GFX90A:ACCUM_OFFSET: 0
; COMPUTE_PGM_RSRC3_GFX90A:TG_SPLIT: 0
	.section	.text._ZN7rocprim17ROCPRIM_400000_NS6detail17trampoline_kernelINS0_14default_configENS1_35radix_sort_onesweep_config_selectorIjN6thrust23THRUST_200600_302600_NS5tupleIffNS6_9null_typeES8_S8_S8_S8_S8_S8_S8_EEEEZNS1_34radix_sort_onesweep_global_offsetsIS3_Lb0ENS6_6detail15normal_iteratorINS6_10device_ptrIjEEEENSD_INSE_IS9_EEEEjNS0_19identity_decomposerEEE10hipError_tT1_T2_PT3_SN_jT4_jjP12ihipStream_tbEUlT_E_NS1_11comp_targetILNS1_3genE9ELNS1_11target_archE1100ELNS1_3gpuE3ELNS1_3repE0EEENS1_52radix_sort_onesweep_histogram_config_static_selectorELNS0_4arch9wavefront6targetE1EEEvSL_,"axG",@progbits,_ZN7rocprim17ROCPRIM_400000_NS6detail17trampoline_kernelINS0_14default_configENS1_35radix_sort_onesweep_config_selectorIjN6thrust23THRUST_200600_302600_NS5tupleIffNS6_9null_typeES8_S8_S8_S8_S8_S8_S8_EEEEZNS1_34radix_sort_onesweep_global_offsetsIS3_Lb0ENS6_6detail15normal_iteratorINS6_10device_ptrIjEEEENSD_INSE_IS9_EEEEjNS0_19identity_decomposerEEE10hipError_tT1_T2_PT3_SN_jT4_jjP12ihipStream_tbEUlT_E_NS1_11comp_targetILNS1_3genE9ELNS1_11target_archE1100ELNS1_3gpuE3ELNS1_3repE0EEENS1_52radix_sort_onesweep_histogram_config_static_selectorELNS0_4arch9wavefront6targetE1EEEvSL_,comdat
	.protected	_ZN7rocprim17ROCPRIM_400000_NS6detail17trampoline_kernelINS0_14default_configENS1_35radix_sort_onesweep_config_selectorIjN6thrust23THRUST_200600_302600_NS5tupleIffNS6_9null_typeES8_S8_S8_S8_S8_S8_S8_EEEEZNS1_34radix_sort_onesweep_global_offsetsIS3_Lb0ENS6_6detail15normal_iteratorINS6_10device_ptrIjEEEENSD_INSE_IS9_EEEEjNS0_19identity_decomposerEEE10hipError_tT1_T2_PT3_SN_jT4_jjP12ihipStream_tbEUlT_E_NS1_11comp_targetILNS1_3genE9ELNS1_11target_archE1100ELNS1_3gpuE3ELNS1_3repE0EEENS1_52radix_sort_onesweep_histogram_config_static_selectorELNS0_4arch9wavefront6targetE1EEEvSL_ ; -- Begin function _ZN7rocprim17ROCPRIM_400000_NS6detail17trampoline_kernelINS0_14default_configENS1_35radix_sort_onesweep_config_selectorIjN6thrust23THRUST_200600_302600_NS5tupleIffNS6_9null_typeES8_S8_S8_S8_S8_S8_S8_EEEEZNS1_34radix_sort_onesweep_global_offsetsIS3_Lb0ENS6_6detail15normal_iteratorINS6_10device_ptrIjEEEENSD_INSE_IS9_EEEEjNS0_19identity_decomposerEEE10hipError_tT1_T2_PT3_SN_jT4_jjP12ihipStream_tbEUlT_E_NS1_11comp_targetILNS1_3genE9ELNS1_11target_archE1100ELNS1_3gpuE3ELNS1_3repE0EEENS1_52radix_sort_onesweep_histogram_config_static_selectorELNS0_4arch9wavefront6targetE1EEEvSL_
	.globl	_ZN7rocprim17ROCPRIM_400000_NS6detail17trampoline_kernelINS0_14default_configENS1_35radix_sort_onesweep_config_selectorIjN6thrust23THRUST_200600_302600_NS5tupleIffNS6_9null_typeES8_S8_S8_S8_S8_S8_S8_EEEEZNS1_34radix_sort_onesweep_global_offsetsIS3_Lb0ENS6_6detail15normal_iteratorINS6_10device_ptrIjEEEENSD_INSE_IS9_EEEEjNS0_19identity_decomposerEEE10hipError_tT1_T2_PT3_SN_jT4_jjP12ihipStream_tbEUlT_E_NS1_11comp_targetILNS1_3genE9ELNS1_11target_archE1100ELNS1_3gpuE3ELNS1_3repE0EEENS1_52radix_sort_onesweep_histogram_config_static_selectorELNS0_4arch9wavefront6targetE1EEEvSL_
	.p2align	8
	.type	_ZN7rocprim17ROCPRIM_400000_NS6detail17trampoline_kernelINS0_14default_configENS1_35radix_sort_onesweep_config_selectorIjN6thrust23THRUST_200600_302600_NS5tupleIffNS6_9null_typeES8_S8_S8_S8_S8_S8_S8_EEEEZNS1_34radix_sort_onesweep_global_offsetsIS3_Lb0ENS6_6detail15normal_iteratorINS6_10device_ptrIjEEEENSD_INSE_IS9_EEEEjNS0_19identity_decomposerEEE10hipError_tT1_T2_PT3_SN_jT4_jjP12ihipStream_tbEUlT_E_NS1_11comp_targetILNS1_3genE9ELNS1_11target_archE1100ELNS1_3gpuE3ELNS1_3repE0EEENS1_52radix_sort_onesweep_histogram_config_static_selectorELNS0_4arch9wavefront6targetE1EEEvSL_,@function
_ZN7rocprim17ROCPRIM_400000_NS6detail17trampoline_kernelINS0_14default_configENS1_35radix_sort_onesweep_config_selectorIjN6thrust23THRUST_200600_302600_NS5tupleIffNS6_9null_typeES8_S8_S8_S8_S8_S8_S8_EEEEZNS1_34radix_sort_onesweep_global_offsetsIS3_Lb0ENS6_6detail15normal_iteratorINS6_10device_ptrIjEEEENSD_INSE_IS9_EEEEjNS0_19identity_decomposerEEE10hipError_tT1_T2_PT3_SN_jT4_jjP12ihipStream_tbEUlT_E_NS1_11comp_targetILNS1_3genE9ELNS1_11target_archE1100ELNS1_3gpuE3ELNS1_3repE0EEENS1_52radix_sort_onesweep_histogram_config_static_selectorELNS0_4arch9wavefront6targetE1EEEvSL_: ; @_ZN7rocprim17ROCPRIM_400000_NS6detail17trampoline_kernelINS0_14default_configENS1_35radix_sort_onesweep_config_selectorIjN6thrust23THRUST_200600_302600_NS5tupleIffNS6_9null_typeES8_S8_S8_S8_S8_S8_S8_EEEEZNS1_34radix_sort_onesweep_global_offsetsIS3_Lb0ENS6_6detail15normal_iteratorINS6_10device_ptrIjEEEENSD_INSE_IS9_EEEEjNS0_19identity_decomposerEEE10hipError_tT1_T2_PT3_SN_jT4_jjP12ihipStream_tbEUlT_E_NS1_11comp_targetILNS1_3genE9ELNS1_11target_archE1100ELNS1_3gpuE3ELNS1_3repE0EEENS1_52radix_sort_onesweep_histogram_config_static_selectorELNS0_4arch9wavefront6targetE1EEEvSL_
; %bb.0:
	.section	.rodata,"a",@progbits
	.p2align	6, 0x0
	.amdhsa_kernel _ZN7rocprim17ROCPRIM_400000_NS6detail17trampoline_kernelINS0_14default_configENS1_35radix_sort_onesweep_config_selectorIjN6thrust23THRUST_200600_302600_NS5tupleIffNS6_9null_typeES8_S8_S8_S8_S8_S8_S8_EEEEZNS1_34radix_sort_onesweep_global_offsetsIS3_Lb0ENS6_6detail15normal_iteratorINS6_10device_ptrIjEEEENSD_INSE_IS9_EEEEjNS0_19identity_decomposerEEE10hipError_tT1_T2_PT3_SN_jT4_jjP12ihipStream_tbEUlT_E_NS1_11comp_targetILNS1_3genE9ELNS1_11target_archE1100ELNS1_3gpuE3ELNS1_3repE0EEENS1_52radix_sort_onesweep_histogram_config_static_selectorELNS0_4arch9wavefront6targetE1EEEvSL_
		.amdhsa_group_segment_fixed_size 0
		.amdhsa_private_segment_fixed_size 0
		.amdhsa_kernarg_size 40
		.amdhsa_user_sgpr_count 6
		.amdhsa_user_sgpr_private_segment_buffer 1
		.amdhsa_user_sgpr_dispatch_ptr 0
		.amdhsa_user_sgpr_queue_ptr 0
		.amdhsa_user_sgpr_kernarg_segment_ptr 1
		.amdhsa_user_sgpr_dispatch_id 0
		.amdhsa_user_sgpr_flat_scratch_init 0
		.amdhsa_user_sgpr_kernarg_preload_length 0
		.amdhsa_user_sgpr_kernarg_preload_offset 0
		.amdhsa_user_sgpr_private_segment_size 0
		.amdhsa_uses_dynamic_stack 0
		.amdhsa_system_sgpr_private_segment_wavefront_offset 0
		.amdhsa_system_sgpr_workgroup_id_x 1
		.amdhsa_system_sgpr_workgroup_id_y 0
		.amdhsa_system_sgpr_workgroup_id_z 0
		.amdhsa_system_sgpr_workgroup_info 0
		.amdhsa_system_vgpr_workitem_id 0
		.amdhsa_next_free_vgpr 1
		.amdhsa_next_free_sgpr 0
		.amdhsa_accum_offset 4
		.amdhsa_reserve_vcc 0
		.amdhsa_reserve_flat_scratch 0
		.amdhsa_float_round_mode_32 0
		.amdhsa_float_round_mode_16_64 0
		.amdhsa_float_denorm_mode_32 3
		.amdhsa_float_denorm_mode_16_64 3
		.amdhsa_dx10_clamp 1
		.amdhsa_ieee_mode 1
		.amdhsa_fp16_overflow 0
		.amdhsa_tg_split 0
		.amdhsa_exception_fp_ieee_invalid_op 0
		.amdhsa_exception_fp_denorm_src 0
		.amdhsa_exception_fp_ieee_div_zero 0
		.amdhsa_exception_fp_ieee_overflow 0
		.amdhsa_exception_fp_ieee_underflow 0
		.amdhsa_exception_fp_ieee_inexact 0
		.amdhsa_exception_int_div_zero 0
	.end_amdhsa_kernel
	.section	.text._ZN7rocprim17ROCPRIM_400000_NS6detail17trampoline_kernelINS0_14default_configENS1_35radix_sort_onesweep_config_selectorIjN6thrust23THRUST_200600_302600_NS5tupleIffNS6_9null_typeES8_S8_S8_S8_S8_S8_S8_EEEEZNS1_34radix_sort_onesweep_global_offsetsIS3_Lb0ENS6_6detail15normal_iteratorINS6_10device_ptrIjEEEENSD_INSE_IS9_EEEEjNS0_19identity_decomposerEEE10hipError_tT1_T2_PT3_SN_jT4_jjP12ihipStream_tbEUlT_E_NS1_11comp_targetILNS1_3genE9ELNS1_11target_archE1100ELNS1_3gpuE3ELNS1_3repE0EEENS1_52radix_sort_onesweep_histogram_config_static_selectorELNS0_4arch9wavefront6targetE1EEEvSL_,"axG",@progbits,_ZN7rocprim17ROCPRIM_400000_NS6detail17trampoline_kernelINS0_14default_configENS1_35radix_sort_onesweep_config_selectorIjN6thrust23THRUST_200600_302600_NS5tupleIffNS6_9null_typeES8_S8_S8_S8_S8_S8_S8_EEEEZNS1_34radix_sort_onesweep_global_offsetsIS3_Lb0ENS6_6detail15normal_iteratorINS6_10device_ptrIjEEEENSD_INSE_IS9_EEEEjNS0_19identity_decomposerEEE10hipError_tT1_T2_PT3_SN_jT4_jjP12ihipStream_tbEUlT_E_NS1_11comp_targetILNS1_3genE9ELNS1_11target_archE1100ELNS1_3gpuE3ELNS1_3repE0EEENS1_52radix_sort_onesweep_histogram_config_static_selectorELNS0_4arch9wavefront6targetE1EEEvSL_,comdat
.Lfunc_end146:
	.size	_ZN7rocprim17ROCPRIM_400000_NS6detail17trampoline_kernelINS0_14default_configENS1_35radix_sort_onesweep_config_selectorIjN6thrust23THRUST_200600_302600_NS5tupleIffNS6_9null_typeES8_S8_S8_S8_S8_S8_S8_EEEEZNS1_34radix_sort_onesweep_global_offsetsIS3_Lb0ENS6_6detail15normal_iteratorINS6_10device_ptrIjEEEENSD_INSE_IS9_EEEEjNS0_19identity_decomposerEEE10hipError_tT1_T2_PT3_SN_jT4_jjP12ihipStream_tbEUlT_E_NS1_11comp_targetILNS1_3genE9ELNS1_11target_archE1100ELNS1_3gpuE3ELNS1_3repE0EEENS1_52radix_sort_onesweep_histogram_config_static_selectorELNS0_4arch9wavefront6targetE1EEEvSL_, .Lfunc_end146-_ZN7rocprim17ROCPRIM_400000_NS6detail17trampoline_kernelINS0_14default_configENS1_35radix_sort_onesweep_config_selectorIjN6thrust23THRUST_200600_302600_NS5tupleIffNS6_9null_typeES8_S8_S8_S8_S8_S8_S8_EEEEZNS1_34radix_sort_onesweep_global_offsetsIS3_Lb0ENS6_6detail15normal_iteratorINS6_10device_ptrIjEEEENSD_INSE_IS9_EEEEjNS0_19identity_decomposerEEE10hipError_tT1_T2_PT3_SN_jT4_jjP12ihipStream_tbEUlT_E_NS1_11comp_targetILNS1_3genE9ELNS1_11target_archE1100ELNS1_3gpuE3ELNS1_3repE0EEENS1_52radix_sort_onesweep_histogram_config_static_selectorELNS0_4arch9wavefront6targetE1EEEvSL_
                                        ; -- End function
	.section	.AMDGPU.csdata,"",@progbits
; Kernel info:
; codeLenInByte = 0
; NumSgprs: 4
; NumVgprs: 0
; NumAgprs: 0
; TotalNumVgprs: 0
; ScratchSize: 0
; MemoryBound: 0
; FloatMode: 240
; IeeeMode: 1
; LDSByteSize: 0 bytes/workgroup (compile time only)
; SGPRBlocks: 0
; VGPRBlocks: 0
; NumSGPRsForWavesPerEU: 4
; NumVGPRsForWavesPerEU: 1
; AccumOffset: 4
; Occupancy: 8
; WaveLimiterHint : 0
; COMPUTE_PGM_RSRC2:SCRATCH_EN: 0
; COMPUTE_PGM_RSRC2:USER_SGPR: 6
; COMPUTE_PGM_RSRC2:TRAP_HANDLER: 0
; COMPUTE_PGM_RSRC2:TGID_X_EN: 1
; COMPUTE_PGM_RSRC2:TGID_Y_EN: 0
; COMPUTE_PGM_RSRC2:TGID_Z_EN: 0
; COMPUTE_PGM_RSRC2:TIDIG_COMP_CNT: 0
; COMPUTE_PGM_RSRC3_GFX90A:ACCUM_OFFSET: 0
; COMPUTE_PGM_RSRC3_GFX90A:TG_SPLIT: 0
	.section	.text._ZN7rocprim17ROCPRIM_400000_NS6detail17trampoline_kernelINS0_14default_configENS1_35radix_sort_onesweep_config_selectorIjN6thrust23THRUST_200600_302600_NS5tupleIffNS6_9null_typeES8_S8_S8_S8_S8_S8_S8_EEEEZNS1_34radix_sort_onesweep_global_offsetsIS3_Lb0ENS6_6detail15normal_iteratorINS6_10device_ptrIjEEEENSD_INSE_IS9_EEEEjNS0_19identity_decomposerEEE10hipError_tT1_T2_PT3_SN_jT4_jjP12ihipStream_tbEUlT_E_NS1_11comp_targetILNS1_3genE8ELNS1_11target_archE1030ELNS1_3gpuE2ELNS1_3repE0EEENS1_52radix_sort_onesweep_histogram_config_static_selectorELNS0_4arch9wavefront6targetE1EEEvSL_,"axG",@progbits,_ZN7rocprim17ROCPRIM_400000_NS6detail17trampoline_kernelINS0_14default_configENS1_35radix_sort_onesweep_config_selectorIjN6thrust23THRUST_200600_302600_NS5tupleIffNS6_9null_typeES8_S8_S8_S8_S8_S8_S8_EEEEZNS1_34radix_sort_onesweep_global_offsetsIS3_Lb0ENS6_6detail15normal_iteratorINS6_10device_ptrIjEEEENSD_INSE_IS9_EEEEjNS0_19identity_decomposerEEE10hipError_tT1_T2_PT3_SN_jT4_jjP12ihipStream_tbEUlT_E_NS1_11comp_targetILNS1_3genE8ELNS1_11target_archE1030ELNS1_3gpuE2ELNS1_3repE0EEENS1_52radix_sort_onesweep_histogram_config_static_selectorELNS0_4arch9wavefront6targetE1EEEvSL_,comdat
	.protected	_ZN7rocprim17ROCPRIM_400000_NS6detail17trampoline_kernelINS0_14default_configENS1_35radix_sort_onesweep_config_selectorIjN6thrust23THRUST_200600_302600_NS5tupleIffNS6_9null_typeES8_S8_S8_S8_S8_S8_S8_EEEEZNS1_34radix_sort_onesweep_global_offsetsIS3_Lb0ENS6_6detail15normal_iteratorINS6_10device_ptrIjEEEENSD_INSE_IS9_EEEEjNS0_19identity_decomposerEEE10hipError_tT1_T2_PT3_SN_jT4_jjP12ihipStream_tbEUlT_E_NS1_11comp_targetILNS1_3genE8ELNS1_11target_archE1030ELNS1_3gpuE2ELNS1_3repE0EEENS1_52radix_sort_onesweep_histogram_config_static_selectorELNS0_4arch9wavefront6targetE1EEEvSL_ ; -- Begin function _ZN7rocprim17ROCPRIM_400000_NS6detail17trampoline_kernelINS0_14default_configENS1_35radix_sort_onesweep_config_selectorIjN6thrust23THRUST_200600_302600_NS5tupleIffNS6_9null_typeES8_S8_S8_S8_S8_S8_S8_EEEEZNS1_34radix_sort_onesweep_global_offsetsIS3_Lb0ENS6_6detail15normal_iteratorINS6_10device_ptrIjEEEENSD_INSE_IS9_EEEEjNS0_19identity_decomposerEEE10hipError_tT1_T2_PT3_SN_jT4_jjP12ihipStream_tbEUlT_E_NS1_11comp_targetILNS1_3genE8ELNS1_11target_archE1030ELNS1_3gpuE2ELNS1_3repE0EEENS1_52radix_sort_onesweep_histogram_config_static_selectorELNS0_4arch9wavefront6targetE1EEEvSL_
	.globl	_ZN7rocprim17ROCPRIM_400000_NS6detail17trampoline_kernelINS0_14default_configENS1_35radix_sort_onesweep_config_selectorIjN6thrust23THRUST_200600_302600_NS5tupleIffNS6_9null_typeES8_S8_S8_S8_S8_S8_S8_EEEEZNS1_34radix_sort_onesweep_global_offsetsIS3_Lb0ENS6_6detail15normal_iteratorINS6_10device_ptrIjEEEENSD_INSE_IS9_EEEEjNS0_19identity_decomposerEEE10hipError_tT1_T2_PT3_SN_jT4_jjP12ihipStream_tbEUlT_E_NS1_11comp_targetILNS1_3genE8ELNS1_11target_archE1030ELNS1_3gpuE2ELNS1_3repE0EEENS1_52radix_sort_onesweep_histogram_config_static_selectorELNS0_4arch9wavefront6targetE1EEEvSL_
	.p2align	8
	.type	_ZN7rocprim17ROCPRIM_400000_NS6detail17trampoline_kernelINS0_14default_configENS1_35radix_sort_onesweep_config_selectorIjN6thrust23THRUST_200600_302600_NS5tupleIffNS6_9null_typeES8_S8_S8_S8_S8_S8_S8_EEEEZNS1_34radix_sort_onesweep_global_offsetsIS3_Lb0ENS6_6detail15normal_iteratorINS6_10device_ptrIjEEEENSD_INSE_IS9_EEEEjNS0_19identity_decomposerEEE10hipError_tT1_T2_PT3_SN_jT4_jjP12ihipStream_tbEUlT_E_NS1_11comp_targetILNS1_3genE8ELNS1_11target_archE1030ELNS1_3gpuE2ELNS1_3repE0EEENS1_52radix_sort_onesweep_histogram_config_static_selectorELNS0_4arch9wavefront6targetE1EEEvSL_,@function
_ZN7rocprim17ROCPRIM_400000_NS6detail17trampoline_kernelINS0_14default_configENS1_35radix_sort_onesweep_config_selectorIjN6thrust23THRUST_200600_302600_NS5tupleIffNS6_9null_typeES8_S8_S8_S8_S8_S8_S8_EEEEZNS1_34radix_sort_onesweep_global_offsetsIS3_Lb0ENS6_6detail15normal_iteratorINS6_10device_ptrIjEEEENSD_INSE_IS9_EEEEjNS0_19identity_decomposerEEE10hipError_tT1_T2_PT3_SN_jT4_jjP12ihipStream_tbEUlT_E_NS1_11comp_targetILNS1_3genE8ELNS1_11target_archE1030ELNS1_3gpuE2ELNS1_3repE0EEENS1_52radix_sort_onesweep_histogram_config_static_selectorELNS0_4arch9wavefront6targetE1EEEvSL_: ; @_ZN7rocprim17ROCPRIM_400000_NS6detail17trampoline_kernelINS0_14default_configENS1_35radix_sort_onesweep_config_selectorIjN6thrust23THRUST_200600_302600_NS5tupleIffNS6_9null_typeES8_S8_S8_S8_S8_S8_S8_EEEEZNS1_34radix_sort_onesweep_global_offsetsIS3_Lb0ENS6_6detail15normal_iteratorINS6_10device_ptrIjEEEENSD_INSE_IS9_EEEEjNS0_19identity_decomposerEEE10hipError_tT1_T2_PT3_SN_jT4_jjP12ihipStream_tbEUlT_E_NS1_11comp_targetILNS1_3genE8ELNS1_11target_archE1030ELNS1_3gpuE2ELNS1_3repE0EEENS1_52radix_sort_onesweep_histogram_config_static_selectorELNS0_4arch9wavefront6targetE1EEEvSL_
; %bb.0:
	.section	.rodata,"a",@progbits
	.p2align	6, 0x0
	.amdhsa_kernel _ZN7rocprim17ROCPRIM_400000_NS6detail17trampoline_kernelINS0_14default_configENS1_35radix_sort_onesweep_config_selectorIjN6thrust23THRUST_200600_302600_NS5tupleIffNS6_9null_typeES8_S8_S8_S8_S8_S8_S8_EEEEZNS1_34radix_sort_onesweep_global_offsetsIS3_Lb0ENS6_6detail15normal_iteratorINS6_10device_ptrIjEEEENSD_INSE_IS9_EEEEjNS0_19identity_decomposerEEE10hipError_tT1_T2_PT3_SN_jT4_jjP12ihipStream_tbEUlT_E_NS1_11comp_targetILNS1_3genE8ELNS1_11target_archE1030ELNS1_3gpuE2ELNS1_3repE0EEENS1_52radix_sort_onesweep_histogram_config_static_selectorELNS0_4arch9wavefront6targetE1EEEvSL_
		.amdhsa_group_segment_fixed_size 0
		.amdhsa_private_segment_fixed_size 0
		.amdhsa_kernarg_size 40
		.amdhsa_user_sgpr_count 6
		.amdhsa_user_sgpr_private_segment_buffer 1
		.amdhsa_user_sgpr_dispatch_ptr 0
		.amdhsa_user_sgpr_queue_ptr 0
		.amdhsa_user_sgpr_kernarg_segment_ptr 1
		.amdhsa_user_sgpr_dispatch_id 0
		.amdhsa_user_sgpr_flat_scratch_init 0
		.amdhsa_user_sgpr_kernarg_preload_length 0
		.amdhsa_user_sgpr_kernarg_preload_offset 0
		.amdhsa_user_sgpr_private_segment_size 0
		.amdhsa_uses_dynamic_stack 0
		.amdhsa_system_sgpr_private_segment_wavefront_offset 0
		.amdhsa_system_sgpr_workgroup_id_x 1
		.amdhsa_system_sgpr_workgroup_id_y 0
		.amdhsa_system_sgpr_workgroup_id_z 0
		.amdhsa_system_sgpr_workgroup_info 0
		.amdhsa_system_vgpr_workitem_id 0
		.amdhsa_next_free_vgpr 1
		.amdhsa_next_free_sgpr 0
		.amdhsa_accum_offset 4
		.amdhsa_reserve_vcc 0
		.amdhsa_reserve_flat_scratch 0
		.amdhsa_float_round_mode_32 0
		.amdhsa_float_round_mode_16_64 0
		.amdhsa_float_denorm_mode_32 3
		.amdhsa_float_denorm_mode_16_64 3
		.amdhsa_dx10_clamp 1
		.amdhsa_ieee_mode 1
		.amdhsa_fp16_overflow 0
		.amdhsa_tg_split 0
		.amdhsa_exception_fp_ieee_invalid_op 0
		.amdhsa_exception_fp_denorm_src 0
		.amdhsa_exception_fp_ieee_div_zero 0
		.amdhsa_exception_fp_ieee_overflow 0
		.amdhsa_exception_fp_ieee_underflow 0
		.amdhsa_exception_fp_ieee_inexact 0
		.amdhsa_exception_int_div_zero 0
	.end_amdhsa_kernel
	.section	.text._ZN7rocprim17ROCPRIM_400000_NS6detail17trampoline_kernelINS0_14default_configENS1_35radix_sort_onesweep_config_selectorIjN6thrust23THRUST_200600_302600_NS5tupleIffNS6_9null_typeES8_S8_S8_S8_S8_S8_S8_EEEEZNS1_34radix_sort_onesweep_global_offsetsIS3_Lb0ENS6_6detail15normal_iteratorINS6_10device_ptrIjEEEENSD_INSE_IS9_EEEEjNS0_19identity_decomposerEEE10hipError_tT1_T2_PT3_SN_jT4_jjP12ihipStream_tbEUlT_E_NS1_11comp_targetILNS1_3genE8ELNS1_11target_archE1030ELNS1_3gpuE2ELNS1_3repE0EEENS1_52radix_sort_onesweep_histogram_config_static_selectorELNS0_4arch9wavefront6targetE1EEEvSL_,"axG",@progbits,_ZN7rocprim17ROCPRIM_400000_NS6detail17trampoline_kernelINS0_14default_configENS1_35radix_sort_onesweep_config_selectorIjN6thrust23THRUST_200600_302600_NS5tupleIffNS6_9null_typeES8_S8_S8_S8_S8_S8_S8_EEEEZNS1_34radix_sort_onesweep_global_offsetsIS3_Lb0ENS6_6detail15normal_iteratorINS6_10device_ptrIjEEEENSD_INSE_IS9_EEEEjNS0_19identity_decomposerEEE10hipError_tT1_T2_PT3_SN_jT4_jjP12ihipStream_tbEUlT_E_NS1_11comp_targetILNS1_3genE8ELNS1_11target_archE1030ELNS1_3gpuE2ELNS1_3repE0EEENS1_52radix_sort_onesweep_histogram_config_static_selectorELNS0_4arch9wavefront6targetE1EEEvSL_,comdat
.Lfunc_end147:
	.size	_ZN7rocprim17ROCPRIM_400000_NS6detail17trampoline_kernelINS0_14default_configENS1_35radix_sort_onesweep_config_selectorIjN6thrust23THRUST_200600_302600_NS5tupleIffNS6_9null_typeES8_S8_S8_S8_S8_S8_S8_EEEEZNS1_34radix_sort_onesweep_global_offsetsIS3_Lb0ENS6_6detail15normal_iteratorINS6_10device_ptrIjEEEENSD_INSE_IS9_EEEEjNS0_19identity_decomposerEEE10hipError_tT1_T2_PT3_SN_jT4_jjP12ihipStream_tbEUlT_E_NS1_11comp_targetILNS1_3genE8ELNS1_11target_archE1030ELNS1_3gpuE2ELNS1_3repE0EEENS1_52radix_sort_onesweep_histogram_config_static_selectorELNS0_4arch9wavefront6targetE1EEEvSL_, .Lfunc_end147-_ZN7rocprim17ROCPRIM_400000_NS6detail17trampoline_kernelINS0_14default_configENS1_35radix_sort_onesweep_config_selectorIjN6thrust23THRUST_200600_302600_NS5tupleIffNS6_9null_typeES8_S8_S8_S8_S8_S8_S8_EEEEZNS1_34radix_sort_onesweep_global_offsetsIS3_Lb0ENS6_6detail15normal_iteratorINS6_10device_ptrIjEEEENSD_INSE_IS9_EEEEjNS0_19identity_decomposerEEE10hipError_tT1_T2_PT3_SN_jT4_jjP12ihipStream_tbEUlT_E_NS1_11comp_targetILNS1_3genE8ELNS1_11target_archE1030ELNS1_3gpuE2ELNS1_3repE0EEENS1_52radix_sort_onesweep_histogram_config_static_selectorELNS0_4arch9wavefront6targetE1EEEvSL_
                                        ; -- End function
	.section	.AMDGPU.csdata,"",@progbits
; Kernel info:
; codeLenInByte = 0
; NumSgprs: 4
; NumVgprs: 0
; NumAgprs: 0
; TotalNumVgprs: 0
; ScratchSize: 0
; MemoryBound: 0
; FloatMode: 240
; IeeeMode: 1
; LDSByteSize: 0 bytes/workgroup (compile time only)
; SGPRBlocks: 0
; VGPRBlocks: 0
; NumSGPRsForWavesPerEU: 4
; NumVGPRsForWavesPerEU: 1
; AccumOffset: 4
; Occupancy: 8
; WaveLimiterHint : 0
; COMPUTE_PGM_RSRC2:SCRATCH_EN: 0
; COMPUTE_PGM_RSRC2:USER_SGPR: 6
; COMPUTE_PGM_RSRC2:TRAP_HANDLER: 0
; COMPUTE_PGM_RSRC2:TGID_X_EN: 1
; COMPUTE_PGM_RSRC2:TGID_Y_EN: 0
; COMPUTE_PGM_RSRC2:TGID_Z_EN: 0
; COMPUTE_PGM_RSRC2:TIDIG_COMP_CNT: 0
; COMPUTE_PGM_RSRC3_GFX90A:ACCUM_OFFSET: 0
; COMPUTE_PGM_RSRC3_GFX90A:TG_SPLIT: 0
	.section	.text._ZN7rocprim17ROCPRIM_400000_NS6detail17trampoline_kernelINS0_14default_configENS1_35radix_sort_onesweep_config_selectorIjN6thrust23THRUST_200600_302600_NS5tupleIffNS6_9null_typeES8_S8_S8_S8_S8_S8_S8_EEEEZNS1_34radix_sort_onesweep_global_offsetsIS3_Lb0ENS6_6detail15normal_iteratorINS6_10device_ptrIjEEEENSD_INSE_IS9_EEEEjNS0_19identity_decomposerEEE10hipError_tT1_T2_PT3_SN_jT4_jjP12ihipStream_tbEUlT_E0_NS1_11comp_targetILNS1_3genE0ELNS1_11target_archE4294967295ELNS1_3gpuE0ELNS1_3repE0EEENS1_52radix_sort_onesweep_histogram_config_static_selectorELNS0_4arch9wavefront6targetE1EEEvSL_,"axG",@progbits,_ZN7rocprim17ROCPRIM_400000_NS6detail17trampoline_kernelINS0_14default_configENS1_35radix_sort_onesweep_config_selectorIjN6thrust23THRUST_200600_302600_NS5tupleIffNS6_9null_typeES8_S8_S8_S8_S8_S8_S8_EEEEZNS1_34radix_sort_onesweep_global_offsetsIS3_Lb0ENS6_6detail15normal_iteratorINS6_10device_ptrIjEEEENSD_INSE_IS9_EEEEjNS0_19identity_decomposerEEE10hipError_tT1_T2_PT3_SN_jT4_jjP12ihipStream_tbEUlT_E0_NS1_11comp_targetILNS1_3genE0ELNS1_11target_archE4294967295ELNS1_3gpuE0ELNS1_3repE0EEENS1_52radix_sort_onesweep_histogram_config_static_selectorELNS0_4arch9wavefront6targetE1EEEvSL_,comdat
	.protected	_ZN7rocprim17ROCPRIM_400000_NS6detail17trampoline_kernelINS0_14default_configENS1_35radix_sort_onesweep_config_selectorIjN6thrust23THRUST_200600_302600_NS5tupleIffNS6_9null_typeES8_S8_S8_S8_S8_S8_S8_EEEEZNS1_34radix_sort_onesweep_global_offsetsIS3_Lb0ENS6_6detail15normal_iteratorINS6_10device_ptrIjEEEENSD_INSE_IS9_EEEEjNS0_19identity_decomposerEEE10hipError_tT1_T2_PT3_SN_jT4_jjP12ihipStream_tbEUlT_E0_NS1_11comp_targetILNS1_3genE0ELNS1_11target_archE4294967295ELNS1_3gpuE0ELNS1_3repE0EEENS1_52radix_sort_onesweep_histogram_config_static_selectorELNS0_4arch9wavefront6targetE1EEEvSL_ ; -- Begin function _ZN7rocprim17ROCPRIM_400000_NS6detail17trampoline_kernelINS0_14default_configENS1_35radix_sort_onesweep_config_selectorIjN6thrust23THRUST_200600_302600_NS5tupleIffNS6_9null_typeES8_S8_S8_S8_S8_S8_S8_EEEEZNS1_34radix_sort_onesweep_global_offsetsIS3_Lb0ENS6_6detail15normal_iteratorINS6_10device_ptrIjEEEENSD_INSE_IS9_EEEEjNS0_19identity_decomposerEEE10hipError_tT1_T2_PT3_SN_jT4_jjP12ihipStream_tbEUlT_E0_NS1_11comp_targetILNS1_3genE0ELNS1_11target_archE4294967295ELNS1_3gpuE0ELNS1_3repE0EEENS1_52radix_sort_onesweep_histogram_config_static_selectorELNS0_4arch9wavefront6targetE1EEEvSL_
	.globl	_ZN7rocprim17ROCPRIM_400000_NS6detail17trampoline_kernelINS0_14default_configENS1_35radix_sort_onesweep_config_selectorIjN6thrust23THRUST_200600_302600_NS5tupleIffNS6_9null_typeES8_S8_S8_S8_S8_S8_S8_EEEEZNS1_34radix_sort_onesweep_global_offsetsIS3_Lb0ENS6_6detail15normal_iteratorINS6_10device_ptrIjEEEENSD_INSE_IS9_EEEEjNS0_19identity_decomposerEEE10hipError_tT1_T2_PT3_SN_jT4_jjP12ihipStream_tbEUlT_E0_NS1_11comp_targetILNS1_3genE0ELNS1_11target_archE4294967295ELNS1_3gpuE0ELNS1_3repE0EEENS1_52radix_sort_onesweep_histogram_config_static_selectorELNS0_4arch9wavefront6targetE1EEEvSL_
	.p2align	8
	.type	_ZN7rocprim17ROCPRIM_400000_NS6detail17trampoline_kernelINS0_14default_configENS1_35radix_sort_onesweep_config_selectorIjN6thrust23THRUST_200600_302600_NS5tupleIffNS6_9null_typeES8_S8_S8_S8_S8_S8_S8_EEEEZNS1_34radix_sort_onesweep_global_offsetsIS3_Lb0ENS6_6detail15normal_iteratorINS6_10device_ptrIjEEEENSD_INSE_IS9_EEEEjNS0_19identity_decomposerEEE10hipError_tT1_T2_PT3_SN_jT4_jjP12ihipStream_tbEUlT_E0_NS1_11comp_targetILNS1_3genE0ELNS1_11target_archE4294967295ELNS1_3gpuE0ELNS1_3repE0EEENS1_52radix_sort_onesweep_histogram_config_static_selectorELNS0_4arch9wavefront6targetE1EEEvSL_,@function
_ZN7rocprim17ROCPRIM_400000_NS6detail17trampoline_kernelINS0_14default_configENS1_35radix_sort_onesweep_config_selectorIjN6thrust23THRUST_200600_302600_NS5tupleIffNS6_9null_typeES8_S8_S8_S8_S8_S8_S8_EEEEZNS1_34radix_sort_onesweep_global_offsetsIS3_Lb0ENS6_6detail15normal_iteratorINS6_10device_ptrIjEEEENSD_INSE_IS9_EEEEjNS0_19identity_decomposerEEE10hipError_tT1_T2_PT3_SN_jT4_jjP12ihipStream_tbEUlT_E0_NS1_11comp_targetILNS1_3genE0ELNS1_11target_archE4294967295ELNS1_3gpuE0ELNS1_3repE0EEENS1_52radix_sort_onesweep_histogram_config_static_selectorELNS0_4arch9wavefront6targetE1EEEvSL_: ; @_ZN7rocprim17ROCPRIM_400000_NS6detail17trampoline_kernelINS0_14default_configENS1_35radix_sort_onesweep_config_selectorIjN6thrust23THRUST_200600_302600_NS5tupleIffNS6_9null_typeES8_S8_S8_S8_S8_S8_S8_EEEEZNS1_34radix_sort_onesweep_global_offsetsIS3_Lb0ENS6_6detail15normal_iteratorINS6_10device_ptrIjEEEENSD_INSE_IS9_EEEEjNS0_19identity_decomposerEEE10hipError_tT1_T2_PT3_SN_jT4_jjP12ihipStream_tbEUlT_E0_NS1_11comp_targetILNS1_3genE0ELNS1_11target_archE4294967295ELNS1_3gpuE0ELNS1_3repE0EEENS1_52radix_sort_onesweep_histogram_config_static_selectorELNS0_4arch9wavefront6targetE1EEEvSL_
; %bb.0:
	.section	.rodata,"a",@progbits
	.p2align	6, 0x0
	.amdhsa_kernel _ZN7rocprim17ROCPRIM_400000_NS6detail17trampoline_kernelINS0_14default_configENS1_35radix_sort_onesweep_config_selectorIjN6thrust23THRUST_200600_302600_NS5tupleIffNS6_9null_typeES8_S8_S8_S8_S8_S8_S8_EEEEZNS1_34radix_sort_onesweep_global_offsetsIS3_Lb0ENS6_6detail15normal_iteratorINS6_10device_ptrIjEEEENSD_INSE_IS9_EEEEjNS0_19identity_decomposerEEE10hipError_tT1_T2_PT3_SN_jT4_jjP12ihipStream_tbEUlT_E0_NS1_11comp_targetILNS1_3genE0ELNS1_11target_archE4294967295ELNS1_3gpuE0ELNS1_3repE0EEENS1_52radix_sort_onesweep_histogram_config_static_selectorELNS0_4arch9wavefront6targetE1EEEvSL_
		.amdhsa_group_segment_fixed_size 0
		.amdhsa_private_segment_fixed_size 0
		.amdhsa_kernarg_size 8
		.amdhsa_user_sgpr_count 6
		.amdhsa_user_sgpr_private_segment_buffer 1
		.amdhsa_user_sgpr_dispatch_ptr 0
		.amdhsa_user_sgpr_queue_ptr 0
		.amdhsa_user_sgpr_kernarg_segment_ptr 1
		.amdhsa_user_sgpr_dispatch_id 0
		.amdhsa_user_sgpr_flat_scratch_init 0
		.amdhsa_user_sgpr_kernarg_preload_length 0
		.amdhsa_user_sgpr_kernarg_preload_offset 0
		.amdhsa_user_sgpr_private_segment_size 0
		.amdhsa_uses_dynamic_stack 0
		.amdhsa_system_sgpr_private_segment_wavefront_offset 0
		.amdhsa_system_sgpr_workgroup_id_x 1
		.amdhsa_system_sgpr_workgroup_id_y 0
		.amdhsa_system_sgpr_workgroup_id_z 0
		.amdhsa_system_sgpr_workgroup_info 0
		.amdhsa_system_vgpr_workitem_id 0
		.amdhsa_next_free_vgpr 1
		.amdhsa_next_free_sgpr 0
		.amdhsa_accum_offset 4
		.amdhsa_reserve_vcc 0
		.amdhsa_reserve_flat_scratch 0
		.amdhsa_float_round_mode_32 0
		.amdhsa_float_round_mode_16_64 0
		.amdhsa_float_denorm_mode_32 3
		.amdhsa_float_denorm_mode_16_64 3
		.amdhsa_dx10_clamp 1
		.amdhsa_ieee_mode 1
		.amdhsa_fp16_overflow 0
		.amdhsa_tg_split 0
		.amdhsa_exception_fp_ieee_invalid_op 0
		.amdhsa_exception_fp_denorm_src 0
		.amdhsa_exception_fp_ieee_div_zero 0
		.amdhsa_exception_fp_ieee_overflow 0
		.amdhsa_exception_fp_ieee_underflow 0
		.amdhsa_exception_fp_ieee_inexact 0
		.amdhsa_exception_int_div_zero 0
	.end_amdhsa_kernel
	.section	.text._ZN7rocprim17ROCPRIM_400000_NS6detail17trampoline_kernelINS0_14default_configENS1_35radix_sort_onesweep_config_selectorIjN6thrust23THRUST_200600_302600_NS5tupleIffNS6_9null_typeES8_S8_S8_S8_S8_S8_S8_EEEEZNS1_34radix_sort_onesweep_global_offsetsIS3_Lb0ENS6_6detail15normal_iteratorINS6_10device_ptrIjEEEENSD_INSE_IS9_EEEEjNS0_19identity_decomposerEEE10hipError_tT1_T2_PT3_SN_jT4_jjP12ihipStream_tbEUlT_E0_NS1_11comp_targetILNS1_3genE0ELNS1_11target_archE4294967295ELNS1_3gpuE0ELNS1_3repE0EEENS1_52radix_sort_onesweep_histogram_config_static_selectorELNS0_4arch9wavefront6targetE1EEEvSL_,"axG",@progbits,_ZN7rocprim17ROCPRIM_400000_NS6detail17trampoline_kernelINS0_14default_configENS1_35radix_sort_onesweep_config_selectorIjN6thrust23THRUST_200600_302600_NS5tupleIffNS6_9null_typeES8_S8_S8_S8_S8_S8_S8_EEEEZNS1_34radix_sort_onesweep_global_offsetsIS3_Lb0ENS6_6detail15normal_iteratorINS6_10device_ptrIjEEEENSD_INSE_IS9_EEEEjNS0_19identity_decomposerEEE10hipError_tT1_T2_PT3_SN_jT4_jjP12ihipStream_tbEUlT_E0_NS1_11comp_targetILNS1_3genE0ELNS1_11target_archE4294967295ELNS1_3gpuE0ELNS1_3repE0EEENS1_52radix_sort_onesweep_histogram_config_static_selectorELNS0_4arch9wavefront6targetE1EEEvSL_,comdat
.Lfunc_end148:
	.size	_ZN7rocprim17ROCPRIM_400000_NS6detail17trampoline_kernelINS0_14default_configENS1_35radix_sort_onesweep_config_selectorIjN6thrust23THRUST_200600_302600_NS5tupleIffNS6_9null_typeES8_S8_S8_S8_S8_S8_S8_EEEEZNS1_34radix_sort_onesweep_global_offsetsIS3_Lb0ENS6_6detail15normal_iteratorINS6_10device_ptrIjEEEENSD_INSE_IS9_EEEEjNS0_19identity_decomposerEEE10hipError_tT1_T2_PT3_SN_jT4_jjP12ihipStream_tbEUlT_E0_NS1_11comp_targetILNS1_3genE0ELNS1_11target_archE4294967295ELNS1_3gpuE0ELNS1_3repE0EEENS1_52radix_sort_onesweep_histogram_config_static_selectorELNS0_4arch9wavefront6targetE1EEEvSL_, .Lfunc_end148-_ZN7rocprim17ROCPRIM_400000_NS6detail17trampoline_kernelINS0_14default_configENS1_35radix_sort_onesweep_config_selectorIjN6thrust23THRUST_200600_302600_NS5tupleIffNS6_9null_typeES8_S8_S8_S8_S8_S8_S8_EEEEZNS1_34radix_sort_onesweep_global_offsetsIS3_Lb0ENS6_6detail15normal_iteratorINS6_10device_ptrIjEEEENSD_INSE_IS9_EEEEjNS0_19identity_decomposerEEE10hipError_tT1_T2_PT3_SN_jT4_jjP12ihipStream_tbEUlT_E0_NS1_11comp_targetILNS1_3genE0ELNS1_11target_archE4294967295ELNS1_3gpuE0ELNS1_3repE0EEENS1_52radix_sort_onesweep_histogram_config_static_selectorELNS0_4arch9wavefront6targetE1EEEvSL_
                                        ; -- End function
	.section	.AMDGPU.csdata,"",@progbits
; Kernel info:
; codeLenInByte = 0
; NumSgprs: 4
; NumVgprs: 0
; NumAgprs: 0
; TotalNumVgprs: 0
; ScratchSize: 0
; MemoryBound: 0
; FloatMode: 240
; IeeeMode: 1
; LDSByteSize: 0 bytes/workgroup (compile time only)
; SGPRBlocks: 0
; VGPRBlocks: 0
; NumSGPRsForWavesPerEU: 4
; NumVGPRsForWavesPerEU: 1
; AccumOffset: 4
; Occupancy: 8
; WaveLimiterHint : 0
; COMPUTE_PGM_RSRC2:SCRATCH_EN: 0
; COMPUTE_PGM_RSRC2:USER_SGPR: 6
; COMPUTE_PGM_RSRC2:TRAP_HANDLER: 0
; COMPUTE_PGM_RSRC2:TGID_X_EN: 1
; COMPUTE_PGM_RSRC2:TGID_Y_EN: 0
; COMPUTE_PGM_RSRC2:TGID_Z_EN: 0
; COMPUTE_PGM_RSRC2:TIDIG_COMP_CNT: 0
; COMPUTE_PGM_RSRC3_GFX90A:ACCUM_OFFSET: 0
; COMPUTE_PGM_RSRC3_GFX90A:TG_SPLIT: 0
	.section	.text._ZN7rocprim17ROCPRIM_400000_NS6detail17trampoline_kernelINS0_14default_configENS1_35radix_sort_onesweep_config_selectorIjN6thrust23THRUST_200600_302600_NS5tupleIffNS6_9null_typeES8_S8_S8_S8_S8_S8_S8_EEEEZNS1_34radix_sort_onesweep_global_offsetsIS3_Lb0ENS6_6detail15normal_iteratorINS6_10device_ptrIjEEEENSD_INSE_IS9_EEEEjNS0_19identity_decomposerEEE10hipError_tT1_T2_PT3_SN_jT4_jjP12ihipStream_tbEUlT_E0_NS1_11comp_targetILNS1_3genE6ELNS1_11target_archE950ELNS1_3gpuE13ELNS1_3repE0EEENS1_52radix_sort_onesweep_histogram_config_static_selectorELNS0_4arch9wavefront6targetE1EEEvSL_,"axG",@progbits,_ZN7rocprim17ROCPRIM_400000_NS6detail17trampoline_kernelINS0_14default_configENS1_35radix_sort_onesweep_config_selectorIjN6thrust23THRUST_200600_302600_NS5tupleIffNS6_9null_typeES8_S8_S8_S8_S8_S8_S8_EEEEZNS1_34radix_sort_onesweep_global_offsetsIS3_Lb0ENS6_6detail15normal_iteratorINS6_10device_ptrIjEEEENSD_INSE_IS9_EEEEjNS0_19identity_decomposerEEE10hipError_tT1_T2_PT3_SN_jT4_jjP12ihipStream_tbEUlT_E0_NS1_11comp_targetILNS1_3genE6ELNS1_11target_archE950ELNS1_3gpuE13ELNS1_3repE0EEENS1_52radix_sort_onesweep_histogram_config_static_selectorELNS0_4arch9wavefront6targetE1EEEvSL_,comdat
	.protected	_ZN7rocprim17ROCPRIM_400000_NS6detail17trampoline_kernelINS0_14default_configENS1_35radix_sort_onesweep_config_selectorIjN6thrust23THRUST_200600_302600_NS5tupleIffNS6_9null_typeES8_S8_S8_S8_S8_S8_S8_EEEEZNS1_34radix_sort_onesweep_global_offsetsIS3_Lb0ENS6_6detail15normal_iteratorINS6_10device_ptrIjEEEENSD_INSE_IS9_EEEEjNS0_19identity_decomposerEEE10hipError_tT1_T2_PT3_SN_jT4_jjP12ihipStream_tbEUlT_E0_NS1_11comp_targetILNS1_3genE6ELNS1_11target_archE950ELNS1_3gpuE13ELNS1_3repE0EEENS1_52radix_sort_onesweep_histogram_config_static_selectorELNS0_4arch9wavefront6targetE1EEEvSL_ ; -- Begin function _ZN7rocprim17ROCPRIM_400000_NS6detail17trampoline_kernelINS0_14default_configENS1_35radix_sort_onesweep_config_selectorIjN6thrust23THRUST_200600_302600_NS5tupleIffNS6_9null_typeES8_S8_S8_S8_S8_S8_S8_EEEEZNS1_34radix_sort_onesweep_global_offsetsIS3_Lb0ENS6_6detail15normal_iteratorINS6_10device_ptrIjEEEENSD_INSE_IS9_EEEEjNS0_19identity_decomposerEEE10hipError_tT1_T2_PT3_SN_jT4_jjP12ihipStream_tbEUlT_E0_NS1_11comp_targetILNS1_3genE6ELNS1_11target_archE950ELNS1_3gpuE13ELNS1_3repE0EEENS1_52radix_sort_onesweep_histogram_config_static_selectorELNS0_4arch9wavefront6targetE1EEEvSL_
	.globl	_ZN7rocprim17ROCPRIM_400000_NS6detail17trampoline_kernelINS0_14default_configENS1_35radix_sort_onesweep_config_selectorIjN6thrust23THRUST_200600_302600_NS5tupleIffNS6_9null_typeES8_S8_S8_S8_S8_S8_S8_EEEEZNS1_34radix_sort_onesweep_global_offsetsIS3_Lb0ENS6_6detail15normal_iteratorINS6_10device_ptrIjEEEENSD_INSE_IS9_EEEEjNS0_19identity_decomposerEEE10hipError_tT1_T2_PT3_SN_jT4_jjP12ihipStream_tbEUlT_E0_NS1_11comp_targetILNS1_3genE6ELNS1_11target_archE950ELNS1_3gpuE13ELNS1_3repE0EEENS1_52radix_sort_onesweep_histogram_config_static_selectorELNS0_4arch9wavefront6targetE1EEEvSL_
	.p2align	8
	.type	_ZN7rocprim17ROCPRIM_400000_NS6detail17trampoline_kernelINS0_14default_configENS1_35radix_sort_onesweep_config_selectorIjN6thrust23THRUST_200600_302600_NS5tupleIffNS6_9null_typeES8_S8_S8_S8_S8_S8_S8_EEEEZNS1_34radix_sort_onesweep_global_offsetsIS3_Lb0ENS6_6detail15normal_iteratorINS6_10device_ptrIjEEEENSD_INSE_IS9_EEEEjNS0_19identity_decomposerEEE10hipError_tT1_T2_PT3_SN_jT4_jjP12ihipStream_tbEUlT_E0_NS1_11comp_targetILNS1_3genE6ELNS1_11target_archE950ELNS1_3gpuE13ELNS1_3repE0EEENS1_52radix_sort_onesweep_histogram_config_static_selectorELNS0_4arch9wavefront6targetE1EEEvSL_,@function
_ZN7rocprim17ROCPRIM_400000_NS6detail17trampoline_kernelINS0_14default_configENS1_35radix_sort_onesweep_config_selectorIjN6thrust23THRUST_200600_302600_NS5tupleIffNS6_9null_typeES8_S8_S8_S8_S8_S8_S8_EEEEZNS1_34radix_sort_onesweep_global_offsetsIS3_Lb0ENS6_6detail15normal_iteratorINS6_10device_ptrIjEEEENSD_INSE_IS9_EEEEjNS0_19identity_decomposerEEE10hipError_tT1_T2_PT3_SN_jT4_jjP12ihipStream_tbEUlT_E0_NS1_11comp_targetILNS1_3genE6ELNS1_11target_archE950ELNS1_3gpuE13ELNS1_3repE0EEENS1_52radix_sort_onesweep_histogram_config_static_selectorELNS0_4arch9wavefront6targetE1EEEvSL_: ; @_ZN7rocprim17ROCPRIM_400000_NS6detail17trampoline_kernelINS0_14default_configENS1_35radix_sort_onesweep_config_selectorIjN6thrust23THRUST_200600_302600_NS5tupleIffNS6_9null_typeES8_S8_S8_S8_S8_S8_S8_EEEEZNS1_34radix_sort_onesweep_global_offsetsIS3_Lb0ENS6_6detail15normal_iteratorINS6_10device_ptrIjEEEENSD_INSE_IS9_EEEEjNS0_19identity_decomposerEEE10hipError_tT1_T2_PT3_SN_jT4_jjP12ihipStream_tbEUlT_E0_NS1_11comp_targetILNS1_3genE6ELNS1_11target_archE950ELNS1_3gpuE13ELNS1_3repE0EEENS1_52radix_sort_onesweep_histogram_config_static_selectorELNS0_4arch9wavefront6targetE1EEEvSL_
; %bb.0:
	.section	.rodata,"a",@progbits
	.p2align	6, 0x0
	.amdhsa_kernel _ZN7rocprim17ROCPRIM_400000_NS6detail17trampoline_kernelINS0_14default_configENS1_35radix_sort_onesweep_config_selectorIjN6thrust23THRUST_200600_302600_NS5tupleIffNS6_9null_typeES8_S8_S8_S8_S8_S8_S8_EEEEZNS1_34radix_sort_onesweep_global_offsetsIS3_Lb0ENS6_6detail15normal_iteratorINS6_10device_ptrIjEEEENSD_INSE_IS9_EEEEjNS0_19identity_decomposerEEE10hipError_tT1_T2_PT3_SN_jT4_jjP12ihipStream_tbEUlT_E0_NS1_11comp_targetILNS1_3genE6ELNS1_11target_archE950ELNS1_3gpuE13ELNS1_3repE0EEENS1_52radix_sort_onesweep_histogram_config_static_selectorELNS0_4arch9wavefront6targetE1EEEvSL_
		.amdhsa_group_segment_fixed_size 0
		.amdhsa_private_segment_fixed_size 0
		.amdhsa_kernarg_size 8
		.amdhsa_user_sgpr_count 6
		.amdhsa_user_sgpr_private_segment_buffer 1
		.amdhsa_user_sgpr_dispatch_ptr 0
		.amdhsa_user_sgpr_queue_ptr 0
		.amdhsa_user_sgpr_kernarg_segment_ptr 1
		.amdhsa_user_sgpr_dispatch_id 0
		.amdhsa_user_sgpr_flat_scratch_init 0
		.amdhsa_user_sgpr_kernarg_preload_length 0
		.amdhsa_user_sgpr_kernarg_preload_offset 0
		.amdhsa_user_sgpr_private_segment_size 0
		.amdhsa_uses_dynamic_stack 0
		.amdhsa_system_sgpr_private_segment_wavefront_offset 0
		.amdhsa_system_sgpr_workgroup_id_x 1
		.amdhsa_system_sgpr_workgroup_id_y 0
		.amdhsa_system_sgpr_workgroup_id_z 0
		.amdhsa_system_sgpr_workgroup_info 0
		.amdhsa_system_vgpr_workitem_id 0
		.amdhsa_next_free_vgpr 1
		.amdhsa_next_free_sgpr 0
		.amdhsa_accum_offset 4
		.amdhsa_reserve_vcc 0
		.amdhsa_reserve_flat_scratch 0
		.amdhsa_float_round_mode_32 0
		.amdhsa_float_round_mode_16_64 0
		.amdhsa_float_denorm_mode_32 3
		.amdhsa_float_denorm_mode_16_64 3
		.amdhsa_dx10_clamp 1
		.amdhsa_ieee_mode 1
		.amdhsa_fp16_overflow 0
		.amdhsa_tg_split 0
		.amdhsa_exception_fp_ieee_invalid_op 0
		.amdhsa_exception_fp_denorm_src 0
		.amdhsa_exception_fp_ieee_div_zero 0
		.amdhsa_exception_fp_ieee_overflow 0
		.amdhsa_exception_fp_ieee_underflow 0
		.amdhsa_exception_fp_ieee_inexact 0
		.amdhsa_exception_int_div_zero 0
	.end_amdhsa_kernel
	.section	.text._ZN7rocprim17ROCPRIM_400000_NS6detail17trampoline_kernelINS0_14default_configENS1_35radix_sort_onesweep_config_selectorIjN6thrust23THRUST_200600_302600_NS5tupleIffNS6_9null_typeES8_S8_S8_S8_S8_S8_S8_EEEEZNS1_34radix_sort_onesweep_global_offsetsIS3_Lb0ENS6_6detail15normal_iteratorINS6_10device_ptrIjEEEENSD_INSE_IS9_EEEEjNS0_19identity_decomposerEEE10hipError_tT1_T2_PT3_SN_jT4_jjP12ihipStream_tbEUlT_E0_NS1_11comp_targetILNS1_3genE6ELNS1_11target_archE950ELNS1_3gpuE13ELNS1_3repE0EEENS1_52radix_sort_onesweep_histogram_config_static_selectorELNS0_4arch9wavefront6targetE1EEEvSL_,"axG",@progbits,_ZN7rocprim17ROCPRIM_400000_NS6detail17trampoline_kernelINS0_14default_configENS1_35radix_sort_onesweep_config_selectorIjN6thrust23THRUST_200600_302600_NS5tupleIffNS6_9null_typeES8_S8_S8_S8_S8_S8_S8_EEEEZNS1_34radix_sort_onesweep_global_offsetsIS3_Lb0ENS6_6detail15normal_iteratorINS6_10device_ptrIjEEEENSD_INSE_IS9_EEEEjNS0_19identity_decomposerEEE10hipError_tT1_T2_PT3_SN_jT4_jjP12ihipStream_tbEUlT_E0_NS1_11comp_targetILNS1_3genE6ELNS1_11target_archE950ELNS1_3gpuE13ELNS1_3repE0EEENS1_52radix_sort_onesweep_histogram_config_static_selectorELNS0_4arch9wavefront6targetE1EEEvSL_,comdat
.Lfunc_end149:
	.size	_ZN7rocprim17ROCPRIM_400000_NS6detail17trampoline_kernelINS0_14default_configENS1_35radix_sort_onesweep_config_selectorIjN6thrust23THRUST_200600_302600_NS5tupleIffNS6_9null_typeES8_S8_S8_S8_S8_S8_S8_EEEEZNS1_34radix_sort_onesweep_global_offsetsIS3_Lb0ENS6_6detail15normal_iteratorINS6_10device_ptrIjEEEENSD_INSE_IS9_EEEEjNS0_19identity_decomposerEEE10hipError_tT1_T2_PT3_SN_jT4_jjP12ihipStream_tbEUlT_E0_NS1_11comp_targetILNS1_3genE6ELNS1_11target_archE950ELNS1_3gpuE13ELNS1_3repE0EEENS1_52radix_sort_onesweep_histogram_config_static_selectorELNS0_4arch9wavefront6targetE1EEEvSL_, .Lfunc_end149-_ZN7rocprim17ROCPRIM_400000_NS6detail17trampoline_kernelINS0_14default_configENS1_35radix_sort_onesweep_config_selectorIjN6thrust23THRUST_200600_302600_NS5tupleIffNS6_9null_typeES8_S8_S8_S8_S8_S8_S8_EEEEZNS1_34radix_sort_onesweep_global_offsetsIS3_Lb0ENS6_6detail15normal_iteratorINS6_10device_ptrIjEEEENSD_INSE_IS9_EEEEjNS0_19identity_decomposerEEE10hipError_tT1_T2_PT3_SN_jT4_jjP12ihipStream_tbEUlT_E0_NS1_11comp_targetILNS1_3genE6ELNS1_11target_archE950ELNS1_3gpuE13ELNS1_3repE0EEENS1_52radix_sort_onesweep_histogram_config_static_selectorELNS0_4arch9wavefront6targetE1EEEvSL_
                                        ; -- End function
	.section	.AMDGPU.csdata,"",@progbits
; Kernel info:
; codeLenInByte = 0
; NumSgprs: 4
; NumVgprs: 0
; NumAgprs: 0
; TotalNumVgprs: 0
; ScratchSize: 0
; MemoryBound: 0
; FloatMode: 240
; IeeeMode: 1
; LDSByteSize: 0 bytes/workgroup (compile time only)
; SGPRBlocks: 0
; VGPRBlocks: 0
; NumSGPRsForWavesPerEU: 4
; NumVGPRsForWavesPerEU: 1
; AccumOffset: 4
; Occupancy: 8
; WaveLimiterHint : 0
; COMPUTE_PGM_RSRC2:SCRATCH_EN: 0
; COMPUTE_PGM_RSRC2:USER_SGPR: 6
; COMPUTE_PGM_RSRC2:TRAP_HANDLER: 0
; COMPUTE_PGM_RSRC2:TGID_X_EN: 1
; COMPUTE_PGM_RSRC2:TGID_Y_EN: 0
; COMPUTE_PGM_RSRC2:TGID_Z_EN: 0
; COMPUTE_PGM_RSRC2:TIDIG_COMP_CNT: 0
; COMPUTE_PGM_RSRC3_GFX90A:ACCUM_OFFSET: 0
; COMPUTE_PGM_RSRC3_GFX90A:TG_SPLIT: 0
	.section	.text._ZN7rocprim17ROCPRIM_400000_NS6detail17trampoline_kernelINS0_14default_configENS1_35radix_sort_onesweep_config_selectorIjN6thrust23THRUST_200600_302600_NS5tupleIffNS6_9null_typeES8_S8_S8_S8_S8_S8_S8_EEEEZNS1_34radix_sort_onesweep_global_offsetsIS3_Lb0ENS6_6detail15normal_iteratorINS6_10device_ptrIjEEEENSD_INSE_IS9_EEEEjNS0_19identity_decomposerEEE10hipError_tT1_T2_PT3_SN_jT4_jjP12ihipStream_tbEUlT_E0_NS1_11comp_targetILNS1_3genE5ELNS1_11target_archE942ELNS1_3gpuE9ELNS1_3repE0EEENS1_52radix_sort_onesweep_histogram_config_static_selectorELNS0_4arch9wavefront6targetE1EEEvSL_,"axG",@progbits,_ZN7rocprim17ROCPRIM_400000_NS6detail17trampoline_kernelINS0_14default_configENS1_35radix_sort_onesweep_config_selectorIjN6thrust23THRUST_200600_302600_NS5tupleIffNS6_9null_typeES8_S8_S8_S8_S8_S8_S8_EEEEZNS1_34radix_sort_onesweep_global_offsetsIS3_Lb0ENS6_6detail15normal_iteratorINS6_10device_ptrIjEEEENSD_INSE_IS9_EEEEjNS0_19identity_decomposerEEE10hipError_tT1_T2_PT3_SN_jT4_jjP12ihipStream_tbEUlT_E0_NS1_11comp_targetILNS1_3genE5ELNS1_11target_archE942ELNS1_3gpuE9ELNS1_3repE0EEENS1_52radix_sort_onesweep_histogram_config_static_selectorELNS0_4arch9wavefront6targetE1EEEvSL_,comdat
	.protected	_ZN7rocprim17ROCPRIM_400000_NS6detail17trampoline_kernelINS0_14default_configENS1_35radix_sort_onesweep_config_selectorIjN6thrust23THRUST_200600_302600_NS5tupleIffNS6_9null_typeES8_S8_S8_S8_S8_S8_S8_EEEEZNS1_34radix_sort_onesweep_global_offsetsIS3_Lb0ENS6_6detail15normal_iteratorINS6_10device_ptrIjEEEENSD_INSE_IS9_EEEEjNS0_19identity_decomposerEEE10hipError_tT1_T2_PT3_SN_jT4_jjP12ihipStream_tbEUlT_E0_NS1_11comp_targetILNS1_3genE5ELNS1_11target_archE942ELNS1_3gpuE9ELNS1_3repE0EEENS1_52radix_sort_onesweep_histogram_config_static_selectorELNS0_4arch9wavefront6targetE1EEEvSL_ ; -- Begin function _ZN7rocprim17ROCPRIM_400000_NS6detail17trampoline_kernelINS0_14default_configENS1_35radix_sort_onesweep_config_selectorIjN6thrust23THRUST_200600_302600_NS5tupleIffNS6_9null_typeES8_S8_S8_S8_S8_S8_S8_EEEEZNS1_34radix_sort_onesweep_global_offsetsIS3_Lb0ENS6_6detail15normal_iteratorINS6_10device_ptrIjEEEENSD_INSE_IS9_EEEEjNS0_19identity_decomposerEEE10hipError_tT1_T2_PT3_SN_jT4_jjP12ihipStream_tbEUlT_E0_NS1_11comp_targetILNS1_3genE5ELNS1_11target_archE942ELNS1_3gpuE9ELNS1_3repE0EEENS1_52radix_sort_onesweep_histogram_config_static_selectorELNS0_4arch9wavefront6targetE1EEEvSL_
	.globl	_ZN7rocprim17ROCPRIM_400000_NS6detail17trampoline_kernelINS0_14default_configENS1_35radix_sort_onesweep_config_selectorIjN6thrust23THRUST_200600_302600_NS5tupleIffNS6_9null_typeES8_S8_S8_S8_S8_S8_S8_EEEEZNS1_34radix_sort_onesweep_global_offsetsIS3_Lb0ENS6_6detail15normal_iteratorINS6_10device_ptrIjEEEENSD_INSE_IS9_EEEEjNS0_19identity_decomposerEEE10hipError_tT1_T2_PT3_SN_jT4_jjP12ihipStream_tbEUlT_E0_NS1_11comp_targetILNS1_3genE5ELNS1_11target_archE942ELNS1_3gpuE9ELNS1_3repE0EEENS1_52radix_sort_onesweep_histogram_config_static_selectorELNS0_4arch9wavefront6targetE1EEEvSL_
	.p2align	8
	.type	_ZN7rocprim17ROCPRIM_400000_NS6detail17trampoline_kernelINS0_14default_configENS1_35radix_sort_onesweep_config_selectorIjN6thrust23THRUST_200600_302600_NS5tupleIffNS6_9null_typeES8_S8_S8_S8_S8_S8_S8_EEEEZNS1_34radix_sort_onesweep_global_offsetsIS3_Lb0ENS6_6detail15normal_iteratorINS6_10device_ptrIjEEEENSD_INSE_IS9_EEEEjNS0_19identity_decomposerEEE10hipError_tT1_T2_PT3_SN_jT4_jjP12ihipStream_tbEUlT_E0_NS1_11comp_targetILNS1_3genE5ELNS1_11target_archE942ELNS1_3gpuE9ELNS1_3repE0EEENS1_52radix_sort_onesweep_histogram_config_static_selectorELNS0_4arch9wavefront6targetE1EEEvSL_,@function
_ZN7rocprim17ROCPRIM_400000_NS6detail17trampoline_kernelINS0_14default_configENS1_35radix_sort_onesweep_config_selectorIjN6thrust23THRUST_200600_302600_NS5tupleIffNS6_9null_typeES8_S8_S8_S8_S8_S8_S8_EEEEZNS1_34radix_sort_onesweep_global_offsetsIS3_Lb0ENS6_6detail15normal_iteratorINS6_10device_ptrIjEEEENSD_INSE_IS9_EEEEjNS0_19identity_decomposerEEE10hipError_tT1_T2_PT3_SN_jT4_jjP12ihipStream_tbEUlT_E0_NS1_11comp_targetILNS1_3genE5ELNS1_11target_archE942ELNS1_3gpuE9ELNS1_3repE0EEENS1_52radix_sort_onesweep_histogram_config_static_selectorELNS0_4arch9wavefront6targetE1EEEvSL_: ; @_ZN7rocprim17ROCPRIM_400000_NS6detail17trampoline_kernelINS0_14default_configENS1_35radix_sort_onesweep_config_selectorIjN6thrust23THRUST_200600_302600_NS5tupleIffNS6_9null_typeES8_S8_S8_S8_S8_S8_S8_EEEEZNS1_34radix_sort_onesweep_global_offsetsIS3_Lb0ENS6_6detail15normal_iteratorINS6_10device_ptrIjEEEENSD_INSE_IS9_EEEEjNS0_19identity_decomposerEEE10hipError_tT1_T2_PT3_SN_jT4_jjP12ihipStream_tbEUlT_E0_NS1_11comp_targetILNS1_3genE5ELNS1_11target_archE942ELNS1_3gpuE9ELNS1_3repE0EEENS1_52radix_sort_onesweep_histogram_config_static_selectorELNS0_4arch9wavefront6targetE1EEEvSL_
; %bb.0:
	.section	.rodata,"a",@progbits
	.p2align	6, 0x0
	.amdhsa_kernel _ZN7rocprim17ROCPRIM_400000_NS6detail17trampoline_kernelINS0_14default_configENS1_35radix_sort_onesweep_config_selectorIjN6thrust23THRUST_200600_302600_NS5tupleIffNS6_9null_typeES8_S8_S8_S8_S8_S8_S8_EEEEZNS1_34radix_sort_onesweep_global_offsetsIS3_Lb0ENS6_6detail15normal_iteratorINS6_10device_ptrIjEEEENSD_INSE_IS9_EEEEjNS0_19identity_decomposerEEE10hipError_tT1_T2_PT3_SN_jT4_jjP12ihipStream_tbEUlT_E0_NS1_11comp_targetILNS1_3genE5ELNS1_11target_archE942ELNS1_3gpuE9ELNS1_3repE0EEENS1_52radix_sort_onesweep_histogram_config_static_selectorELNS0_4arch9wavefront6targetE1EEEvSL_
		.amdhsa_group_segment_fixed_size 0
		.amdhsa_private_segment_fixed_size 0
		.amdhsa_kernarg_size 8
		.amdhsa_user_sgpr_count 6
		.amdhsa_user_sgpr_private_segment_buffer 1
		.amdhsa_user_sgpr_dispatch_ptr 0
		.amdhsa_user_sgpr_queue_ptr 0
		.amdhsa_user_sgpr_kernarg_segment_ptr 1
		.amdhsa_user_sgpr_dispatch_id 0
		.amdhsa_user_sgpr_flat_scratch_init 0
		.amdhsa_user_sgpr_kernarg_preload_length 0
		.amdhsa_user_sgpr_kernarg_preload_offset 0
		.amdhsa_user_sgpr_private_segment_size 0
		.amdhsa_uses_dynamic_stack 0
		.amdhsa_system_sgpr_private_segment_wavefront_offset 0
		.amdhsa_system_sgpr_workgroup_id_x 1
		.amdhsa_system_sgpr_workgroup_id_y 0
		.amdhsa_system_sgpr_workgroup_id_z 0
		.amdhsa_system_sgpr_workgroup_info 0
		.amdhsa_system_vgpr_workitem_id 0
		.amdhsa_next_free_vgpr 1
		.amdhsa_next_free_sgpr 0
		.amdhsa_accum_offset 4
		.amdhsa_reserve_vcc 0
		.amdhsa_reserve_flat_scratch 0
		.amdhsa_float_round_mode_32 0
		.amdhsa_float_round_mode_16_64 0
		.amdhsa_float_denorm_mode_32 3
		.amdhsa_float_denorm_mode_16_64 3
		.amdhsa_dx10_clamp 1
		.amdhsa_ieee_mode 1
		.amdhsa_fp16_overflow 0
		.amdhsa_tg_split 0
		.amdhsa_exception_fp_ieee_invalid_op 0
		.amdhsa_exception_fp_denorm_src 0
		.amdhsa_exception_fp_ieee_div_zero 0
		.amdhsa_exception_fp_ieee_overflow 0
		.amdhsa_exception_fp_ieee_underflow 0
		.amdhsa_exception_fp_ieee_inexact 0
		.amdhsa_exception_int_div_zero 0
	.end_amdhsa_kernel
	.section	.text._ZN7rocprim17ROCPRIM_400000_NS6detail17trampoline_kernelINS0_14default_configENS1_35radix_sort_onesweep_config_selectorIjN6thrust23THRUST_200600_302600_NS5tupleIffNS6_9null_typeES8_S8_S8_S8_S8_S8_S8_EEEEZNS1_34radix_sort_onesweep_global_offsetsIS3_Lb0ENS6_6detail15normal_iteratorINS6_10device_ptrIjEEEENSD_INSE_IS9_EEEEjNS0_19identity_decomposerEEE10hipError_tT1_T2_PT3_SN_jT4_jjP12ihipStream_tbEUlT_E0_NS1_11comp_targetILNS1_3genE5ELNS1_11target_archE942ELNS1_3gpuE9ELNS1_3repE0EEENS1_52radix_sort_onesweep_histogram_config_static_selectorELNS0_4arch9wavefront6targetE1EEEvSL_,"axG",@progbits,_ZN7rocprim17ROCPRIM_400000_NS6detail17trampoline_kernelINS0_14default_configENS1_35radix_sort_onesweep_config_selectorIjN6thrust23THRUST_200600_302600_NS5tupleIffNS6_9null_typeES8_S8_S8_S8_S8_S8_S8_EEEEZNS1_34radix_sort_onesweep_global_offsetsIS3_Lb0ENS6_6detail15normal_iteratorINS6_10device_ptrIjEEEENSD_INSE_IS9_EEEEjNS0_19identity_decomposerEEE10hipError_tT1_T2_PT3_SN_jT4_jjP12ihipStream_tbEUlT_E0_NS1_11comp_targetILNS1_3genE5ELNS1_11target_archE942ELNS1_3gpuE9ELNS1_3repE0EEENS1_52radix_sort_onesweep_histogram_config_static_selectorELNS0_4arch9wavefront6targetE1EEEvSL_,comdat
.Lfunc_end150:
	.size	_ZN7rocprim17ROCPRIM_400000_NS6detail17trampoline_kernelINS0_14default_configENS1_35radix_sort_onesweep_config_selectorIjN6thrust23THRUST_200600_302600_NS5tupleIffNS6_9null_typeES8_S8_S8_S8_S8_S8_S8_EEEEZNS1_34radix_sort_onesweep_global_offsetsIS3_Lb0ENS6_6detail15normal_iteratorINS6_10device_ptrIjEEEENSD_INSE_IS9_EEEEjNS0_19identity_decomposerEEE10hipError_tT1_T2_PT3_SN_jT4_jjP12ihipStream_tbEUlT_E0_NS1_11comp_targetILNS1_3genE5ELNS1_11target_archE942ELNS1_3gpuE9ELNS1_3repE0EEENS1_52radix_sort_onesweep_histogram_config_static_selectorELNS0_4arch9wavefront6targetE1EEEvSL_, .Lfunc_end150-_ZN7rocprim17ROCPRIM_400000_NS6detail17trampoline_kernelINS0_14default_configENS1_35radix_sort_onesweep_config_selectorIjN6thrust23THRUST_200600_302600_NS5tupleIffNS6_9null_typeES8_S8_S8_S8_S8_S8_S8_EEEEZNS1_34radix_sort_onesweep_global_offsetsIS3_Lb0ENS6_6detail15normal_iteratorINS6_10device_ptrIjEEEENSD_INSE_IS9_EEEEjNS0_19identity_decomposerEEE10hipError_tT1_T2_PT3_SN_jT4_jjP12ihipStream_tbEUlT_E0_NS1_11comp_targetILNS1_3genE5ELNS1_11target_archE942ELNS1_3gpuE9ELNS1_3repE0EEENS1_52radix_sort_onesweep_histogram_config_static_selectorELNS0_4arch9wavefront6targetE1EEEvSL_
                                        ; -- End function
	.section	.AMDGPU.csdata,"",@progbits
; Kernel info:
; codeLenInByte = 0
; NumSgprs: 4
; NumVgprs: 0
; NumAgprs: 0
; TotalNumVgprs: 0
; ScratchSize: 0
; MemoryBound: 0
; FloatMode: 240
; IeeeMode: 1
; LDSByteSize: 0 bytes/workgroup (compile time only)
; SGPRBlocks: 0
; VGPRBlocks: 0
; NumSGPRsForWavesPerEU: 4
; NumVGPRsForWavesPerEU: 1
; AccumOffset: 4
; Occupancy: 8
; WaveLimiterHint : 0
; COMPUTE_PGM_RSRC2:SCRATCH_EN: 0
; COMPUTE_PGM_RSRC2:USER_SGPR: 6
; COMPUTE_PGM_RSRC2:TRAP_HANDLER: 0
; COMPUTE_PGM_RSRC2:TGID_X_EN: 1
; COMPUTE_PGM_RSRC2:TGID_Y_EN: 0
; COMPUTE_PGM_RSRC2:TGID_Z_EN: 0
; COMPUTE_PGM_RSRC2:TIDIG_COMP_CNT: 0
; COMPUTE_PGM_RSRC3_GFX90A:ACCUM_OFFSET: 0
; COMPUTE_PGM_RSRC3_GFX90A:TG_SPLIT: 0
	.section	.text._ZN7rocprim17ROCPRIM_400000_NS6detail17trampoline_kernelINS0_14default_configENS1_35radix_sort_onesweep_config_selectorIjN6thrust23THRUST_200600_302600_NS5tupleIffNS6_9null_typeES8_S8_S8_S8_S8_S8_S8_EEEEZNS1_34radix_sort_onesweep_global_offsetsIS3_Lb0ENS6_6detail15normal_iteratorINS6_10device_ptrIjEEEENSD_INSE_IS9_EEEEjNS0_19identity_decomposerEEE10hipError_tT1_T2_PT3_SN_jT4_jjP12ihipStream_tbEUlT_E0_NS1_11comp_targetILNS1_3genE2ELNS1_11target_archE906ELNS1_3gpuE6ELNS1_3repE0EEENS1_52radix_sort_onesweep_histogram_config_static_selectorELNS0_4arch9wavefront6targetE1EEEvSL_,"axG",@progbits,_ZN7rocprim17ROCPRIM_400000_NS6detail17trampoline_kernelINS0_14default_configENS1_35radix_sort_onesweep_config_selectorIjN6thrust23THRUST_200600_302600_NS5tupleIffNS6_9null_typeES8_S8_S8_S8_S8_S8_S8_EEEEZNS1_34radix_sort_onesweep_global_offsetsIS3_Lb0ENS6_6detail15normal_iteratorINS6_10device_ptrIjEEEENSD_INSE_IS9_EEEEjNS0_19identity_decomposerEEE10hipError_tT1_T2_PT3_SN_jT4_jjP12ihipStream_tbEUlT_E0_NS1_11comp_targetILNS1_3genE2ELNS1_11target_archE906ELNS1_3gpuE6ELNS1_3repE0EEENS1_52radix_sort_onesweep_histogram_config_static_selectorELNS0_4arch9wavefront6targetE1EEEvSL_,comdat
	.protected	_ZN7rocprim17ROCPRIM_400000_NS6detail17trampoline_kernelINS0_14default_configENS1_35radix_sort_onesweep_config_selectorIjN6thrust23THRUST_200600_302600_NS5tupleIffNS6_9null_typeES8_S8_S8_S8_S8_S8_S8_EEEEZNS1_34radix_sort_onesweep_global_offsetsIS3_Lb0ENS6_6detail15normal_iteratorINS6_10device_ptrIjEEEENSD_INSE_IS9_EEEEjNS0_19identity_decomposerEEE10hipError_tT1_T2_PT3_SN_jT4_jjP12ihipStream_tbEUlT_E0_NS1_11comp_targetILNS1_3genE2ELNS1_11target_archE906ELNS1_3gpuE6ELNS1_3repE0EEENS1_52radix_sort_onesweep_histogram_config_static_selectorELNS0_4arch9wavefront6targetE1EEEvSL_ ; -- Begin function _ZN7rocprim17ROCPRIM_400000_NS6detail17trampoline_kernelINS0_14default_configENS1_35radix_sort_onesweep_config_selectorIjN6thrust23THRUST_200600_302600_NS5tupleIffNS6_9null_typeES8_S8_S8_S8_S8_S8_S8_EEEEZNS1_34radix_sort_onesweep_global_offsetsIS3_Lb0ENS6_6detail15normal_iteratorINS6_10device_ptrIjEEEENSD_INSE_IS9_EEEEjNS0_19identity_decomposerEEE10hipError_tT1_T2_PT3_SN_jT4_jjP12ihipStream_tbEUlT_E0_NS1_11comp_targetILNS1_3genE2ELNS1_11target_archE906ELNS1_3gpuE6ELNS1_3repE0EEENS1_52radix_sort_onesweep_histogram_config_static_selectorELNS0_4arch9wavefront6targetE1EEEvSL_
	.globl	_ZN7rocprim17ROCPRIM_400000_NS6detail17trampoline_kernelINS0_14default_configENS1_35radix_sort_onesweep_config_selectorIjN6thrust23THRUST_200600_302600_NS5tupleIffNS6_9null_typeES8_S8_S8_S8_S8_S8_S8_EEEEZNS1_34radix_sort_onesweep_global_offsetsIS3_Lb0ENS6_6detail15normal_iteratorINS6_10device_ptrIjEEEENSD_INSE_IS9_EEEEjNS0_19identity_decomposerEEE10hipError_tT1_T2_PT3_SN_jT4_jjP12ihipStream_tbEUlT_E0_NS1_11comp_targetILNS1_3genE2ELNS1_11target_archE906ELNS1_3gpuE6ELNS1_3repE0EEENS1_52radix_sort_onesweep_histogram_config_static_selectorELNS0_4arch9wavefront6targetE1EEEvSL_
	.p2align	8
	.type	_ZN7rocprim17ROCPRIM_400000_NS6detail17trampoline_kernelINS0_14default_configENS1_35radix_sort_onesweep_config_selectorIjN6thrust23THRUST_200600_302600_NS5tupleIffNS6_9null_typeES8_S8_S8_S8_S8_S8_S8_EEEEZNS1_34radix_sort_onesweep_global_offsetsIS3_Lb0ENS6_6detail15normal_iteratorINS6_10device_ptrIjEEEENSD_INSE_IS9_EEEEjNS0_19identity_decomposerEEE10hipError_tT1_T2_PT3_SN_jT4_jjP12ihipStream_tbEUlT_E0_NS1_11comp_targetILNS1_3genE2ELNS1_11target_archE906ELNS1_3gpuE6ELNS1_3repE0EEENS1_52radix_sort_onesweep_histogram_config_static_selectorELNS0_4arch9wavefront6targetE1EEEvSL_,@function
_ZN7rocprim17ROCPRIM_400000_NS6detail17trampoline_kernelINS0_14default_configENS1_35radix_sort_onesweep_config_selectorIjN6thrust23THRUST_200600_302600_NS5tupleIffNS6_9null_typeES8_S8_S8_S8_S8_S8_S8_EEEEZNS1_34radix_sort_onesweep_global_offsetsIS3_Lb0ENS6_6detail15normal_iteratorINS6_10device_ptrIjEEEENSD_INSE_IS9_EEEEjNS0_19identity_decomposerEEE10hipError_tT1_T2_PT3_SN_jT4_jjP12ihipStream_tbEUlT_E0_NS1_11comp_targetILNS1_3genE2ELNS1_11target_archE906ELNS1_3gpuE6ELNS1_3repE0EEENS1_52radix_sort_onesweep_histogram_config_static_selectorELNS0_4arch9wavefront6targetE1EEEvSL_: ; @_ZN7rocprim17ROCPRIM_400000_NS6detail17trampoline_kernelINS0_14default_configENS1_35radix_sort_onesweep_config_selectorIjN6thrust23THRUST_200600_302600_NS5tupleIffNS6_9null_typeES8_S8_S8_S8_S8_S8_S8_EEEEZNS1_34radix_sort_onesweep_global_offsetsIS3_Lb0ENS6_6detail15normal_iteratorINS6_10device_ptrIjEEEENSD_INSE_IS9_EEEEjNS0_19identity_decomposerEEE10hipError_tT1_T2_PT3_SN_jT4_jjP12ihipStream_tbEUlT_E0_NS1_11comp_targetILNS1_3genE2ELNS1_11target_archE906ELNS1_3gpuE6ELNS1_3repE0EEENS1_52radix_sort_onesweep_histogram_config_static_selectorELNS0_4arch9wavefront6targetE1EEEvSL_
; %bb.0:
	.section	.rodata,"a",@progbits
	.p2align	6, 0x0
	.amdhsa_kernel _ZN7rocprim17ROCPRIM_400000_NS6detail17trampoline_kernelINS0_14default_configENS1_35radix_sort_onesweep_config_selectorIjN6thrust23THRUST_200600_302600_NS5tupleIffNS6_9null_typeES8_S8_S8_S8_S8_S8_S8_EEEEZNS1_34radix_sort_onesweep_global_offsetsIS3_Lb0ENS6_6detail15normal_iteratorINS6_10device_ptrIjEEEENSD_INSE_IS9_EEEEjNS0_19identity_decomposerEEE10hipError_tT1_T2_PT3_SN_jT4_jjP12ihipStream_tbEUlT_E0_NS1_11comp_targetILNS1_3genE2ELNS1_11target_archE906ELNS1_3gpuE6ELNS1_3repE0EEENS1_52radix_sort_onesweep_histogram_config_static_selectorELNS0_4arch9wavefront6targetE1EEEvSL_
		.amdhsa_group_segment_fixed_size 0
		.amdhsa_private_segment_fixed_size 0
		.amdhsa_kernarg_size 8
		.amdhsa_user_sgpr_count 6
		.amdhsa_user_sgpr_private_segment_buffer 1
		.amdhsa_user_sgpr_dispatch_ptr 0
		.amdhsa_user_sgpr_queue_ptr 0
		.amdhsa_user_sgpr_kernarg_segment_ptr 1
		.amdhsa_user_sgpr_dispatch_id 0
		.amdhsa_user_sgpr_flat_scratch_init 0
		.amdhsa_user_sgpr_kernarg_preload_length 0
		.amdhsa_user_sgpr_kernarg_preload_offset 0
		.amdhsa_user_sgpr_private_segment_size 0
		.amdhsa_uses_dynamic_stack 0
		.amdhsa_system_sgpr_private_segment_wavefront_offset 0
		.amdhsa_system_sgpr_workgroup_id_x 1
		.amdhsa_system_sgpr_workgroup_id_y 0
		.amdhsa_system_sgpr_workgroup_id_z 0
		.amdhsa_system_sgpr_workgroup_info 0
		.amdhsa_system_vgpr_workitem_id 0
		.amdhsa_next_free_vgpr 1
		.amdhsa_next_free_sgpr 0
		.amdhsa_accum_offset 4
		.amdhsa_reserve_vcc 0
		.amdhsa_reserve_flat_scratch 0
		.amdhsa_float_round_mode_32 0
		.amdhsa_float_round_mode_16_64 0
		.amdhsa_float_denorm_mode_32 3
		.amdhsa_float_denorm_mode_16_64 3
		.amdhsa_dx10_clamp 1
		.amdhsa_ieee_mode 1
		.amdhsa_fp16_overflow 0
		.amdhsa_tg_split 0
		.amdhsa_exception_fp_ieee_invalid_op 0
		.amdhsa_exception_fp_denorm_src 0
		.amdhsa_exception_fp_ieee_div_zero 0
		.amdhsa_exception_fp_ieee_overflow 0
		.amdhsa_exception_fp_ieee_underflow 0
		.amdhsa_exception_fp_ieee_inexact 0
		.amdhsa_exception_int_div_zero 0
	.end_amdhsa_kernel
	.section	.text._ZN7rocprim17ROCPRIM_400000_NS6detail17trampoline_kernelINS0_14default_configENS1_35radix_sort_onesweep_config_selectorIjN6thrust23THRUST_200600_302600_NS5tupleIffNS6_9null_typeES8_S8_S8_S8_S8_S8_S8_EEEEZNS1_34radix_sort_onesweep_global_offsetsIS3_Lb0ENS6_6detail15normal_iteratorINS6_10device_ptrIjEEEENSD_INSE_IS9_EEEEjNS0_19identity_decomposerEEE10hipError_tT1_T2_PT3_SN_jT4_jjP12ihipStream_tbEUlT_E0_NS1_11comp_targetILNS1_3genE2ELNS1_11target_archE906ELNS1_3gpuE6ELNS1_3repE0EEENS1_52radix_sort_onesweep_histogram_config_static_selectorELNS0_4arch9wavefront6targetE1EEEvSL_,"axG",@progbits,_ZN7rocprim17ROCPRIM_400000_NS6detail17trampoline_kernelINS0_14default_configENS1_35radix_sort_onesweep_config_selectorIjN6thrust23THRUST_200600_302600_NS5tupleIffNS6_9null_typeES8_S8_S8_S8_S8_S8_S8_EEEEZNS1_34radix_sort_onesweep_global_offsetsIS3_Lb0ENS6_6detail15normal_iteratorINS6_10device_ptrIjEEEENSD_INSE_IS9_EEEEjNS0_19identity_decomposerEEE10hipError_tT1_T2_PT3_SN_jT4_jjP12ihipStream_tbEUlT_E0_NS1_11comp_targetILNS1_3genE2ELNS1_11target_archE906ELNS1_3gpuE6ELNS1_3repE0EEENS1_52radix_sort_onesweep_histogram_config_static_selectorELNS0_4arch9wavefront6targetE1EEEvSL_,comdat
.Lfunc_end151:
	.size	_ZN7rocprim17ROCPRIM_400000_NS6detail17trampoline_kernelINS0_14default_configENS1_35radix_sort_onesweep_config_selectorIjN6thrust23THRUST_200600_302600_NS5tupleIffNS6_9null_typeES8_S8_S8_S8_S8_S8_S8_EEEEZNS1_34radix_sort_onesweep_global_offsetsIS3_Lb0ENS6_6detail15normal_iteratorINS6_10device_ptrIjEEEENSD_INSE_IS9_EEEEjNS0_19identity_decomposerEEE10hipError_tT1_T2_PT3_SN_jT4_jjP12ihipStream_tbEUlT_E0_NS1_11comp_targetILNS1_3genE2ELNS1_11target_archE906ELNS1_3gpuE6ELNS1_3repE0EEENS1_52radix_sort_onesweep_histogram_config_static_selectorELNS0_4arch9wavefront6targetE1EEEvSL_, .Lfunc_end151-_ZN7rocprim17ROCPRIM_400000_NS6detail17trampoline_kernelINS0_14default_configENS1_35radix_sort_onesweep_config_selectorIjN6thrust23THRUST_200600_302600_NS5tupleIffNS6_9null_typeES8_S8_S8_S8_S8_S8_S8_EEEEZNS1_34radix_sort_onesweep_global_offsetsIS3_Lb0ENS6_6detail15normal_iteratorINS6_10device_ptrIjEEEENSD_INSE_IS9_EEEEjNS0_19identity_decomposerEEE10hipError_tT1_T2_PT3_SN_jT4_jjP12ihipStream_tbEUlT_E0_NS1_11comp_targetILNS1_3genE2ELNS1_11target_archE906ELNS1_3gpuE6ELNS1_3repE0EEENS1_52radix_sort_onesweep_histogram_config_static_selectorELNS0_4arch9wavefront6targetE1EEEvSL_
                                        ; -- End function
	.section	.AMDGPU.csdata,"",@progbits
; Kernel info:
; codeLenInByte = 0
; NumSgprs: 4
; NumVgprs: 0
; NumAgprs: 0
; TotalNumVgprs: 0
; ScratchSize: 0
; MemoryBound: 0
; FloatMode: 240
; IeeeMode: 1
; LDSByteSize: 0 bytes/workgroup (compile time only)
; SGPRBlocks: 0
; VGPRBlocks: 0
; NumSGPRsForWavesPerEU: 4
; NumVGPRsForWavesPerEU: 1
; AccumOffset: 4
; Occupancy: 8
; WaveLimiterHint : 0
; COMPUTE_PGM_RSRC2:SCRATCH_EN: 0
; COMPUTE_PGM_RSRC2:USER_SGPR: 6
; COMPUTE_PGM_RSRC2:TRAP_HANDLER: 0
; COMPUTE_PGM_RSRC2:TGID_X_EN: 1
; COMPUTE_PGM_RSRC2:TGID_Y_EN: 0
; COMPUTE_PGM_RSRC2:TGID_Z_EN: 0
; COMPUTE_PGM_RSRC2:TIDIG_COMP_CNT: 0
; COMPUTE_PGM_RSRC3_GFX90A:ACCUM_OFFSET: 0
; COMPUTE_PGM_RSRC3_GFX90A:TG_SPLIT: 0
	.section	.text._ZN7rocprim17ROCPRIM_400000_NS6detail17trampoline_kernelINS0_14default_configENS1_35radix_sort_onesweep_config_selectorIjN6thrust23THRUST_200600_302600_NS5tupleIffNS6_9null_typeES8_S8_S8_S8_S8_S8_S8_EEEEZNS1_34radix_sort_onesweep_global_offsetsIS3_Lb0ENS6_6detail15normal_iteratorINS6_10device_ptrIjEEEENSD_INSE_IS9_EEEEjNS0_19identity_decomposerEEE10hipError_tT1_T2_PT3_SN_jT4_jjP12ihipStream_tbEUlT_E0_NS1_11comp_targetILNS1_3genE4ELNS1_11target_archE910ELNS1_3gpuE8ELNS1_3repE0EEENS1_52radix_sort_onesweep_histogram_config_static_selectorELNS0_4arch9wavefront6targetE1EEEvSL_,"axG",@progbits,_ZN7rocprim17ROCPRIM_400000_NS6detail17trampoline_kernelINS0_14default_configENS1_35radix_sort_onesweep_config_selectorIjN6thrust23THRUST_200600_302600_NS5tupleIffNS6_9null_typeES8_S8_S8_S8_S8_S8_S8_EEEEZNS1_34radix_sort_onesweep_global_offsetsIS3_Lb0ENS6_6detail15normal_iteratorINS6_10device_ptrIjEEEENSD_INSE_IS9_EEEEjNS0_19identity_decomposerEEE10hipError_tT1_T2_PT3_SN_jT4_jjP12ihipStream_tbEUlT_E0_NS1_11comp_targetILNS1_3genE4ELNS1_11target_archE910ELNS1_3gpuE8ELNS1_3repE0EEENS1_52radix_sort_onesweep_histogram_config_static_selectorELNS0_4arch9wavefront6targetE1EEEvSL_,comdat
	.protected	_ZN7rocprim17ROCPRIM_400000_NS6detail17trampoline_kernelINS0_14default_configENS1_35radix_sort_onesweep_config_selectorIjN6thrust23THRUST_200600_302600_NS5tupleIffNS6_9null_typeES8_S8_S8_S8_S8_S8_S8_EEEEZNS1_34radix_sort_onesweep_global_offsetsIS3_Lb0ENS6_6detail15normal_iteratorINS6_10device_ptrIjEEEENSD_INSE_IS9_EEEEjNS0_19identity_decomposerEEE10hipError_tT1_T2_PT3_SN_jT4_jjP12ihipStream_tbEUlT_E0_NS1_11comp_targetILNS1_3genE4ELNS1_11target_archE910ELNS1_3gpuE8ELNS1_3repE0EEENS1_52radix_sort_onesweep_histogram_config_static_selectorELNS0_4arch9wavefront6targetE1EEEvSL_ ; -- Begin function _ZN7rocprim17ROCPRIM_400000_NS6detail17trampoline_kernelINS0_14default_configENS1_35radix_sort_onesweep_config_selectorIjN6thrust23THRUST_200600_302600_NS5tupleIffNS6_9null_typeES8_S8_S8_S8_S8_S8_S8_EEEEZNS1_34radix_sort_onesweep_global_offsetsIS3_Lb0ENS6_6detail15normal_iteratorINS6_10device_ptrIjEEEENSD_INSE_IS9_EEEEjNS0_19identity_decomposerEEE10hipError_tT1_T2_PT3_SN_jT4_jjP12ihipStream_tbEUlT_E0_NS1_11comp_targetILNS1_3genE4ELNS1_11target_archE910ELNS1_3gpuE8ELNS1_3repE0EEENS1_52radix_sort_onesweep_histogram_config_static_selectorELNS0_4arch9wavefront6targetE1EEEvSL_
	.globl	_ZN7rocprim17ROCPRIM_400000_NS6detail17trampoline_kernelINS0_14default_configENS1_35radix_sort_onesweep_config_selectorIjN6thrust23THRUST_200600_302600_NS5tupleIffNS6_9null_typeES8_S8_S8_S8_S8_S8_S8_EEEEZNS1_34radix_sort_onesweep_global_offsetsIS3_Lb0ENS6_6detail15normal_iteratorINS6_10device_ptrIjEEEENSD_INSE_IS9_EEEEjNS0_19identity_decomposerEEE10hipError_tT1_T2_PT3_SN_jT4_jjP12ihipStream_tbEUlT_E0_NS1_11comp_targetILNS1_3genE4ELNS1_11target_archE910ELNS1_3gpuE8ELNS1_3repE0EEENS1_52radix_sort_onesweep_histogram_config_static_selectorELNS0_4arch9wavefront6targetE1EEEvSL_
	.p2align	8
	.type	_ZN7rocprim17ROCPRIM_400000_NS6detail17trampoline_kernelINS0_14default_configENS1_35radix_sort_onesweep_config_selectorIjN6thrust23THRUST_200600_302600_NS5tupleIffNS6_9null_typeES8_S8_S8_S8_S8_S8_S8_EEEEZNS1_34radix_sort_onesweep_global_offsetsIS3_Lb0ENS6_6detail15normal_iteratorINS6_10device_ptrIjEEEENSD_INSE_IS9_EEEEjNS0_19identity_decomposerEEE10hipError_tT1_T2_PT3_SN_jT4_jjP12ihipStream_tbEUlT_E0_NS1_11comp_targetILNS1_3genE4ELNS1_11target_archE910ELNS1_3gpuE8ELNS1_3repE0EEENS1_52radix_sort_onesweep_histogram_config_static_selectorELNS0_4arch9wavefront6targetE1EEEvSL_,@function
_ZN7rocprim17ROCPRIM_400000_NS6detail17trampoline_kernelINS0_14default_configENS1_35radix_sort_onesweep_config_selectorIjN6thrust23THRUST_200600_302600_NS5tupleIffNS6_9null_typeES8_S8_S8_S8_S8_S8_S8_EEEEZNS1_34radix_sort_onesweep_global_offsetsIS3_Lb0ENS6_6detail15normal_iteratorINS6_10device_ptrIjEEEENSD_INSE_IS9_EEEEjNS0_19identity_decomposerEEE10hipError_tT1_T2_PT3_SN_jT4_jjP12ihipStream_tbEUlT_E0_NS1_11comp_targetILNS1_3genE4ELNS1_11target_archE910ELNS1_3gpuE8ELNS1_3repE0EEENS1_52radix_sort_onesweep_histogram_config_static_selectorELNS0_4arch9wavefront6targetE1EEEvSL_: ; @_ZN7rocprim17ROCPRIM_400000_NS6detail17trampoline_kernelINS0_14default_configENS1_35radix_sort_onesweep_config_selectorIjN6thrust23THRUST_200600_302600_NS5tupleIffNS6_9null_typeES8_S8_S8_S8_S8_S8_S8_EEEEZNS1_34radix_sort_onesweep_global_offsetsIS3_Lb0ENS6_6detail15normal_iteratorINS6_10device_ptrIjEEEENSD_INSE_IS9_EEEEjNS0_19identity_decomposerEEE10hipError_tT1_T2_PT3_SN_jT4_jjP12ihipStream_tbEUlT_E0_NS1_11comp_targetILNS1_3genE4ELNS1_11target_archE910ELNS1_3gpuE8ELNS1_3repE0EEENS1_52radix_sort_onesweep_histogram_config_static_selectorELNS0_4arch9wavefront6targetE1EEEvSL_
; %bb.0:
	s_load_dwordx2 s[0:1], s[4:5], 0x0
	s_lshl_b32 s2, s6, 8
	s_mov_b32 s3, 0
	s_lshl_b64 s[2:3], s[2:3], 2
	v_lshlrev_b32_e32 v1, 2, v0
	s_waitcnt lgkmcnt(0)
	s_add_u32 s2, s0, s2
	s_movk_i32 s0, 0x100
	s_addc_u32 s3, s1, s3
	v_cmp_gt_u32_e32 vcc, s0, v0
                                        ; implicit-def: $vgpr3
	s_and_saveexec_b64 s[0:1], vcc
	s_cbranch_execz .LBB152_2
; %bb.1:
	global_load_dword v3, v1, s[2:3]
.LBB152_2:
	s_or_b64 exec, exec, s[0:1]
	v_mbcnt_lo_u32_b32 v2, -1, 0
	v_mbcnt_hi_u32_b32 v2, -1, v2
	v_and_b32_e32 v4, 15, v2
	s_waitcnt vmcnt(0)
	v_mov_b32_dpp v5, v3 row_shr:1 row_mask:0xf bank_mask:0xf
	v_cmp_ne_u32_e64 s[0:1], 0, v4
	v_cndmask_b32_e64 v5, 0, v5, s[0:1]
	v_add_u32_e32 v3, v5, v3
	v_cmp_lt_u32_e64 s[0:1], 1, v4
	s_nop 0
	v_mov_b32_dpp v5, v3 row_shr:2 row_mask:0xf bank_mask:0xf
	v_cndmask_b32_e64 v5, 0, v5, s[0:1]
	v_add_u32_e32 v3, v3, v5
	v_cmp_lt_u32_e64 s[0:1], 3, v4
	s_nop 0
	v_mov_b32_dpp v5, v3 row_shr:4 row_mask:0xf bank_mask:0xf
	;; [unrolled: 5-line block ×3, first 2 shown]
	v_cndmask_b32_e64 v4, 0, v5, s[0:1]
	v_add_u32_e32 v3, v3, v4
	v_bfe_i32 v5, v2, 4, 1
	v_cmp_lt_u32_e64 s[0:1], 31, v2
	v_mov_b32_dpp v4, v3 row_bcast:15 row_mask:0xf bank_mask:0xf
	v_and_b32_e32 v4, v5, v4
	v_add_u32_e32 v3, v3, v4
	v_or_b32_e32 v5, 63, v0
	s_nop 0
	v_mov_b32_dpp v4, v3 row_bcast:31 row_mask:0xf bank_mask:0xf
	v_cndmask_b32_e64 v4, 0, v4, s[0:1]
	v_add_u32_e32 v3, v3, v4
	v_lshrrev_b32_e32 v4, 6, v0
	v_cmp_eq_u32_e64 s[0:1], v5, v0
	s_and_saveexec_b64 s[4:5], s[0:1]
	s_cbranch_execz .LBB152_4
; %bb.3:
	v_lshlrev_b32_e32 v5, 2, v4
	ds_write_b32 v5, v3
.LBB152_4:
	s_or_b64 exec, exec, s[4:5]
	v_cmp_gt_u32_e64 s[0:1], 8, v0
	s_waitcnt lgkmcnt(0)
	s_barrier
	s_and_saveexec_b64 s[4:5], s[0:1]
	s_cbranch_execz .LBB152_6
; %bb.5:
	ds_read_b32 v5, v1
	v_and_b32_e32 v6, 7, v2
	v_cmp_ne_u32_e64 s[0:1], 0, v6
	s_waitcnt lgkmcnt(0)
	v_mov_b32_dpp v7, v5 row_shr:1 row_mask:0xf bank_mask:0xf
	v_cndmask_b32_e64 v7, 0, v7, s[0:1]
	v_add_u32_e32 v5, v7, v5
	v_cmp_lt_u32_e64 s[0:1], 1, v6
	s_nop 0
	v_mov_b32_dpp v7, v5 row_shr:2 row_mask:0xf bank_mask:0xf
	v_cndmask_b32_e64 v7, 0, v7, s[0:1]
	v_add_u32_e32 v5, v5, v7
	v_cmp_lt_u32_e64 s[0:1], 3, v6
	s_nop 0
	v_mov_b32_dpp v7, v5 row_shr:4 row_mask:0xf bank_mask:0xf
	v_cndmask_b32_e64 v6, 0, v7, s[0:1]
	v_add_u32_e32 v5, v5, v6
	ds_write_b32 v1, v5
.LBB152_6:
	s_or_b64 exec, exec, s[4:5]
	v_cmp_lt_u32_e64 s[0:1], 63, v0
	v_mov_b32_e32 v0, 0
	s_waitcnt lgkmcnt(0)
	s_barrier
	s_and_saveexec_b64 s[4:5], s[0:1]
	s_cbranch_execz .LBB152_8
; %bb.7:
	v_lshl_add_u32 v0, v4, 2, -4
	ds_read_b32 v0, v0
.LBB152_8:
	s_or_b64 exec, exec, s[4:5]
	v_add_u32_e32 v4, -1, v2
	v_and_b32_e32 v5, 64, v2
	v_cmp_lt_i32_e64 s[0:1], v4, v5
	v_cndmask_b32_e64 v4, v4, v2, s[0:1]
	s_waitcnt lgkmcnt(0)
	v_add_u32_e32 v3, v0, v3
	v_lshlrev_b32_e32 v4, 2, v4
	ds_bpermute_b32 v3, v4, v3
	s_and_saveexec_b64 s[0:1], vcc
	s_cbranch_execz .LBB152_10
; %bb.9:
	v_cmp_eq_u32_e32 vcc, 0, v2
	s_waitcnt lgkmcnt(0)
	v_cndmask_b32_e32 v0, v3, v0, vcc
	global_store_dword v1, v0, s[2:3]
.LBB152_10:
	s_endpgm
	.section	.rodata,"a",@progbits
	.p2align	6, 0x0
	.amdhsa_kernel _ZN7rocprim17ROCPRIM_400000_NS6detail17trampoline_kernelINS0_14default_configENS1_35radix_sort_onesweep_config_selectorIjN6thrust23THRUST_200600_302600_NS5tupleIffNS6_9null_typeES8_S8_S8_S8_S8_S8_S8_EEEEZNS1_34radix_sort_onesweep_global_offsetsIS3_Lb0ENS6_6detail15normal_iteratorINS6_10device_ptrIjEEEENSD_INSE_IS9_EEEEjNS0_19identity_decomposerEEE10hipError_tT1_T2_PT3_SN_jT4_jjP12ihipStream_tbEUlT_E0_NS1_11comp_targetILNS1_3genE4ELNS1_11target_archE910ELNS1_3gpuE8ELNS1_3repE0EEENS1_52radix_sort_onesweep_histogram_config_static_selectorELNS0_4arch9wavefront6targetE1EEEvSL_
		.amdhsa_group_segment_fixed_size 32
		.amdhsa_private_segment_fixed_size 0
		.amdhsa_kernarg_size 8
		.amdhsa_user_sgpr_count 6
		.amdhsa_user_sgpr_private_segment_buffer 1
		.amdhsa_user_sgpr_dispatch_ptr 0
		.amdhsa_user_sgpr_queue_ptr 0
		.amdhsa_user_sgpr_kernarg_segment_ptr 1
		.amdhsa_user_sgpr_dispatch_id 0
		.amdhsa_user_sgpr_flat_scratch_init 0
		.amdhsa_user_sgpr_kernarg_preload_length 0
		.amdhsa_user_sgpr_kernarg_preload_offset 0
		.amdhsa_user_sgpr_private_segment_size 0
		.amdhsa_uses_dynamic_stack 0
		.amdhsa_system_sgpr_private_segment_wavefront_offset 0
		.amdhsa_system_sgpr_workgroup_id_x 1
		.amdhsa_system_sgpr_workgroup_id_y 0
		.amdhsa_system_sgpr_workgroup_id_z 0
		.amdhsa_system_sgpr_workgroup_info 0
		.amdhsa_system_vgpr_workitem_id 0
		.amdhsa_next_free_vgpr 8
		.amdhsa_next_free_sgpr 7
		.amdhsa_accum_offset 8
		.amdhsa_reserve_vcc 1
		.amdhsa_reserve_flat_scratch 0
		.amdhsa_float_round_mode_32 0
		.amdhsa_float_round_mode_16_64 0
		.amdhsa_float_denorm_mode_32 3
		.amdhsa_float_denorm_mode_16_64 3
		.amdhsa_dx10_clamp 1
		.amdhsa_ieee_mode 1
		.amdhsa_fp16_overflow 0
		.amdhsa_tg_split 0
		.amdhsa_exception_fp_ieee_invalid_op 0
		.amdhsa_exception_fp_denorm_src 0
		.amdhsa_exception_fp_ieee_div_zero 0
		.amdhsa_exception_fp_ieee_overflow 0
		.amdhsa_exception_fp_ieee_underflow 0
		.amdhsa_exception_fp_ieee_inexact 0
		.amdhsa_exception_int_div_zero 0
	.end_amdhsa_kernel
	.section	.text._ZN7rocprim17ROCPRIM_400000_NS6detail17trampoline_kernelINS0_14default_configENS1_35radix_sort_onesweep_config_selectorIjN6thrust23THRUST_200600_302600_NS5tupleIffNS6_9null_typeES8_S8_S8_S8_S8_S8_S8_EEEEZNS1_34radix_sort_onesweep_global_offsetsIS3_Lb0ENS6_6detail15normal_iteratorINS6_10device_ptrIjEEEENSD_INSE_IS9_EEEEjNS0_19identity_decomposerEEE10hipError_tT1_T2_PT3_SN_jT4_jjP12ihipStream_tbEUlT_E0_NS1_11comp_targetILNS1_3genE4ELNS1_11target_archE910ELNS1_3gpuE8ELNS1_3repE0EEENS1_52radix_sort_onesweep_histogram_config_static_selectorELNS0_4arch9wavefront6targetE1EEEvSL_,"axG",@progbits,_ZN7rocprim17ROCPRIM_400000_NS6detail17trampoline_kernelINS0_14default_configENS1_35radix_sort_onesweep_config_selectorIjN6thrust23THRUST_200600_302600_NS5tupleIffNS6_9null_typeES8_S8_S8_S8_S8_S8_S8_EEEEZNS1_34radix_sort_onesweep_global_offsetsIS3_Lb0ENS6_6detail15normal_iteratorINS6_10device_ptrIjEEEENSD_INSE_IS9_EEEEjNS0_19identity_decomposerEEE10hipError_tT1_T2_PT3_SN_jT4_jjP12ihipStream_tbEUlT_E0_NS1_11comp_targetILNS1_3genE4ELNS1_11target_archE910ELNS1_3gpuE8ELNS1_3repE0EEENS1_52radix_sort_onesweep_histogram_config_static_selectorELNS0_4arch9wavefront6targetE1EEEvSL_,comdat
.Lfunc_end152:
	.size	_ZN7rocprim17ROCPRIM_400000_NS6detail17trampoline_kernelINS0_14default_configENS1_35radix_sort_onesweep_config_selectorIjN6thrust23THRUST_200600_302600_NS5tupleIffNS6_9null_typeES8_S8_S8_S8_S8_S8_S8_EEEEZNS1_34radix_sort_onesweep_global_offsetsIS3_Lb0ENS6_6detail15normal_iteratorINS6_10device_ptrIjEEEENSD_INSE_IS9_EEEEjNS0_19identity_decomposerEEE10hipError_tT1_T2_PT3_SN_jT4_jjP12ihipStream_tbEUlT_E0_NS1_11comp_targetILNS1_3genE4ELNS1_11target_archE910ELNS1_3gpuE8ELNS1_3repE0EEENS1_52radix_sort_onesweep_histogram_config_static_selectorELNS0_4arch9wavefront6targetE1EEEvSL_, .Lfunc_end152-_ZN7rocprim17ROCPRIM_400000_NS6detail17trampoline_kernelINS0_14default_configENS1_35radix_sort_onesweep_config_selectorIjN6thrust23THRUST_200600_302600_NS5tupleIffNS6_9null_typeES8_S8_S8_S8_S8_S8_S8_EEEEZNS1_34radix_sort_onesweep_global_offsetsIS3_Lb0ENS6_6detail15normal_iteratorINS6_10device_ptrIjEEEENSD_INSE_IS9_EEEEjNS0_19identity_decomposerEEE10hipError_tT1_T2_PT3_SN_jT4_jjP12ihipStream_tbEUlT_E0_NS1_11comp_targetILNS1_3genE4ELNS1_11target_archE910ELNS1_3gpuE8ELNS1_3repE0EEENS1_52radix_sort_onesweep_histogram_config_static_selectorELNS0_4arch9wavefront6targetE1EEEvSL_
                                        ; -- End function
	.section	.AMDGPU.csdata,"",@progbits
; Kernel info:
; codeLenInByte = 576
; NumSgprs: 11
; NumVgprs: 8
; NumAgprs: 0
; TotalNumVgprs: 8
; ScratchSize: 0
; MemoryBound: 0
; FloatMode: 240
; IeeeMode: 1
; LDSByteSize: 32 bytes/workgroup (compile time only)
; SGPRBlocks: 1
; VGPRBlocks: 0
; NumSGPRsForWavesPerEU: 11
; NumVGPRsForWavesPerEU: 8
; AccumOffset: 8
; Occupancy: 8
; WaveLimiterHint : 0
; COMPUTE_PGM_RSRC2:SCRATCH_EN: 0
; COMPUTE_PGM_RSRC2:USER_SGPR: 6
; COMPUTE_PGM_RSRC2:TRAP_HANDLER: 0
; COMPUTE_PGM_RSRC2:TGID_X_EN: 1
; COMPUTE_PGM_RSRC2:TGID_Y_EN: 0
; COMPUTE_PGM_RSRC2:TGID_Z_EN: 0
; COMPUTE_PGM_RSRC2:TIDIG_COMP_CNT: 0
; COMPUTE_PGM_RSRC3_GFX90A:ACCUM_OFFSET: 1
; COMPUTE_PGM_RSRC3_GFX90A:TG_SPLIT: 0
	.section	.text._ZN7rocprim17ROCPRIM_400000_NS6detail17trampoline_kernelINS0_14default_configENS1_35radix_sort_onesweep_config_selectorIjN6thrust23THRUST_200600_302600_NS5tupleIffNS6_9null_typeES8_S8_S8_S8_S8_S8_S8_EEEEZNS1_34radix_sort_onesweep_global_offsetsIS3_Lb0ENS6_6detail15normal_iteratorINS6_10device_ptrIjEEEENSD_INSE_IS9_EEEEjNS0_19identity_decomposerEEE10hipError_tT1_T2_PT3_SN_jT4_jjP12ihipStream_tbEUlT_E0_NS1_11comp_targetILNS1_3genE3ELNS1_11target_archE908ELNS1_3gpuE7ELNS1_3repE0EEENS1_52radix_sort_onesweep_histogram_config_static_selectorELNS0_4arch9wavefront6targetE1EEEvSL_,"axG",@progbits,_ZN7rocprim17ROCPRIM_400000_NS6detail17trampoline_kernelINS0_14default_configENS1_35radix_sort_onesweep_config_selectorIjN6thrust23THRUST_200600_302600_NS5tupleIffNS6_9null_typeES8_S8_S8_S8_S8_S8_S8_EEEEZNS1_34radix_sort_onesweep_global_offsetsIS3_Lb0ENS6_6detail15normal_iteratorINS6_10device_ptrIjEEEENSD_INSE_IS9_EEEEjNS0_19identity_decomposerEEE10hipError_tT1_T2_PT3_SN_jT4_jjP12ihipStream_tbEUlT_E0_NS1_11comp_targetILNS1_3genE3ELNS1_11target_archE908ELNS1_3gpuE7ELNS1_3repE0EEENS1_52radix_sort_onesweep_histogram_config_static_selectorELNS0_4arch9wavefront6targetE1EEEvSL_,comdat
	.protected	_ZN7rocprim17ROCPRIM_400000_NS6detail17trampoline_kernelINS0_14default_configENS1_35radix_sort_onesweep_config_selectorIjN6thrust23THRUST_200600_302600_NS5tupleIffNS6_9null_typeES8_S8_S8_S8_S8_S8_S8_EEEEZNS1_34radix_sort_onesweep_global_offsetsIS3_Lb0ENS6_6detail15normal_iteratorINS6_10device_ptrIjEEEENSD_INSE_IS9_EEEEjNS0_19identity_decomposerEEE10hipError_tT1_T2_PT3_SN_jT4_jjP12ihipStream_tbEUlT_E0_NS1_11comp_targetILNS1_3genE3ELNS1_11target_archE908ELNS1_3gpuE7ELNS1_3repE0EEENS1_52radix_sort_onesweep_histogram_config_static_selectorELNS0_4arch9wavefront6targetE1EEEvSL_ ; -- Begin function _ZN7rocprim17ROCPRIM_400000_NS6detail17trampoline_kernelINS0_14default_configENS1_35radix_sort_onesweep_config_selectorIjN6thrust23THRUST_200600_302600_NS5tupleIffNS6_9null_typeES8_S8_S8_S8_S8_S8_S8_EEEEZNS1_34radix_sort_onesweep_global_offsetsIS3_Lb0ENS6_6detail15normal_iteratorINS6_10device_ptrIjEEEENSD_INSE_IS9_EEEEjNS0_19identity_decomposerEEE10hipError_tT1_T2_PT3_SN_jT4_jjP12ihipStream_tbEUlT_E0_NS1_11comp_targetILNS1_3genE3ELNS1_11target_archE908ELNS1_3gpuE7ELNS1_3repE0EEENS1_52radix_sort_onesweep_histogram_config_static_selectorELNS0_4arch9wavefront6targetE1EEEvSL_
	.globl	_ZN7rocprim17ROCPRIM_400000_NS6detail17trampoline_kernelINS0_14default_configENS1_35radix_sort_onesweep_config_selectorIjN6thrust23THRUST_200600_302600_NS5tupleIffNS6_9null_typeES8_S8_S8_S8_S8_S8_S8_EEEEZNS1_34radix_sort_onesweep_global_offsetsIS3_Lb0ENS6_6detail15normal_iteratorINS6_10device_ptrIjEEEENSD_INSE_IS9_EEEEjNS0_19identity_decomposerEEE10hipError_tT1_T2_PT3_SN_jT4_jjP12ihipStream_tbEUlT_E0_NS1_11comp_targetILNS1_3genE3ELNS1_11target_archE908ELNS1_3gpuE7ELNS1_3repE0EEENS1_52radix_sort_onesweep_histogram_config_static_selectorELNS0_4arch9wavefront6targetE1EEEvSL_
	.p2align	8
	.type	_ZN7rocprim17ROCPRIM_400000_NS6detail17trampoline_kernelINS0_14default_configENS1_35radix_sort_onesweep_config_selectorIjN6thrust23THRUST_200600_302600_NS5tupleIffNS6_9null_typeES8_S8_S8_S8_S8_S8_S8_EEEEZNS1_34radix_sort_onesweep_global_offsetsIS3_Lb0ENS6_6detail15normal_iteratorINS6_10device_ptrIjEEEENSD_INSE_IS9_EEEEjNS0_19identity_decomposerEEE10hipError_tT1_T2_PT3_SN_jT4_jjP12ihipStream_tbEUlT_E0_NS1_11comp_targetILNS1_3genE3ELNS1_11target_archE908ELNS1_3gpuE7ELNS1_3repE0EEENS1_52radix_sort_onesweep_histogram_config_static_selectorELNS0_4arch9wavefront6targetE1EEEvSL_,@function
_ZN7rocprim17ROCPRIM_400000_NS6detail17trampoline_kernelINS0_14default_configENS1_35radix_sort_onesweep_config_selectorIjN6thrust23THRUST_200600_302600_NS5tupleIffNS6_9null_typeES8_S8_S8_S8_S8_S8_S8_EEEEZNS1_34radix_sort_onesweep_global_offsetsIS3_Lb0ENS6_6detail15normal_iteratorINS6_10device_ptrIjEEEENSD_INSE_IS9_EEEEjNS0_19identity_decomposerEEE10hipError_tT1_T2_PT3_SN_jT4_jjP12ihipStream_tbEUlT_E0_NS1_11comp_targetILNS1_3genE3ELNS1_11target_archE908ELNS1_3gpuE7ELNS1_3repE0EEENS1_52radix_sort_onesweep_histogram_config_static_selectorELNS0_4arch9wavefront6targetE1EEEvSL_: ; @_ZN7rocprim17ROCPRIM_400000_NS6detail17trampoline_kernelINS0_14default_configENS1_35radix_sort_onesweep_config_selectorIjN6thrust23THRUST_200600_302600_NS5tupleIffNS6_9null_typeES8_S8_S8_S8_S8_S8_S8_EEEEZNS1_34radix_sort_onesweep_global_offsetsIS3_Lb0ENS6_6detail15normal_iteratorINS6_10device_ptrIjEEEENSD_INSE_IS9_EEEEjNS0_19identity_decomposerEEE10hipError_tT1_T2_PT3_SN_jT4_jjP12ihipStream_tbEUlT_E0_NS1_11comp_targetILNS1_3genE3ELNS1_11target_archE908ELNS1_3gpuE7ELNS1_3repE0EEENS1_52radix_sort_onesweep_histogram_config_static_selectorELNS0_4arch9wavefront6targetE1EEEvSL_
; %bb.0:
	.section	.rodata,"a",@progbits
	.p2align	6, 0x0
	.amdhsa_kernel _ZN7rocprim17ROCPRIM_400000_NS6detail17trampoline_kernelINS0_14default_configENS1_35radix_sort_onesweep_config_selectorIjN6thrust23THRUST_200600_302600_NS5tupleIffNS6_9null_typeES8_S8_S8_S8_S8_S8_S8_EEEEZNS1_34radix_sort_onesweep_global_offsetsIS3_Lb0ENS6_6detail15normal_iteratorINS6_10device_ptrIjEEEENSD_INSE_IS9_EEEEjNS0_19identity_decomposerEEE10hipError_tT1_T2_PT3_SN_jT4_jjP12ihipStream_tbEUlT_E0_NS1_11comp_targetILNS1_3genE3ELNS1_11target_archE908ELNS1_3gpuE7ELNS1_3repE0EEENS1_52radix_sort_onesweep_histogram_config_static_selectorELNS0_4arch9wavefront6targetE1EEEvSL_
		.amdhsa_group_segment_fixed_size 0
		.amdhsa_private_segment_fixed_size 0
		.amdhsa_kernarg_size 8
		.amdhsa_user_sgpr_count 6
		.amdhsa_user_sgpr_private_segment_buffer 1
		.amdhsa_user_sgpr_dispatch_ptr 0
		.amdhsa_user_sgpr_queue_ptr 0
		.amdhsa_user_sgpr_kernarg_segment_ptr 1
		.amdhsa_user_sgpr_dispatch_id 0
		.amdhsa_user_sgpr_flat_scratch_init 0
		.amdhsa_user_sgpr_kernarg_preload_length 0
		.amdhsa_user_sgpr_kernarg_preload_offset 0
		.amdhsa_user_sgpr_private_segment_size 0
		.amdhsa_uses_dynamic_stack 0
		.amdhsa_system_sgpr_private_segment_wavefront_offset 0
		.amdhsa_system_sgpr_workgroup_id_x 1
		.amdhsa_system_sgpr_workgroup_id_y 0
		.amdhsa_system_sgpr_workgroup_id_z 0
		.amdhsa_system_sgpr_workgroup_info 0
		.amdhsa_system_vgpr_workitem_id 0
		.amdhsa_next_free_vgpr 1
		.amdhsa_next_free_sgpr 0
		.amdhsa_accum_offset 4
		.amdhsa_reserve_vcc 0
		.amdhsa_reserve_flat_scratch 0
		.amdhsa_float_round_mode_32 0
		.amdhsa_float_round_mode_16_64 0
		.amdhsa_float_denorm_mode_32 3
		.amdhsa_float_denorm_mode_16_64 3
		.amdhsa_dx10_clamp 1
		.amdhsa_ieee_mode 1
		.amdhsa_fp16_overflow 0
		.amdhsa_tg_split 0
		.amdhsa_exception_fp_ieee_invalid_op 0
		.amdhsa_exception_fp_denorm_src 0
		.amdhsa_exception_fp_ieee_div_zero 0
		.amdhsa_exception_fp_ieee_overflow 0
		.amdhsa_exception_fp_ieee_underflow 0
		.amdhsa_exception_fp_ieee_inexact 0
		.amdhsa_exception_int_div_zero 0
	.end_amdhsa_kernel
	.section	.text._ZN7rocprim17ROCPRIM_400000_NS6detail17trampoline_kernelINS0_14default_configENS1_35radix_sort_onesweep_config_selectorIjN6thrust23THRUST_200600_302600_NS5tupleIffNS6_9null_typeES8_S8_S8_S8_S8_S8_S8_EEEEZNS1_34radix_sort_onesweep_global_offsetsIS3_Lb0ENS6_6detail15normal_iteratorINS6_10device_ptrIjEEEENSD_INSE_IS9_EEEEjNS0_19identity_decomposerEEE10hipError_tT1_T2_PT3_SN_jT4_jjP12ihipStream_tbEUlT_E0_NS1_11comp_targetILNS1_3genE3ELNS1_11target_archE908ELNS1_3gpuE7ELNS1_3repE0EEENS1_52radix_sort_onesweep_histogram_config_static_selectorELNS0_4arch9wavefront6targetE1EEEvSL_,"axG",@progbits,_ZN7rocprim17ROCPRIM_400000_NS6detail17trampoline_kernelINS0_14default_configENS1_35radix_sort_onesweep_config_selectorIjN6thrust23THRUST_200600_302600_NS5tupleIffNS6_9null_typeES8_S8_S8_S8_S8_S8_S8_EEEEZNS1_34radix_sort_onesweep_global_offsetsIS3_Lb0ENS6_6detail15normal_iteratorINS6_10device_ptrIjEEEENSD_INSE_IS9_EEEEjNS0_19identity_decomposerEEE10hipError_tT1_T2_PT3_SN_jT4_jjP12ihipStream_tbEUlT_E0_NS1_11comp_targetILNS1_3genE3ELNS1_11target_archE908ELNS1_3gpuE7ELNS1_3repE0EEENS1_52radix_sort_onesweep_histogram_config_static_selectorELNS0_4arch9wavefront6targetE1EEEvSL_,comdat
.Lfunc_end153:
	.size	_ZN7rocprim17ROCPRIM_400000_NS6detail17trampoline_kernelINS0_14default_configENS1_35radix_sort_onesweep_config_selectorIjN6thrust23THRUST_200600_302600_NS5tupleIffNS6_9null_typeES8_S8_S8_S8_S8_S8_S8_EEEEZNS1_34radix_sort_onesweep_global_offsetsIS3_Lb0ENS6_6detail15normal_iteratorINS6_10device_ptrIjEEEENSD_INSE_IS9_EEEEjNS0_19identity_decomposerEEE10hipError_tT1_T2_PT3_SN_jT4_jjP12ihipStream_tbEUlT_E0_NS1_11comp_targetILNS1_3genE3ELNS1_11target_archE908ELNS1_3gpuE7ELNS1_3repE0EEENS1_52radix_sort_onesweep_histogram_config_static_selectorELNS0_4arch9wavefront6targetE1EEEvSL_, .Lfunc_end153-_ZN7rocprim17ROCPRIM_400000_NS6detail17trampoline_kernelINS0_14default_configENS1_35radix_sort_onesweep_config_selectorIjN6thrust23THRUST_200600_302600_NS5tupleIffNS6_9null_typeES8_S8_S8_S8_S8_S8_S8_EEEEZNS1_34radix_sort_onesweep_global_offsetsIS3_Lb0ENS6_6detail15normal_iteratorINS6_10device_ptrIjEEEENSD_INSE_IS9_EEEEjNS0_19identity_decomposerEEE10hipError_tT1_T2_PT3_SN_jT4_jjP12ihipStream_tbEUlT_E0_NS1_11comp_targetILNS1_3genE3ELNS1_11target_archE908ELNS1_3gpuE7ELNS1_3repE0EEENS1_52radix_sort_onesweep_histogram_config_static_selectorELNS0_4arch9wavefront6targetE1EEEvSL_
                                        ; -- End function
	.section	.AMDGPU.csdata,"",@progbits
; Kernel info:
; codeLenInByte = 0
; NumSgprs: 4
; NumVgprs: 0
; NumAgprs: 0
; TotalNumVgprs: 0
; ScratchSize: 0
; MemoryBound: 0
; FloatMode: 240
; IeeeMode: 1
; LDSByteSize: 0 bytes/workgroup (compile time only)
; SGPRBlocks: 0
; VGPRBlocks: 0
; NumSGPRsForWavesPerEU: 4
; NumVGPRsForWavesPerEU: 1
; AccumOffset: 4
; Occupancy: 8
; WaveLimiterHint : 0
; COMPUTE_PGM_RSRC2:SCRATCH_EN: 0
; COMPUTE_PGM_RSRC2:USER_SGPR: 6
; COMPUTE_PGM_RSRC2:TRAP_HANDLER: 0
; COMPUTE_PGM_RSRC2:TGID_X_EN: 1
; COMPUTE_PGM_RSRC2:TGID_Y_EN: 0
; COMPUTE_PGM_RSRC2:TGID_Z_EN: 0
; COMPUTE_PGM_RSRC2:TIDIG_COMP_CNT: 0
; COMPUTE_PGM_RSRC3_GFX90A:ACCUM_OFFSET: 0
; COMPUTE_PGM_RSRC3_GFX90A:TG_SPLIT: 0
	.section	.text._ZN7rocprim17ROCPRIM_400000_NS6detail17trampoline_kernelINS0_14default_configENS1_35radix_sort_onesweep_config_selectorIjN6thrust23THRUST_200600_302600_NS5tupleIffNS6_9null_typeES8_S8_S8_S8_S8_S8_S8_EEEEZNS1_34radix_sort_onesweep_global_offsetsIS3_Lb0ENS6_6detail15normal_iteratorINS6_10device_ptrIjEEEENSD_INSE_IS9_EEEEjNS0_19identity_decomposerEEE10hipError_tT1_T2_PT3_SN_jT4_jjP12ihipStream_tbEUlT_E0_NS1_11comp_targetILNS1_3genE10ELNS1_11target_archE1201ELNS1_3gpuE5ELNS1_3repE0EEENS1_52radix_sort_onesweep_histogram_config_static_selectorELNS0_4arch9wavefront6targetE1EEEvSL_,"axG",@progbits,_ZN7rocprim17ROCPRIM_400000_NS6detail17trampoline_kernelINS0_14default_configENS1_35radix_sort_onesweep_config_selectorIjN6thrust23THRUST_200600_302600_NS5tupleIffNS6_9null_typeES8_S8_S8_S8_S8_S8_S8_EEEEZNS1_34radix_sort_onesweep_global_offsetsIS3_Lb0ENS6_6detail15normal_iteratorINS6_10device_ptrIjEEEENSD_INSE_IS9_EEEEjNS0_19identity_decomposerEEE10hipError_tT1_T2_PT3_SN_jT4_jjP12ihipStream_tbEUlT_E0_NS1_11comp_targetILNS1_3genE10ELNS1_11target_archE1201ELNS1_3gpuE5ELNS1_3repE0EEENS1_52radix_sort_onesweep_histogram_config_static_selectorELNS0_4arch9wavefront6targetE1EEEvSL_,comdat
	.protected	_ZN7rocprim17ROCPRIM_400000_NS6detail17trampoline_kernelINS0_14default_configENS1_35radix_sort_onesweep_config_selectorIjN6thrust23THRUST_200600_302600_NS5tupleIffNS6_9null_typeES8_S8_S8_S8_S8_S8_S8_EEEEZNS1_34radix_sort_onesweep_global_offsetsIS3_Lb0ENS6_6detail15normal_iteratorINS6_10device_ptrIjEEEENSD_INSE_IS9_EEEEjNS0_19identity_decomposerEEE10hipError_tT1_T2_PT3_SN_jT4_jjP12ihipStream_tbEUlT_E0_NS1_11comp_targetILNS1_3genE10ELNS1_11target_archE1201ELNS1_3gpuE5ELNS1_3repE0EEENS1_52radix_sort_onesweep_histogram_config_static_selectorELNS0_4arch9wavefront6targetE1EEEvSL_ ; -- Begin function _ZN7rocprim17ROCPRIM_400000_NS6detail17trampoline_kernelINS0_14default_configENS1_35radix_sort_onesweep_config_selectorIjN6thrust23THRUST_200600_302600_NS5tupleIffNS6_9null_typeES8_S8_S8_S8_S8_S8_S8_EEEEZNS1_34radix_sort_onesweep_global_offsetsIS3_Lb0ENS6_6detail15normal_iteratorINS6_10device_ptrIjEEEENSD_INSE_IS9_EEEEjNS0_19identity_decomposerEEE10hipError_tT1_T2_PT3_SN_jT4_jjP12ihipStream_tbEUlT_E0_NS1_11comp_targetILNS1_3genE10ELNS1_11target_archE1201ELNS1_3gpuE5ELNS1_3repE0EEENS1_52radix_sort_onesweep_histogram_config_static_selectorELNS0_4arch9wavefront6targetE1EEEvSL_
	.globl	_ZN7rocprim17ROCPRIM_400000_NS6detail17trampoline_kernelINS0_14default_configENS1_35radix_sort_onesweep_config_selectorIjN6thrust23THRUST_200600_302600_NS5tupleIffNS6_9null_typeES8_S8_S8_S8_S8_S8_S8_EEEEZNS1_34radix_sort_onesweep_global_offsetsIS3_Lb0ENS6_6detail15normal_iteratorINS6_10device_ptrIjEEEENSD_INSE_IS9_EEEEjNS0_19identity_decomposerEEE10hipError_tT1_T2_PT3_SN_jT4_jjP12ihipStream_tbEUlT_E0_NS1_11comp_targetILNS1_3genE10ELNS1_11target_archE1201ELNS1_3gpuE5ELNS1_3repE0EEENS1_52radix_sort_onesweep_histogram_config_static_selectorELNS0_4arch9wavefront6targetE1EEEvSL_
	.p2align	8
	.type	_ZN7rocprim17ROCPRIM_400000_NS6detail17trampoline_kernelINS0_14default_configENS1_35radix_sort_onesweep_config_selectorIjN6thrust23THRUST_200600_302600_NS5tupleIffNS6_9null_typeES8_S8_S8_S8_S8_S8_S8_EEEEZNS1_34radix_sort_onesweep_global_offsetsIS3_Lb0ENS6_6detail15normal_iteratorINS6_10device_ptrIjEEEENSD_INSE_IS9_EEEEjNS0_19identity_decomposerEEE10hipError_tT1_T2_PT3_SN_jT4_jjP12ihipStream_tbEUlT_E0_NS1_11comp_targetILNS1_3genE10ELNS1_11target_archE1201ELNS1_3gpuE5ELNS1_3repE0EEENS1_52radix_sort_onesweep_histogram_config_static_selectorELNS0_4arch9wavefront6targetE1EEEvSL_,@function
_ZN7rocprim17ROCPRIM_400000_NS6detail17trampoline_kernelINS0_14default_configENS1_35radix_sort_onesweep_config_selectorIjN6thrust23THRUST_200600_302600_NS5tupleIffNS6_9null_typeES8_S8_S8_S8_S8_S8_S8_EEEEZNS1_34radix_sort_onesweep_global_offsetsIS3_Lb0ENS6_6detail15normal_iteratorINS6_10device_ptrIjEEEENSD_INSE_IS9_EEEEjNS0_19identity_decomposerEEE10hipError_tT1_T2_PT3_SN_jT4_jjP12ihipStream_tbEUlT_E0_NS1_11comp_targetILNS1_3genE10ELNS1_11target_archE1201ELNS1_3gpuE5ELNS1_3repE0EEENS1_52radix_sort_onesweep_histogram_config_static_selectorELNS0_4arch9wavefront6targetE1EEEvSL_: ; @_ZN7rocprim17ROCPRIM_400000_NS6detail17trampoline_kernelINS0_14default_configENS1_35radix_sort_onesweep_config_selectorIjN6thrust23THRUST_200600_302600_NS5tupleIffNS6_9null_typeES8_S8_S8_S8_S8_S8_S8_EEEEZNS1_34radix_sort_onesweep_global_offsetsIS3_Lb0ENS6_6detail15normal_iteratorINS6_10device_ptrIjEEEENSD_INSE_IS9_EEEEjNS0_19identity_decomposerEEE10hipError_tT1_T2_PT3_SN_jT4_jjP12ihipStream_tbEUlT_E0_NS1_11comp_targetILNS1_3genE10ELNS1_11target_archE1201ELNS1_3gpuE5ELNS1_3repE0EEENS1_52radix_sort_onesweep_histogram_config_static_selectorELNS0_4arch9wavefront6targetE1EEEvSL_
; %bb.0:
	.section	.rodata,"a",@progbits
	.p2align	6, 0x0
	.amdhsa_kernel _ZN7rocprim17ROCPRIM_400000_NS6detail17trampoline_kernelINS0_14default_configENS1_35radix_sort_onesweep_config_selectorIjN6thrust23THRUST_200600_302600_NS5tupleIffNS6_9null_typeES8_S8_S8_S8_S8_S8_S8_EEEEZNS1_34radix_sort_onesweep_global_offsetsIS3_Lb0ENS6_6detail15normal_iteratorINS6_10device_ptrIjEEEENSD_INSE_IS9_EEEEjNS0_19identity_decomposerEEE10hipError_tT1_T2_PT3_SN_jT4_jjP12ihipStream_tbEUlT_E0_NS1_11comp_targetILNS1_3genE10ELNS1_11target_archE1201ELNS1_3gpuE5ELNS1_3repE0EEENS1_52radix_sort_onesweep_histogram_config_static_selectorELNS0_4arch9wavefront6targetE1EEEvSL_
		.amdhsa_group_segment_fixed_size 0
		.amdhsa_private_segment_fixed_size 0
		.amdhsa_kernarg_size 8
		.amdhsa_user_sgpr_count 6
		.amdhsa_user_sgpr_private_segment_buffer 1
		.amdhsa_user_sgpr_dispatch_ptr 0
		.amdhsa_user_sgpr_queue_ptr 0
		.amdhsa_user_sgpr_kernarg_segment_ptr 1
		.amdhsa_user_sgpr_dispatch_id 0
		.amdhsa_user_sgpr_flat_scratch_init 0
		.amdhsa_user_sgpr_kernarg_preload_length 0
		.amdhsa_user_sgpr_kernarg_preload_offset 0
		.amdhsa_user_sgpr_private_segment_size 0
		.amdhsa_uses_dynamic_stack 0
		.amdhsa_system_sgpr_private_segment_wavefront_offset 0
		.amdhsa_system_sgpr_workgroup_id_x 1
		.amdhsa_system_sgpr_workgroup_id_y 0
		.amdhsa_system_sgpr_workgroup_id_z 0
		.amdhsa_system_sgpr_workgroup_info 0
		.amdhsa_system_vgpr_workitem_id 0
		.amdhsa_next_free_vgpr 1
		.amdhsa_next_free_sgpr 0
		.amdhsa_accum_offset 4
		.amdhsa_reserve_vcc 0
		.amdhsa_reserve_flat_scratch 0
		.amdhsa_float_round_mode_32 0
		.amdhsa_float_round_mode_16_64 0
		.amdhsa_float_denorm_mode_32 3
		.amdhsa_float_denorm_mode_16_64 3
		.amdhsa_dx10_clamp 1
		.amdhsa_ieee_mode 1
		.amdhsa_fp16_overflow 0
		.amdhsa_tg_split 0
		.amdhsa_exception_fp_ieee_invalid_op 0
		.amdhsa_exception_fp_denorm_src 0
		.amdhsa_exception_fp_ieee_div_zero 0
		.amdhsa_exception_fp_ieee_overflow 0
		.amdhsa_exception_fp_ieee_underflow 0
		.amdhsa_exception_fp_ieee_inexact 0
		.amdhsa_exception_int_div_zero 0
	.end_amdhsa_kernel
	.section	.text._ZN7rocprim17ROCPRIM_400000_NS6detail17trampoline_kernelINS0_14default_configENS1_35radix_sort_onesweep_config_selectorIjN6thrust23THRUST_200600_302600_NS5tupleIffNS6_9null_typeES8_S8_S8_S8_S8_S8_S8_EEEEZNS1_34radix_sort_onesweep_global_offsetsIS3_Lb0ENS6_6detail15normal_iteratorINS6_10device_ptrIjEEEENSD_INSE_IS9_EEEEjNS0_19identity_decomposerEEE10hipError_tT1_T2_PT3_SN_jT4_jjP12ihipStream_tbEUlT_E0_NS1_11comp_targetILNS1_3genE10ELNS1_11target_archE1201ELNS1_3gpuE5ELNS1_3repE0EEENS1_52radix_sort_onesweep_histogram_config_static_selectorELNS0_4arch9wavefront6targetE1EEEvSL_,"axG",@progbits,_ZN7rocprim17ROCPRIM_400000_NS6detail17trampoline_kernelINS0_14default_configENS1_35radix_sort_onesweep_config_selectorIjN6thrust23THRUST_200600_302600_NS5tupleIffNS6_9null_typeES8_S8_S8_S8_S8_S8_S8_EEEEZNS1_34radix_sort_onesweep_global_offsetsIS3_Lb0ENS6_6detail15normal_iteratorINS6_10device_ptrIjEEEENSD_INSE_IS9_EEEEjNS0_19identity_decomposerEEE10hipError_tT1_T2_PT3_SN_jT4_jjP12ihipStream_tbEUlT_E0_NS1_11comp_targetILNS1_3genE10ELNS1_11target_archE1201ELNS1_3gpuE5ELNS1_3repE0EEENS1_52radix_sort_onesweep_histogram_config_static_selectorELNS0_4arch9wavefront6targetE1EEEvSL_,comdat
.Lfunc_end154:
	.size	_ZN7rocprim17ROCPRIM_400000_NS6detail17trampoline_kernelINS0_14default_configENS1_35radix_sort_onesweep_config_selectorIjN6thrust23THRUST_200600_302600_NS5tupleIffNS6_9null_typeES8_S8_S8_S8_S8_S8_S8_EEEEZNS1_34radix_sort_onesweep_global_offsetsIS3_Lb0ENS6_6detail15normal_iteratorINS6_10device_ptrIjEEEENSD_INSE_IS9_EEEEjNS0_19identity_decomposerEEE10hipError_tT1_T2_PT3_SN_jT4_jjP12ihipStream_tbEUlT_E0_NS1_11comp_targetILNS1_3genE10ELNS1_11target_archE1201ELNS1_3gpuE5ELNS1_3repE0EEENS1_52radix_sort_onesweep_histogram_config_static_selectorELNS0_4arch9wavefront6targetE1EEEvSL_, .Lfunc_end154-_ZN7rocprim17ROCPRIM_400000_NS6detail17trampoline_kernelINS0_14default_configENS1_35radix_sort_onesweep_config_selectorIjN6thrust23THRUST_200600_302600_NS5tupleIffNS6_9null_typeES8_S8_S8_S8_S8_S8_S8_EEEEZNS1_34radix_sort_onesweep_global_offsetsIS3_Lb0ENS6_6detail15normal_iteratorINS6_10device_ptrIjEEEENSD_INSE_IS9_EEEEjNS0_19identity_decomposerEEE10hipError_tT1_T2_PT3_SN_jT4_jjP12ihipStream_tbEUlT_E0_NS1_11comp_targetILNS1_3genE10ELNS1_11target_archE1201ELNS1_3gpuE5ELNS1_3repE0EEENS1_52radix_sort_onesweep_histogram_config_static_selectorELNS0_4arch9wavefront6targetE1EEEvSL_
                                        ; -- End function
	.section	.AMDGPU.csdata,"",@progbits
; Kernel info:
; codeLenInByte = 0
; NumSgprs: 4
; NumVgprs: 0
; NumAgprs: 0
; TotalNumVgprs: 0
; ScratchSize: 0
; MemoryBound: 0
; FloatMode: 240
; IeeeMode: 1
; LDSByteSize: 0 bytes/workgroup (compile time only)
; SGPRBlocks: 0
; VGPRBlocks: 0
; NumSGPRsForWavesPerEU: 4
; NumVGPRsForWavesPerEU: 1
; AccumOffset: 4
; Occupancy: 8
; WaveLimiterHint : 0
; COMPUTE_PGM_RSRC2:SCRATCH_EN: 0
; COMPUTE_PGM_RSRC2:USER_SGPR: 6
; COMPUTE_PGM_RSRC2:TRAP_HANDLER: 0
; COMPUTE_PGM_RSRC2:TGID_X_EN: 1
; COMPUTE_PGM_RSRC2:TGID_Y_EN: 0
; COMPUTE_PGM_RSRC2:TGID_Z_EN: 0
; COMPUTE_PGM_RSRC2:TIDIG_COMP_CNT: 0
; COMPUTE_PGM_RSRC3_GFX90A:ACCUM_OFFSET: 0
; COMPUTE_PGM_RSRC3_GFX90A:TG_SPLIT: 0
	.section	.text._ZN7rocprim17ROCPRIM_400000_NS6detail17trampoline_kernelINS0_14default_configENS1_35radix_sort_onesweep_config_selectorIjN6thrust23THRUST_200600_302600_NS5tupleIffNS6_9null_typeES8_S8_S8_S8_S8_S8_S8_EEEEZNS1_34radix_sort_onesweep_global_offsetsIS3_Lb0ENS6_6detail15normal_iteratorINS6_10device_ptrIjEEEENSD_INSE_IS9_EEEEjNS0_19identity_decomposerEEE10hipError_tT1_T2_PT3_SN_jT4_jjP12ihipStream_tbEUlT_E0_NS1_11comp_targetILNS1_3genE9ELNS1_11target_archE1100ELNS1_3gpuE3ELNS1_3repE0EEENS1_52radix_sort_onesweep_histogram_config_static_selectorELNS0_4arch9wavefront6targetE1EEEvSL_,"axG",@progbits,_ZN7rocprim17ROCPRIM_400000_NS6detail17trampoline_kernelINS0_14default_configENS1_35radix_sort_onesweep_config_selectorIjN6thrust23THRUST_200600_302600_NS5tupleIffNS6_9null_typeES8_S8_S8_S8_S8_S8_S8_EEEEZNS1_34radix_sort_onesweep_global_offsetsIS3_Lb0ENS6_6detail15normal_iteratorINS6_10device_ptrIjEEEENSD_INSE_IS9_EEEEjNS0_19identity_decomposerEEE10hipError_tT1_T2_PT3_SN_jT4_jjP12ihipStream_tbEUlT_E0_NS1_11comp_targetILNS1_3genE9ELNS1_11target_archE1100ELNS1_3gpuE3ELNS1_3repE0EEENS1_52radix_sort_onesweep_histogram_config_static_selectorELNS0_4arch9wavefront6targetE1EEEvSL_,comdat
	.protected	_ZN7rocprim17ROCPRIM_400000_NS6detail17trampoline_kernelINS0_14default_configENS1_35radix_sort_onesweep_config_selectorIjN6thrust23THRUST_200600_302600_NS5tupleIffNS6_9null_typeES8_S8_S8_S8_S8_S8_S8_EEEEZNS1_34radix_sort_onesweep_global_offsetsIS3_Lb0ENS6_6detail15normal_iteratorINS6_10device_ptrIjEEEENSD_INSE_IS9_EEEEjNS0_19identity_decomposerEEE10hipError_tT1_T2_PT3_SN_jT4_jjP12ihipStream_tbEUlT_E0_NS1_11comp_targetILNS1_3genE9ELNS1_11target_archE1100ELNS1_3gpuE3ELNS1_3repE0EEENS1_52radix_sort_onesweep_histogram_config_static_selectorELNS0_4arch9wavefront6targetE1EEEvSL_ ; -- Begin function _ZN7rocprim17ROCPRIM_400000_NS6detail17trampoline_kernelINS0_14default_configENS1_35radix_sort_onesweep_config_selectorIjN6thrust23THRUST_200600_302600_NS5tupleIffNS6_9null_typeES8_S8_S8_S8_S8_S8_S8_EEEEZNS1_34radix_sort_onesweep_global_offsetsIS3_Lb0ENS6_6detail15normal_iteratorINS6_10device_ptrIjEEEENSD_INSE_IS9_EEEEjNS0_19identity_decomposerEEE10hipError_tT1_T2_PT3_SN_jT4_jjP12ihipStream_tbEUlT_E0_NS1_11comp_targetILNS1_3genE9ELNS1_11target_archE1100ELNS1_3gpuE3ELNS1_3repE0EEENS1_52radix_sort_onesweep_histogram_config_static_selectorELNS0_4arch9wavefront6targetE1EEEvSL_
	.globl	_ZN7rocprim17ROCPRIM_400000_NS6detail17trampoline_kernelINS0_14default_configENS1_35radix_sort_onesweep_config_selectorIjN6thrust23THRUST_200600_302600_NS5tupleIffNS6_9null_typeES8_S8_S8_S8_S8_S8_S8_EEEEZNS1_34radix_sort_onesweep_global_offsetsIS3_Lb0ENS6_6detail15normal_iteratorINS6_10device_ptrIjEEEENSD_INSE_IS9_EEEEjNS0_19identity_decomposerEEE10hipError_tT1_T2_PT3_SN_jT4_jjP12ihipStream_tbEUlT_E0_NS1_11comp_targetILNS1_3genE9ELNS1_11target_archE1100ELNS1_3gpuE3ELNS1_3repE0EEENS1_52radix_sort_onesweep_histogram_config_static_selectorELNS0_4arch9wavefront6targetE1EEEvSL_
	.p2align	8
	.type	_ZN7rocprim17ROCPRIM_400000_NS6detail17trampoline_kernelINS0_14default_configENS1_35radix_sort_onesweep_config_selectorIjN6thrust23THRUST_200600_302600_NS5tupleIffNS6_9null_typeES8_S8_S8_S8_S8_S8_S8_EEEEZNS1_34radix_sort_onesweep_global_offsetsIS3_Lb0ENS6_6detail15normal_iteratorINS6_10device_ptrIjEEEENSD_INSE_IS9_EEEEjNS0_19identity_decomposerEEE10hipError_tT1_T2_PT3_SN_jT4_jjP12ihipStream_tbEUlT_E0_NS1_11comp_targetILNS1_3genE9ELNS1_11target_archE1100ELNS1_3gpuE3ELNS1_3repE0EEENS1_52radix_sort_onesweep_histogram_config_static_selectorELNS0_4arch9wavefront6targetE1EEEvSL_,@function
_ZN7rocprim17ROCPRIM_400000_NS6detail17trampoline_kernelINS0_14default_configENS1_35radix_sort_onesweep_config_selectorIjN6thrust23THRUST_200600_302600_NS5tupleIffNS6_9null_typeES8_S8_S8_S8_S8_S8_S8_EEEEZNS1_34radix_sort_onesweep_global_offsetsIS3_Lb0ENS6_6detail15normal_iteratorINS6_10device_ptrIjEEEENSD_INSE_IS9_EEEEjNS0_19identity_decomposerEEE10hipError_tT1_T2_PT3_SN_jT4_jjP12ihipStream_tbEUlT_E0_NS1_11comp_targetILNS1_3genE9ELNS1_11target_archE1100ELNS1_3gpuE3ELNS1_3repE0EEENS1_52radix_sort_onesweep_histogram_config_static_selectorELNS0_4arch9wavefront6targetE1EEEvSL_: ; @_ZN7rocprim17ROCPRIM_400000_NS6detail17trampoline_kernelINS0_14default_configENS1_35radix_sort_onesweep_config_selectorIjN6thrust23THRUST_200600_302600_NS5tupleIffNS6_9null_typeES8_S8_S8_S8_S8_S8_S8_EEEEZNS1_34radix_sort_onesweep_global_offsetsIS3_Lb0ENS6_6detail15normal_iteratorINS6_10device_ptrIjEEEENSD_INSE_IS9_EEEEjNS0_19identity_decomposerEEE10hipError_tT1_T2_PT3_SN_jT4_jjP12ihipStream_tbEUlT_E0_NS1_11comp_targetILNS1_3genE9ELNS1_11target_archE1100ELNS1_3gpuE3ELNS1_3repE0EEENS1_52radix_sort_onesweep_histogram_config_static_selectorELNS0_4arch9wavefront6targetE1EEEvSL_
; %bb.0:
	.section	.rodata,"a",@progbits
	.p2align	6, 0x0
	.amdhsa_kernel _ZN7rocprim17ROCPRIM_400000_NS6detail17trampoline_kernelINS0_14default_configENS1_35radix_sort_onesweep_config_selectorIjN6thrust23THRUST_200600_302600_NS5tupleIffNS6_9null_typeES8_S8_S8_S8_S8_S8_S8_EEEEZNS1_34radix_sort_onesweep_global_offsetsIS3_Lb0ENS6_6detail15normal_iteratorINS6_10device_ptrIjEEEENSD_INSE_IS9_EEEEjNS0_19identity_decomposerEEE10hipError_tT1_T2_PT3_SN_jT4_jjP12ihipStream_tbEUlT_E0_NS1_11comp_targetILNS1_3genE9ELNS1_11target_archE1100ELNS1_3gpuE3ELNS1_3repE0EEENS1_52radix_sort_onesweep_histogram_config_static_selectorELNS0_4arch9wavefront6targetE1EEEvSL_
		.amdhsa_group_segment_fixed_size 0
		.amdhsa_private_segment_fixed_size 0
		.amdhsa_kernarg_size 8
		.amdhsa_user_sgpr_count 6
		.amdhsa_user_sgpr_private_segment_buffer 1
		.amdhsa_user_sgpr_dispatch_ptr 0
		.amdhsa_user_sgpr_queue_ptr 0
		.amdhsa_user_sgpr_kernarg_segment_ptr 1
		.amdhsa_user_sgpr_dispatch_id 0
		.amdhsa_user_sgpr_flat_scratch_init 0
		.amdhsa_user_sgpr_kernarg_preload_length 0
		.amdhsa_user_sgpr_kernarg_preload_offset 0
		.amdhsa_user_sgpr_private_segment_size 0
		.amdhsa_uses_dynamic_stack 0
		.amdhsa_system_sgpr_private_segment_wavefront_offset 0
		.amdhsa_system_sgpr_workgroup_id_x 1
		.amdhsa_system_sgpr_workgroup_id_y 0
		.amdhsa_system_sgpr_workgroup_id_z 0
		.amdhsa_system_sgpr_workgroup_info 0
		.amdhsa_system_vgpr_workitem_id 0
		.amdhsa_next_free_vgpr 1
		.amdhsa_next_free_sgpr 0
		.amdhsa_accum_offset 4
		.amdhsa_reserve_vcc 0
		.amdhsa_reserve_flat_scratch 0
		.amdhsa_float_round_mode_32 0
		.amdhsa_float_round_mode_16_64 0
		.amdhsa_float_denorm_mode_32 3
		.amdhsa_float_denorm_mode_16_64 3
		.amdhsa_dx10_clamp 1
		.amdhsa_ieee_mode 1
		.amdhsa_fp16_overflow 0
		.amdhsa_tg_split 0
		.amdhsa_exception_fp_ieee_invalid_op 0
		.amdhsa_exception_fp_denorm_src 0
		.amdhsa_exception_fp_ieee_div_zero 0
		.amdhsa_exception_fp_ieee_overflow 0
		.amdhsa_exception_fp_ieee_underflow 0
		.amdhsa_exception_fp_ieee_inexact 0
		.amdhsa_exception_int_div_zero 0
	.end_amdhsa_kernel
	.section	.text._ZN7rocprim17ROCPRIM_400000_NS6detail17trampoline_kernelINS0_14default_configENS1_35radix_sort_onesweep_config_selectorIjN6thrust23THRUST_200600_302600_NS5tupleIffNS6_9null_typeES8_S8_S8_S8_S8_S8_S8_EEEEZNS1_34radix_sort_onesweep_global_offsetsIS3_Lb0ENS6_6detail15normal_iteratorINS6_10device_ptrIjEEEENSD_INSE_IS9_EEEEjNS0_19identity_decomposerEEE10hipError_tT1_T2_PT3_SN_jT4_jjP12ihipStream_tbEUlT_E0_NS1_11comp_targetILNS1_3genE9ELNS1_11target_archE1100ELNS1_3gpuE3ELNS1_3repE0EEENS1_52radix_sort_onesweep_histogram_config_static_selectorELNS0_4arch9wavefront6targetE1EEEvSL_,"axG",@progbits,_ZN7rocprim17ROCPRIM_400000_NS6detail17trampoline_kernelINS0_14default_configENS1_35radix_sort_onesweep_config_selectorIjN6thrust23THRUST_200600_302600_NS5tupleIffNS6_9null_typeES8_S8_S8_S8_S8_S8_S8_EEEEZNS1_34radix_sort_onesweep_global_offsetsIS3_Lb0ENS6_6detail15normal_iteratorINS6_10device_ptrIjEEEENSD_INSE_IS9_EEEEjNS0_19identity_decomposerEEE10hipError_tT1_T2_PT3_SN_jT4_jjP12ihipStream_tbEUlT_E0_NS1_11comp_targetILNS1_3genE9ELNS1_11target_archE1100ELNS1_3gpuE3ELNS1_3repE0EEENS1_52radix_sort_onesweep_histogram_config_static_selectorELNS0_4arch9wavefront6targetE1EEEvSL_,comdat
.Lfunc_end155:
	.size	_ZN7rocprim17ROCPRIM_400000_NS6detail17trampoline_kernelINS0_14default_configENS1_35radix_sort_onesweep_config_selectorIjN6thrust23THRUST_200600_302600_NS5tupleIffNS6_9null_typeES8_S8_S8_S8_S8_S8_S8_EEEEZNS1_34radix_sort_onesweep_global_offsetsIS3_Lb0ENS6_6detail15normal_iteratorINS6_10device_ptrIjEEEENSD_INSE_IS9_EEEEjNS0_19identity_decomposerEEE10hipError_tT1_T2_PT3_SN_jT4_jjP12ihipStream_tbEUlT_E0_NS1_11comp_targetILNS1_3genE9ELNS1_11target_archE1100ELNS1_3gpuE3ELNS1_3repE0EEENS1_52radix_sort_onesweep_histogram_config_static_selectorELNS0_4arch9wavefront6targetE1EEEvSL_, .Lfunc_end155-_ZN7rocprim17ROCPRIM_400000_NS6detail17trampoline_kernelINS0_14default_configENS1_35radix_sort_onesweep_config_selectorIjN6thrust23THRUST_200600_302600_NS5tupleIffNS6_9null_typeES8_S8_S8_S8_S8_S8_S8_EEEEZNS1_34radix_sort_onesweep_global_offsetsIS3_Lb0ENS6_6detail15normal_iteratorINS6_10device_ptrIjEEEENSD_INSE_IS9_EEEEjNS0_19identity_decomposerEEE10hipError_tT1_T2_PT3_SN_jT4_jjP12ihipStream_tbEUlT_E0_NS1_11comp_targetILNS1_3genE9ELNS1_11target_archE1100ELNS1_3gpuE3ELNS1_3repE0EEENS1_52radix_sort_onesweep_histogram_config_static_selectorELNS0_4arch9wavefront6targetE1EEEvSL_
                                        ; -- End function
	.section	.AMDGPU.csdata,"",@progbits
; Kernel info:
; codeLenInByte = 0
; NumSgprs: 4
; NumVgprs: 0
; NumAgprs: 0
; TotalNumVgprs: 0
; ScratchSize: 0
; MemoryBound: 0
; FloatMode: 240
; IeeeMode: 1
; LDSByteSize: 0 bytes/workgroup (compile time only)
; SGPRBlocks: 0
; VGPRBlocks: 0
; NumSGPRsForWavesPerEU: 4
; NumVGPRsForWavesPerEU: 1
; AccumOffset: 4
; Occupancy: 8
; WaveLimiterHint : 0
; COMPUTE_PGM_RSRC2:SCRATCH_EN: 0
; COMPUTE_PGM_RSRC2:USER_SGPR: 6
; COMPUTE_PGM_RSRC2:TRAP_HANDLER: 0
; COMPUTE_PGM_RSRC2:TGID_X_EN: 1
; COMPUTE_PGM_RSRC2:TGID_Y_EN: 0
; COMPUTE_PGM_RSRC2:TGID_Z_EN: 0
; COMPUTE_PGM_RSRC2:TIDIG_COMP_CNT: 0
; COMPUTE_PGM_RSRC3_GFX90A:ACCUM_OFFSET: 0
; COMPUTE_PGM_RSRC3_GFX90A:TG_SPLIT: 0
	.section	.text._ZN7rocprim17ROCPRIM_400000_NS6detail17trampoline_kernelINS0_14default_configENS1_35radix_sort_onesweep_config_selectorIjN6thrust23THRUST_200600_302600_NS5tupleIffNS6_9null_typeES8_S8_S8_S8_S8_S8_S8_EEEEZNS1_34radix_sort_onesweep_global_offsetsIS3_Lb0ENS6_6detail15normal_iteratorINS6_10device_ptrIjEEEENSD_INSE_IS9_EEEEjNS0_19identity_decomposerEEE10hipError_tT1_T2_PT3_SN_jT4_jjP12ihipStream_tbEUlT_E0_NS1_11comp_targetILNS1_3genE8ELNS1_11target_archE1030ELNS1_3gpuE2ELNS1_3repE0EEENS1_52radix_sort_onesweep_histogram_config_static_selectorELNS0_4arch9wavefront6targetE1EEEvSL_,"axG",@progbits,_ZN7rocprim17ROCPRIM_400000_NS6detail17trampoline_kernelINS0_14default_configENS1_35radix_sort_onesweep_config_selectorIjN6thrust23THRUST_200600_302600_NS5tupleIffNS6_9null_typeES8_S8_S8_S8_S8_S8_S8_EEEEZNS1_34radix_sort_onesweep_global_offsetsIS3_Lb0ENS6_6detail15normal_iteratorINS6_10device_ptrIjEEEENSD_INSE_IS9_EEEEjNS0_19identity_decomposerEEE10hipError_tT1_T2_PT3_SN_jT4_jjP12ihipStream_tbEUlT_E0_NS1_11comp_targetILNS1_3genE8ELNS1_11target_archE1030ELNS1_3gpuE2ELNS1_3repE0EEENS1_52radix_sort_onesweep_histogram_config_static_selectorELNS0_4arch9wavefront6targetE1EEEvSL_,comdat
	.protected	_ZN7rocprim17ROCPRIM_400000_NS6detail17trampoline_kernelINS0_14default_configENS1_35radix_sort_onesweep_config_selectorIjN6thrust23THRUST_200600_302600_NS5tupleIffNS6_9null_typeES8_S8_S8_S8_S8_S8_S8_EEEEZNS1_34radix_sort_onesweep_global_offsetsIS3_Lb0ENS6_6detail15normal_iteratorINS6_10device_ptrIjEEEENSD_INSE_IS9_EEEEjNS0_19identity_decomposerEEE10hipError_tT1_T2_PT3_SN_jT4_jjP12ihipStream_tbEUlT_E0_NS1_11comp_targetILNS1_3genE8ELNS1_11target_archE1030ELNS1_3gpuE2ELNS1_3repE0EEENS1_52radix_sort_onesweep_histogram_config_static_selectorELNS0_4arch9wavefront6targetE1EEEvSL_ ; -- Begin function _ZN7rocprim17ROCPRIM_400000_NS6detail17trampoline_kernelINS0_14default_configENS1_35radix_sort_onesweep_config_selectorIjN6thrust23THRUST_200600_302600_NS5tupleIffNS6_9null_typeES8_S8_S8_S8_S8_S8_S8_EEEEZNS1_34radix_sort_onesweep_global_offsetsIS3_Lb0ENS6_6detail15normal_iteratorINS6_10device_ptrIjEEEENSD_INSE_IS9_EEEEjNS0_19identity_decomposerEEE10hipError_tT1_T2_PT3_SN_jT4_jjP12ihipStream_tbEUlT_E0_NS1_11comp_targetILNS1_3genE8ELNS1_11target_archE1030ELNS1_3gpuE2ELNS1_3repE0EEENS1_52radix_sort_onesweep_histogram_config_static_selectorELNS0_4arch9wavefront6targetE1EEEvSL_
	.globl	_ZN7rocprim17ROCPRIM_400000_NS6detail17trampoline_kernelINS0_14default_configENS1_35radix_sort_onesweep_config_selectorIjN6thrust23THRUST_200600_302600_NS5tupleIffNS6_9null_typeES8_S8_S8_S8_S8_S8_S8_EEEEZNS1_34radix_sort_onesweep_global_offsetsIS3_Lb0ENS6_6detail15normal_iteratorINS6_10device_ptrIjEEEENSD_INSE_IS9_EEEEjNS0_19identity_decomposerEEE10hipError_tT1_T2_PT3_SN_jT4_jjP12ihipStream_tbEUlT_E0_NS1_11comp_targetILNS1_3genE8ELNS1_11target_archE1030ELNS1_3gpuE2ELNS1_3repE0EEENS1_52radix_sort_onesweep_histogram_config_static_selectorELNS0_4arch9wavefront6targetE1EEEvSL_
	.p2align	8
	.type	_ZN7rocprim17ROCPRIM_400000_NS6detail17trampoline_kernelINS0_14default_configENS1_35radix_sort_onesweep_config_selectorIjN6thrust23THRUST_200600_302600_NS5tupleIffNS6_9null_typeES8_S8_S8_S8_S8_S8_S8_EEEEZNS1_34radix_sort_onesweep_global_offsetsIS3_Lb0ENS6_6detail15normal_iteratorINS6_10device_ptrIjEEEENSD_INSE_IS9_EEEEjNS0_19identity_decomposerEEE10hipError_tT1_T2_PT3_SN_jT4_jjP12ihipStream_tbEUlT_E0_NS1_11comp_targetILNS1_3genE8ELNS1_11target_archE1030ELNS1_3gpuE2ELNS1_3repE0EEENS1_52radix_sort_onesweep_histogram_config_static_selectorELNS0_4arch9wavefront6targetE1EEEvSL_,@function
_ZN7rocprim17ROCPRIM_400000_NS6detail17trampoline_kernelINS0_14default_configENS1_35radix_sort_onesweep_config_selectorIjN6thrust23THRUST_200600_302600_NS5tupleIffNS6_9null_typeES8_S8_S8_S8_S8_S8_S8_EEEEZNS1_34radix_sort_onesweep_global_offsetsIS3_Lb0ENS6_6detail15normal_iteratorINS6_10device_ptrIjEEEENSD_INSE_IS9_EEEEjNS0_19identity_decomposerEEE10hipError_tT1_T2_PT3_SN_jT4_jjP12ihipStream_tbEUlT_E0_NS1_11comp_targetILNS1_3genE8ELNS1_11target_archE1030ELNS1_3gpuE2ELNS1_3repE0EEENS1_52radix_sort_onesweep_histogram_config_static_selectorELNS0_4arch9wavefront6targetE1EEEvSL_: ; @_ZN7rocprim17ROCPRIM_400000_NS6detail17trampoline_kernelINS0_14default_configENS1_35radix_sort_onesweep_config_selectorIjN6thrust23THRUST_200600_302600_NS5tupleIffNS6_9null_typeES8_S8_S8_S8_S8_S8_S8_EEEEZNS1_34radix_sort_onesweep_global_offsetsIS3_Lb0ENS6_6detail15normal_iteratorINS6_10device_ptrIjEEEENSD_INSE_IS9_EEEEjNS0_19identity_decomposerEEE10hipError_tT1_T2_PT3_SN_jT4_jjP12ihipStream_tbEUlT_E0_NS1_11comp_targetILNS1_3genE8ELNS1_11target_archE1030ELNS1_3gpuE2ELNS1_3repE0EEENS1_52radix_sort_onesweep_histogram_config_static_selectorELNS0_4arch9wavefront6targetE1EEEvSL_
; %bb.0:
	.section	.rodata,"a",@progbits
	.p2align	6, 0x0
	.amdhsa_kernel _ZN7rocprim17ROCPRIM_400000_NS6detail17trampoline_kernelINS0_14default_configENS1_35radix_sort_onesweep_config_selectorIjN6thrust23THRUST_200600_302600_NS5tupleIffNS6_9null_typeES8_S8_S8_S8_S8_S8_S8_EEEEZNS1_34radix_sort_onesweep_global_offsetsIS3_Lb0ENS6_6detail15normal_iteratorINS6_10device_ptrIjEEEENSD_INSE_IS9_EEEEjNS0_19identity_decomposerEEE10hipError_tT1_T2_PT3_SN_jT4_jjP12ihipStream_tbEUlT_E0_NS1_11comp_targetILNS1_3genE8ELNS1_11target_archE1030ELNS1_3gpuE2ELNS1_3repE0EEENS1_52radix_sort_onesweep_histogram_config_static_selectorELNS0_4arch9wavefront6targetE1EEEvSL_
		.amdhsa_group_segment_fixed_size 0
		.amdhsa_private_segment_fixed_size 0
		.amdhsa_kernarg_size 8
		.amdhsa_user_sgpr_count 6
		.amdhsa_user_sgpr_private_segment_buffer 1
		.amdhsa_user_sgpr_dispatch_ptr 0
		.amdhsa_user_sgpr_queue_ptr 0
		.amdhsa_user_sgpr_kernarg_segment_ptr 1
		.amdhsa_user_sgpr_dispatch_id 0
		.amdhsa_user_sgpr_flat_scratch_init 0
		.amdhsa_user_sgpr_kernarg_preload_length 0
		.amdhsa_user_sgpr_kernarg_preload_offset 0
		.amdhsa_user_sgpr_private_segment_size 0
		.amdhsa_uses_dynamic_stack 0
		.amdhsa_system_sgpr_private_segment_wavefront_offset 0
		.amdhsa_system_sgpr_workgroup_id_x 1
		.amdhsa_system_sgpr_workgroup_id_y 0
		.amdhsa_system_sgpr_workgroup_id_z 0
		.amdhsa_system_sgpr_workgroup_info 0
		.amdhsa_system_vgpr_workitem_id 0
		.amdhsa_next_free_vgpr 1
		.amdhsa_next_free_sgpr 0
		.amdhsa_accum_offset 4
		.amdhsa_reserve_vcc 0
		.amdhsa_reserve_flat_scratch 0
		.amdhsa_float_round_mode_32 0
		.amdhsa_float_round_mode_16_64 0
		.amdhsa_float_denorm_mode_32 3
		.amdhsa_float_denorm_mode_16_64 3
		.amdhsa_dx10_clamp 1
		.amdhsa_ieee_mode 1
		.amdhsa_fp16_overflow 0
		.amdhsa_tg_split 0
		.amdhsa_exception_fp_ieee_invalid_op 0
		.amdhsa_exception_fp_denorm_src 0
		.amdhsa_exception_fp_ieee_div_zero 0
		.amdhsa_exception_fp_ieee_overflow 0
		.amdhsa_exception_fp_ieee_underflow 0
		.amdhsa_exception_fp_ieee_inexact 0
		.amdhsa_exception_int_div_zero 0
	.end_amdhsa_kernel
	.section	.text._ZN7rocprim17ROCPRIM_400000_NS6detail17trampoline_kernelINS0_14default_configENS1_35radix_sort_onesweep_config_selectorIjN6thrust23THRUST_200600_302600_NS5tupleIffNS6_9null_typeES8_S8_S8_S8_S8_S8_S8_EEEEZNS1_34radix_sort_onesweep_global_offsetsIS3_Lb0ENS6_6detail15normal_iteratorINS6_10device_ptrIjEEEENSD_INSE_IS9_EEEEjNS0_19identity_decomposerEEE10hipError_tT1_T2_PT3_SN_jT4_jjP12ihipStream_tbEUlT_E0_NS1_11comp_targetILNS1_3genE8ELNS1_11target_archE1030ELNS1_3gpuE2ELNS1_3repE0EEENS1_52radix_sort_onesweep_histogram_config_static_selectorELNS0_4arch9wavefront6targetE1EEEvSL_,"axG",@progbits,_ZN7rocprim17ROCPRIM_400000_NS6detail17trampoline_kernelINS0_14default_configENS1_35radix_sort_onesweep_config_selectorIjN6thrust23THRUST_200600_302600_NS5tupleIffNS6_9null_typeES8_S8_S8_S8_S8_S8_S8_EEEEZNS1_34radix_sort_onesweep_global_offsetsIS3_Lb0ENS6_6detail15normal_iteratorINS6_10device_ptrIjEEEENSD_INSE_IS9_EEEEjNS0_19identity_decomposerEEE10hipError_tT1_T2_PT3_SN_jT4_jjP12ihipStream_tbEUlT_E0_NS1_11comp_targetILNS1_3genE8ELNS1_11target_archE1030ELNS1_3gpuE2ELNS1_3repE0EEENS1_52radix_sort_onesweep_histogram_config_static_selectorELNS0_4arch9wavefront6targetE1EEEvSL_,comdat
.Lfunc_end156:
	.size	_ZN7rocprim17ROCPRIM_400000_NS6detail17trampoline_kernelINS0_14default_configENS1_35radix_sort_onesweep_config_selectorIjN6thrust23THRUST_200600_302600_NS5tupleIffNS6_9null_typeES8_S8_S8_S8_S8_S8_S8_EEEEZNS1_34radix_sort_onesweep_global_offsetsIS3_Lb0ENS6_6detail15normal_iteratorINS6_10device_ptrIjEEEENSD_INSE_IS9_EEEEjNS0_19identity_decomposerEEE10hipError_tT1_T2_PT3_SN_jT4_jjP12ihipStream_tbEUlT_E0_NS1_11comp_targetILNS1_3genE8ELNS1_11target_archE1030ELNS1_3gpuE2ELNS1_3repE0EEENS1_52radix_sort_onesweep_histogram_config_static_selectorELNS0_4arch9wavefront6targetE1EEEvSL_, .Lfunc_end156-_ZN7rocprim17ROCPRIM_400000_NS6detail17trampoline_kernelINS0_14default_configENS1_35radix_sort_onesweep_config_selectorIjN6thrust23THRUST_200600_302600_NS5tupleIffNS6_9null_typeES8_S8_S8_S8_S8_S8_S8_EEEEZNS1_34radix_sort_onesweep_global_offsetsIS3_Lb0ENS6_6detail15normal_iteratorINS6_10device_ptrIjEEEENSD_INSE_IS9_EEEEjNS0_19identity_decomposerEEE10hipError_tT1_T2_PT3_SN_jT4_jjP12ihipStream_tbEUlT_E0_NS1_11comp_targetILNS1_3genE8ELNS1_11target_archE1030ELNS1_3gpuE2ELNS1_3repE0EEENS1_52radix_sort_onesweep_histogram_config_static_selectorELNS0_4arch9wavefront6targetE1EEEvSL_
                                        ; -- End function
	.section	.AMDGPU.csdata,"",@progbits
; Kernel info:
; codeLenInByte = 0
; NumSgprs: 4
; NumVgprs: 0
; NumAgprs: 0
; TotalNumVgprs: 0
; ScratchSize: 0
; MemoryBound: 0
; FloatMode: 240
; IeeeMode: 1
; LDSByteSize: 0 bytes/workgroup (compile time only)
; SGPRBlocks: 0
; VGPRBlocks: 0
; NumSGPRsForWavesPerEU: 4
; NumVGPRsForWavesPerEU: 1
; AccumOffset: 4
; Occupancy: 8
; WaveLimiterHint : 0
; COMPUTE_PGM_RSRC2:SCRATCH_EN: 0
; COMPUTE_PGM_RSRC2:USER_SGPR: 6
; COMPUTE_PGM_RSRC2:TRAP_HANDLER: 0
; COMPUTE_PGM_RSRC2:TGID_X_EN: 1
; COMPUTE_PGM_RSRC2:TGID_Y_EN: 0
; COMPUTE_PGM_RSRC2:TGID_Z_EN: 0
; COMPUTE_PGM_RSRC2:TIDIG_COMP_CNT: 0
; COMPUTE_PGM_RSRC3_GFX90A:ACCUM_OFFSET: 0
; COMPUTE_PGM_RSRC3_GFX90A:TG_SPLIT: 0
	.section	.text._ZN7rocprim17ROCPRIM_400000_NS6detail17trampoline_kernelINS0_14default_configENS1_25transform_config_selectorIjLb0EEEZNS1_14transform_implILb0ES3_S5_N6thrust23THRUST_200600_302600_NS6detail15normal_iteratorINS8_10device_ptrIjEEEEPjNS0_8identityIjEEEE10hipError_tT2_T3_mT4_P12ihipStream_tbEUlT_E_NS1_11comp_targetILNS1_3genE0ELNS1_11target_archE4294967295ELNS1_3gpuE0ELNS1_3repE0EEENS1_30default_config_static_selectorELNS0_4arch9wavefront6targetE1EEEvT1_,"axG",@progbits,_ZN7rocprim17ROCPRIM_400000_NS6detail17trampoline_kernelINS0_14default_configENS1_25transform_config_selectorIjLb0EEEZNS1_14transform_implILb0ES3_S5_N6thrust23THRUST_200600_302600_NS6detail15normal_iteratorINS8_10device_ptrIjEEEEPjNS0_8identityIjEEEE10hipError_tT2_T3_mT4_P12ihipStream_tbEUlT_E_NS1_11comp_targetILNS1_3genE0ELNS1_11target_archE4294967295ELNS1_3gpuE0ELNS1_3repE0EEENS1_30default_config_static_selectorELNS0_4arch9wavefront6targetE1EEEvT1_,comdat
	.protected	_ZN7rocprim17ROCPRIM_400000_NS6detail17trampoline_kernelINS0_14default_configENS1_25transform_config_selectorIjLb0EEEZNS1_14transform_implILb0ES3_S5_N6thrust23THRUST_200600_302600_NS6detail15normal_iteratorINS8_10device_ptrIjEEEEPjNS0_8identityIjEEEE10hipError_tT2_T3_mT4_P12ihipStream_tbEUlT_E_NS1_11comp_targetILNS1_3genE0ELNS1_11target_archE4294967295ELNS1_3gpuE0ELNS1_3repE0EEENS1_30default_config_static_selectorELNS0_4arch9wavefront6targetE1EEEvT1_ ; -- Begin function _ZN7rocprim17ROCPRIM_400000_NS6detail17trampoline_kernelINS0_14default_configENS1_25transform_config_selectorIjLb0EEEZNS1_14transform_implILb0ES3_S5_N6thrust23THRUST_200600_302600_NS6detail15normal_iteratorINS8_10device_ptrIjEEEEPjNS0_8identityIjEEEE10hipError_tT2_T3_mT4_P12ihipStream_tbEUlT_E_NS1_11comp_targetILNS1_3genE0ELNS1_11target_archE4294967295ELNS1_3gpuE0ELNS1_3repE0EEENS1_30default_config_static_selectorELNS0_4arch9wavefront6targetE1EEEvT1_
	.globl	_ZN7rocprim17ROCPRIM_400000_NS6detail17trampoline_kernelINS0_14default_configENS1_25transform_config_selectorIjLb0EEEZNS1_14transform_implILb0ES3_S5_N6thrust23THRUST_200600_302600_NS6detail15normal_iteratorINS8_10device_ptrIjEEEEPjNS0_8identityIjEEEE10hipError_tT2_T3_mT4_P12ihipStream_tbEUlT_E_NS1_11comp_targetILNS1_3genE0ELNS1_11target_archE4294967295ELNS1_3gpuE0ELNS1_3repE0EEENS1_30default_config_static_selectorELNS0_4arch9wavefront6targetE1EEEvT1_
	.p2align	8
	.type	_ZN7rocprim17ROCPRIM_400000_NS6detail17trampoline_kernelINS0_14default_configENS1_25transform_config_selectorIjLb0EEEZNS1_14transform_implILb0ES3_S5_N6thrust23THRUST_200600_302600_NS6detail15normal_iteratorINS8_10device_ptrIjEEEEPjNS0_8identityIjEEEE10hipError_tT2_T3_mT4_P12ihipStream_tbEUlT_E_NS1_11comp_targetILNS1_3genE0ELNS1_11target_archE4294967295ELNS1_3gpuE0ELNS1_3repE0EEENS1_30default_config_static_selectorELNS0_4arch9wavefront6targetE1EEEvT1_,@function
_ZN7rocprim17ROCPRIM_400000_NS6detail17trampoline_kernelINS0_14default_configENS1_25transform_config_selectorIjLb0EEEZNS1_14transform_implILb0ES3_S5_N6thrust23THRUST_200600_302600_NS6detail15normal_iteratorINS8_10device_ptrIjEEEEPjNS0_8identityIjEEEE10hipError_tT2_T3_mT4_P12ihipStream_tbEUlT_E_NS1_11comp_targetILNS1_3genE0ELNS1_11target_archE4294967295ELNS1_3gpuE0ELNS1_3repE0EEENS1_30default_config_static_selectorELNS0_4arch9wavefront6targetE1EEEvT1_: ; @_ZN7rocprim17ROCPRIM_400000_NS6detail17trampoline_kernelINS0_14default_configENS1_25transform_config_selectorIjLb0EEEZNS1_14transform_implILb0ES3_S5_N6thrust23THRUST_200600_302600_NS6detail15normal_iteratorINS8_10device_ptrIjEEEEPjNS0_8identityIjEEEE10hipError_tT2_T3_mT4_P12ihipStream_tbEUlT_E_NS1_11comp_targetILNS1_3genE0ELNS1_11target_archE4294967295ELNS1_3gpuE0ELNS1_3repE0EEENS1_30default_config_static_selectorELNS0_4arch9wavefront6targetE1EEEvT1_
; %bb.0:
	.section	.rodata,"a",@progbits
	.p2align	6, 0x0
	.amdhsa_kernel _ZN7rocprim17ROCPRIM_400000_NS6detail17trampoline_kernelINS0_14default_configENS1_25transform_config_selectorIjLb0EEEZNS1_14transform_implILb0ES3_S5_N6thrust23THRUST_200600_302600_NS6detail15normal_iteratorINS8_10device_ptrIjEEEEPjNS0_8identityIjEEEE10hipError_tT2_T3_mT4_P12ihipStream_tbEUlT_E_NS1_11comp_targetILNS1_3genE0ELNS1_11target_archE4294967295ELNS1_3gpuE0ELNS1_3repE0EEENS1_30default_config_static_selectorELNS0_4arch9wavefront6targetE1EEEvT1_
		.amdhsa_group_segment_fixed_size 0
		.amdhsa_private_segment_fixed_size 0
		.amdhsa_kernarg_size 40
		.amdhsa_user_sgpr_count 6
		.amdhsa_user_sgpr_private_segment_buffer 1
		.amdhsa_user_sgpr_dispatch_ptr 0
		.amdhsa_user_sgpr_queue_ptr 0
		.amdhsa_user_sgpr_kernarg_segment_ptr 1
		.amdhsa_user_sgpr_dispatch_id 0
		.amdhsa_user_sgpr_flat_scratch_init 0
		.amdhsa_user_sgpr_kernarg_preload_length 0
		.amdhsa_user_sgpr_kernarg_preload_offset 0
		.amdhsa_user_sgpr_private_segment_size 0
		.amdhsa_uses_dynamic_stack 0
		.amdhsa_system_sgpr_private_segment_wavefront_offset 0
		.amdhsa_system_sgpr_workgroup_id_x 1
		.amdhsa_system_sgpr_workgroup_id_y 0
		.amdhsa_system_sgpr_workgroup_id_z 0
		.amdhsa_system_sgpr_workgroup_info 0
		.amdhsa_system_vgpr_workitem_id 0
		.amdhsa_next_free_vgpr 1
		.amdhsa_next_free_sgpr 0
		.amdhsa_accum_offset 4
		.amdhsa_reserve_vcc 0
		.amdhsa_reserve_flat_scratch 0
		.amdhsa_float_round_mode_32 0
		.amdhsa_float_round_mode_16_64 0
		.amdhsa_float_denorm_mode_32 3
		.amdhsa_float_denorm_mode_16_64 3
		.amdhsa_dx10_clamp 1
		.amdhsa_ieee_mode 1
		.amdhsa_fp16_overflow 0
		.amdhsa_tg_split 0
		.amdhsa_exception_fp_ieee_invalid_op 0
		.amdhsa_exception_fp_denorm_src 0
		.amdhsa_exception_fp_ieee_div_zero 0
		.amdhsa_exception_fp_ieee_overflow 0
		.amdhsa_exception_fp_ieee_underflow 0
		.amdhsa_exception_fp_ieee_inexact 0
		.amdhsa_exception_int_div_zero 0
	.end_amdhsa_kernel
	.section	.text._ZN7rocprim17ROCPRIM_400000_NS6detail17trampoline_kernelINS0_14default_configENS1_25transform_config_selectorIjLb0EEEZNS1_14transform_implILb0ES3_S5_N6thrust23THRUST_200600_302600_NS6detail15normal_iteratorINS8_10device_ptrIjEEEEPjNS0_8identityIjEEEE10hipError_tT2_T3_mT4_P12ihipStream_tbEUlT_E_NS1_11comp_targetILNS1_3genE0ELNS1_11target_archE4294967295ELNS1_3gpuE0ELNS1_3repE0EEENS1_30default_config_static_selectorELNS0_4arch9wavefront6targetE1EEEvT1_,"axG",@progbits,_ZN7rocprim17ROCPRIM_400000_NS6detail17trampoline_kernelINS0_14default_configENS1_25transform_config_selectorIjLb0EEEZNS1_14transform_implILb0ES3_S5_N6thrust23THRUST_200600_302600_NS6detail15normal_iteratorINS8_10device_ptrIjEEEEPjNS0_8identityIjEEEE10hipError_tT2_T3_mT4_P12ihipStream_tbEUlT_E_NS1_11comp_targetILNS1_3genE0ELNS1_11target_archE4294967295ELNS1_3gpuE0ELNS1_3repE0EEENS1_30default_config_static_selectorELNS0_4arch9wavefront6targetE1EEEvT1_,comdat
.Lfunc_end157:
	.size	_ZN7rocprim17ROCPRIM_400000_NS6detail17trampoline_kernelINS0_14default_configENS1_25transform_config_selectorIjLb0EEEZNS1_14transform_implILb0ES3_S5_N6thrust23THRUST_200600_302600_NS6detail15normal_iteratorINS8_10device_ptrIjEEEEPjNS0_8identityIjEEEE10hipError_tT2_T3_mT4_P12ihipStream_tbEUlT_E_NS1_11comp_targetILNS1_3genE0ELNS1_11target_archE4294967295ELNS1_3gpuE0ELNS1_3repE0EEENS1_30default_config_static_selectorELNS0_4arch9wavefront6targetE1EEEvT1_, .Lfunc_end157-_ZN7rocprim17ROCPRIM_400000_NS6detail17trampoline_kernelINS0_14default_configENS1_25transform_config_selectorIjLb0EEEZNS1_14transform_implILb0ES3_S5_N6thrust23THRUST_200600_302600_NS6detail15normal_iteratorINS8_10device_ptrIjEEEEPjNS0_8identityIjEEEE10hipError_tT2_T3_mT4_P12ihipStream_tbEUlT_E_NS1_11comp_targetILNS1_3genE0ELNS1_11target_archE4294967295ELNS1_3gpuE0ELNS1_3repE0EEENS1_30default_config_static_selectorELNS0_4arch9wavefront6targetE1EEEvT1_
                                        ; -- End function
	.section	.AMDGPU.csdata,"",@progbits
; Kernel info:
; codeLenInByte = 0
; NumSgprs: 4
; NumVgprs: 0
; NumAgprs: 0
; TotalNumVgprs: 0
; ScratchSize: 0
; MemoryBound: 0
; FloatMode: 240
; IeeeMode: 1
; LDSByteSize: 0 bytes/workgroup (compile time only)
; SGPRBlocks: 0
; VGPRBlocks: 0
; NumSGPRsForWavesPerEU: 4
; NumVGPRsForWavesPerEU: 1
; AccumOffset: 4
; Occupancy: 8
; WaveLimiterHint : 0
; COMPUTE_PGM_RSRC2:SCRATCH_EN: 0
; COMPUTE_PGM_RSRC2:USER_SGPR: 6
; COMPUTE_PGM_RSRC2:TRAP_HANDLER: 0
; COMPUTE_PGM_RSRC2:TGID_X_EN: 1
; COMPUTE_PGM_RSRC2:TGID_Y_EN: 0
; COMPUTE_PGM_RSRC2:TGID_Z_EN: 0
; COMPUTE_PGM_RSRC2:TIDIG_COMP_CNT: 0
; COMPUTE_PGM_RSRC3_GFX90A:ACCUM_OFFSET: 0
; COMPUTE_PGM_RSRC3_GFX90A:TG_SPLIT: 0
	.section	.text._ZN7rocprim17ROCPRIM_400000_NS6detail17trampoline_kernelINS0_14default_configENS1_25transform_config_selectorIjLb0EEEZNS1_14transform_implILb0ES3_S5_N6thrust23THRUST_200600_302600_NS6detail15normal_iteratorINS8_10device_ptrIjEEEEPjNS0_8identityIjEEEE10hipError_tT2_T3_mT4_P12ihipStream_tbEUlT_E_NS1_11comp_targetILNS1_3genE5ELNS1_11target_archE942ELNS1_3gpuE9ELNS1_3repE0EEENS1_30default_config_static_selectorELNS0_4arch9wavefront6targetE1EEEvT1_,"axG",@progbits,_ZN7rocprim17ROCPRIM_400000_NS6detail17trampoline_kernelINS0_14default_configENS1_25transform_config_selectorIjLb0EEEZNS1_14transform_implILb0ES3_S5_N6thrust23THRUST_200600_302600_NS6detail15normal_iteratorINS8_10device_ptrIjEEEEPjNS0_8identityIjEEEE10hipError_tT2_T3_mT4_P12ihipStream_tbEUlT_E_NS1_11comp_targetILNS1_3genE5ELNS1_11target_archE942ELNS1_3gpuE9ELNS1_3repE0EEENS1_30default_config_static_selectorELNS0_4arch9wavefront6targetE1EEEvT1_,comdat
	.protected	_ZN7rocprim17ROCPRIM_400000_NS6detail17trampoline_kernelINS0_14default_configENS1_25transform_config_selectorIjLb0EEEZNS1_14transform_implILb0ES3_S5_N6thrust23THRUST_200600_302600_NS6detail15normal_iteratorINS8_10device_ptrIjEEEEPjNS0_8identityIjEEEE10hipError_tT2_T3_mT4_P12ihipStream_tbEUlT_E_NS1_11comp_targetILNS1_3genE5ELNS1_11target_archE942ELNS1_3gpuE9ELNS1_3repE0EEENS1_30default_config_static_selectorELNS0_4arch9wavefront6targetE1EEEvT1_ ; -- Begin function _ZN7rocprim17ROCPRIM_400000_NS6detail17trampoline_kernelINS0_14default_configENS1_25transform_config_selectorIjLb0EEEZNS1_14transform_implILb0ES3_S5_N6thrust23THRUST_200600_302600_NS6detail15normal_iteratorINS8_10device_ptrIjEEEEPjNS0_8identityIjEEEE10hipError_tT2_T3_mT4_P12ihipStream_tbEUlT_E_NS1_11comp_targetILNS1_3genE5ELNS1_11target_archE942ELNS1_3gpuE9ELNS1_3repE0EEENS1_30default_config_static_selectorELNS0_4arch9wavefront6targetE1EEEvT1_
	.globl	_ZN7rocprim17ROCPRIM_400000_NS6detail17trampoline_kernelINS0_14default_configENS1_25transform_config_selectorIjLb0EEEZNS1_14transform_implILb0ES3_S5_N6thrust23THRUST_200600_302600_NS6detail15normal_iteratorINS8_10device_ptrIjEEEEPjNS0_8identityIjEEEE10hipError_tT2_T3_mT4_P12ihipStream_tbEUlT_E_NS1_11comp_targetILNS1_3genE5ELNS1_11target_archE942ELNS1_3gpuE9ELNS1_3repE0EEENS1_30default_config_static_selectorELNS0_4arch9wavefront6targetE1EEEvT1_
	.p2align	8
	.type	_ZN7rocprim17ROCPRIM_400000_NS6detail17trampoline_kernelINS0_14default_configENS1_25transform_config_selectorIjLb0EEEZNS1_14transform_implILb0ES3_S5_N6thrust23THRUST_200600_302600_NS6detail15normal_iteratorINS8_10device_ptrIjEEEEPjNS0_8identityIjEEEE10hipError_tT2_T3_mT4_P12ihipStream_tbEUlT_E_NS1_11comp_targetILNS1_3genE5ELNS1_11target_archE942ELNS1_3gpuE9ELNS1_3repE0EEENS1_30default_config_static_selectorELNS0_4arch9wavefront6targetE1EEEvT1_,@function
_ZN7rocprim17ROCPRIM_400000_NS6detail17trampoline_kernelINS0_14default_configENS1_25transform_config_selectorIjLb0EEEZNS1_14transform_implILb0ES3_S5_N6thrust23THRUST_200600_302600_NS6detail15normal_iteratorINS8_10device_ptrIjEEEEPjNS0_8identityIjEEEE10hipError_tT2_T3_mT4_P12ihipStream_tbEUlT_E_NS1_11comp_targetILNS1_3genE5ELNS1_11target_archE942ELNS1_3gpuE9ELNS1_3repE0EEENS1_30default_config_static_selectorELNS0_4arch9wavefront6targetE1EEEvT1_: ; @_ZN7rocprim17ROCPRIM_400000_NS6detail17trampoline_kernelINS0_14default_configENS1_25transform_config_selectorIjLb0EEEZNS1_14transform_implILb0ES3_S5_N6thrust23THRUST_200600_302600_NS6detail15normal_iteratorINS8_10device_ptrIjEEEEPjNS0_8identityIjEEEE10hipError_tT2_T3_mT4_P12ihipStream_tbEUlT_E_NS1_11comp_targetILNS1_3genE5ELNS1_11target_archE942ELNS1_3gpuE9ELNS1_3repE0EEENS1_30default_config_static_selectorELNS0_4arch9wavefront6targetE1EEEvT1_
; %bb.0:
	.section	.rodata,"a",@progbits
	.p2align	6, 0x0
	.amdhsa_kernel _ZN7rocprim17ROCPRIM_400000_NS6detail17trampoline_kernelINS0_14default_configENS1_25transform_config_selectorIjLb0EEEZNS1_14transform_implILb0ES3_S5_N6thrust23THRUST_200600_302600_NS6detail15normal_iteratorINS8_10device_ptrIjEEEEPjNS0_8identityIjEEEE10hipError_tT2_T3_mT4_P12ihipStream_tbEUlT_E_NS1_11comp_targetILNS1_3genE5ELNS1_11target_archE942ELNS1_3gpuE9ELNS1_3repE0EEENS1_30default_config_static_selectorELNS0_4arch9wavefront6targetE1EEEvT1_
		.amdhsa_group_segment_fixed_size 0
		.amdhsa_private_segment_fixed_size 0
		.amdhsa_kernarg_size 40
		.amdhsa_user_sgpr_count 6
		.amdhsa_user_sgpr_private_segment_buffer 1
		.amdhsa_user_sgpr_dispatch_ptr 0
		.amdhsa_user_sgpr_queue_ptr 0
		.amdhsa_user_sgpr_kernarg_segment_ptr 1
		.amdhsa_user_sgpr_dispatch_id 0
		.amdhsa_user_sgpr_flat_scratch_init 0
		.amdhsa_user_sgpr_kernarg_preload_length 0
		.amdhsa_user_sgpr_kernarg_preload_offset 0
		.amdhsa_user_sgpr_private_segment_size 0
		.amdhsa_uses_dynamic_stack 0
		.amdhsa_system_sgpr_private_segment_wavefront_offset 0
		.amdhsa_system_sgpr_workgroup_id_x 1
		.amdhsa_system_sgpr_workgroup_id_y 0
		.amdhsa_system_sgpr_workgroup_id_z 0
		.amdhsa_system_sgpr_workgroup_info 0
		.amdhsa_system_vgpr_workitem_id 0
		.amdhsa_next_free_vgpr 1
		.amdhsa_next_free_sgpr 0
		.amdhsa_accum_offset 4
		.amdhsa_reserve_vcc 0
		.amdhsa_reserve_flat_scratch 0
		.amdhsa_float_round_mode_32 0
		.amdhsa_float_round_mode_16_64 0
		.amdhsa_float_denorm_mode_32 3
		.amdhsa_float_denorm_mode_16_64 3
		.amdhsa_dx10_clamp 1
		.amdhsa_ieee_mode 1
		.amdhsa_fp16_overflow 0
		.amdhsa_tg_split 0
		.amdhsa_exception_fp_ieee_invalid_op 0
		.amdhsa_exception_fp_denorm_src 0
		.amdhsa_exception_fp_ieee_div_zero 0
		.amdhsa_exception_fp_ieee_overflow 0
		.amdhsa_exception_fp_ieee_underflow 0
		.amdhsa_exception_fp_ieee_inexact 0
		.amdhsa_exception_int_div_zero 0
	.end_amdhsa_kernel
	.section	.text._ZN7rocprim17ROCPRIM_400000_NS6detail17trampoline_kernelINS0_14default_configENS1_25transform_config_selectorIjLb0EEEZNS1_14transform_implILb0ES3_S5_N6thrust23THRUST_200600_302600_NS6detail15normal_iteratorINS8_10device_ptrIjEEEEPjNS0_8identityIjEEEE10hipError_tT2_T3_mT4_P12ihipStream_tbEUlT_E_NS1_11comp_targetILNS1_3genE5ELNS1_11target_archE942ELNS1_3gpuE9ELNS1_3repE0EEENS1_30default_config_static_selectorELNS0_4arch9wavefront6targetE1EEEvT1_,"axG",@progbits,_ZN7rocprim17ROCPRIM_400000_NS6detail17trampoline_kernelINS0_14default_configENS1_25transform_config_selectorIjLb0EEEZNS1_14transform_implILb0ES3_S5_N6thrust23THRUST_200600_302600_NS6detail15normal_iteratorINS8_10device_ptrIjEEEEPjNS0_8identityIjEEEE10hipError_tT2_T3_mT4_P12ihipStream_tbEUlT_E_NS1_11comp_targetILNS1_3genE5ELNS1_11target_archE942ELNS1_3gpuE9ELNS1_3repE0EEENS1_30default_config_static_selectorELNS0_4arch9wavefront6targetE1EEEvT1_,comdat
.Lfunc_end158:
	.size	_ZN7rocprim17ROCPRIM_400000_NS6detail17trampoline_kernelINS0_14default_configENS1_25transform_config_selectorIjLb0EEEZNS1_14transform_implILb0ES3_S5_N6thrust23THRUST_200600_302600_NS6detail15normal_iteratorINS8_10device_ptrIjEEEEPjNS0_8identityIjEEEE10hipError_tT2_T3_mT4_P12ihipStream_tbEUlT_E_NS1_11comp_targetILNS1_3genE5ELNS1_11target_archE942ELNS1_3gpuE9ELNS1_3repE0EEENS1_30default_config_static_selectorELNS0_4arch9wavefront6targetE1EEEvT1_, .Lfunc_end158-_ZN7rocprim17ROCPRIM_400000_NS6detail17trampoline_kernelINS0_14default_configENS1_25transform_config_selectorIjLb0EEEZNS1_14transform_implILb0ES3_S5_N6thrust23THRUST_200600_302600_NS6detail15normal_iteratorINS8_10device_ptrIjEEEEPjNS0_8identityIjEEEE10hipError_tT2_T3_mT4_P12ihipStream_tbEUlT_E_NS1_11comp_targetILNS1_3genE5ELNS1_11target_archE942ELNS1_3gpuE9ELNS1_3repE0EEENS1_30default_config_static_selectorELNS0_4arch9wavefront6targetE1EEEvT1_
                                        ; -- End function
	.section	.AMDGPU.csdata,"",@progbits
; Kernel info:
; codeLenInByte = 0
; NumSgprs: 4
; NumVgprs: 0
; NumAgprs: 0
; TotalNumVgprs: 0
; ScratchSize: 0
; MemoryBound: 0
; FloatMode: 240
; IeeeMode: 1
; LDSByteSize: 0 bytes/workgroup (compile time only)
; SGPRBlocks: 0
; VGPRBlocks: 0
; NumSGPRsForWavesPerEU: 4
; NumVGPRsForWavesPerEU: 1
; AccumOffset: 4
; Occupancy: 8
; WaveLimiterHint : 0
; COMPUTE_PGM_RSRC2:SCRATCH_EN: 0
; COMPUTE_PGM_RSRC2:USER_SGPR: 6
; COMPUTE_PGM_RSRC2:TRAP_HANDLER: 0
; COMPUTE_PGM_RSRC2:TGID_X_EN: 1
; COMPUTE_PGM_RSRC2:TGID_Y_EN: 0
; COMPUTE_PGM_RSRC2:TGID_Z_EN: 0
; COMPUTE_PGM_RSRC2:TIDIG_COMP_CNT: 0
; COMPUTE_PGM_RSRC3_GFX90A:ACCUM_OFFSET: 0
; COMPUTE_PGM_RSRC3_GFX90A:TG_SPLIT: 0
	.section	.text._ZN7rocprim17ROCPRIM_400000_NS6detail17trampoline_kernelINS0_14default_configENS1_25transform_config_selectorIjLb0EEEZNS1_14transform_implILb0ES3_S5_N6thrust23THRUST_200600_302600_NS6detail15normal_iteratorINS8_10device_ptrIjEEEEPjNS0_8identityIjEEEE10hipError_tT2_T3_mT4_P12ihipStream_tbEUlT_E_NS1_11comp_targetILNS1_3genE4ELNS1_11target_archE910ELNS1_3gpuE8ELNS1_3repE0EEENS1_30default_config_static_selectorELNS0_4arch9wavefront6targetE1EEEvT1_,"axG",@progbits,_ZN7rocprim17ROCPRIM_400000_NS6detail17trampoline_kernelINS0_14default_configENS1_25transform_config_selectorIjLb0EEEZNS1_14transform_implILb0ES3_S5_N6thrust23THRUST_200600_302600_NS6detail15normal_iteratorINS8_10device_ptrIjEEEEPjNS0_8identityIjEEEE10hipError_tT2_T3_mT4_P12ihipStream_tbEUlT_E_NS1_11comp_targetILNS1_3genE4ELNS1_11target_archE910ELNS1_3gpuE8ELNS1_3repE0EEENS1_30default_config_static_selectorELNS0_4arch9wavefront6targetE1EEEvT1_,comdat
	.protected	_ZN7rocprim17ROCPRIM_400000_NS6detail17trampoline_kernelINS0_14default_configENS1_25transform_config_selectorIjLb0EEEZNS1_14transform_implILb0ES3_S5_N6thrust23THRUST_200600_302600_NS6detail15normal_iteratorINS8_10device_ptrIjEEEEPjNS0_8identityIjEEEE10hipError_tT2_T3_mT4_P12ihipStream_tbEUlT_E_NS1_11comp_targetILNS1_3genE4ELNS1_11target_archE910ELNS1_3gpuE8ELNS1_3repE0EEENS1_30default_config_static_selectorELNS0_4arch9wavefront6targetE1EEEvT1_ ; -- Begin function _ZN7rocprim17ROCPRIM_400000_NS6detail17trampoline_kernelINS0_14default_configENS1_25transform_config_selectorIjLb0EEEZNS1_14transform_implILb0ES3_S5_N6thrust23THRUST_200600_302600_NS6detail15normal_iteratorINS8_10device_ptrIjEEEEPjNS0_8identityIjEEEE10hipError_tT2_T3_mT4_P12ihipStream_tbEUlT_E_NS1_11comp_targetILNS1_3genE4ELNS1_11target_archE910ELNS1_3gpuE8ELNS1_3repE0EEENS1_30default_config_static_selectorELNS0_4arch9wavefront6targetE1EEEvT1_
	.globl	_ZN7rocprim17ROCPRIM_400000_NS6detail17trampoline_kernelINS0_14default_configENS1_25transform_config_selectorIjLb0EEEZNS1_14transform_implILb0ES3_S5_N6thrust23THRUST_200600_302600_NS6detail15normal_iteratorINS8_10device_ptrIjEEEEPjNS0_8identityIjEEEE10hipError_tT2_T3_mT4_P12ihipStream_tbEUlT_E_NS1_11comp_targetILNS1_3genE4ELNS1_11target_archE910ELNS1_3gpuE8ELNS1_3repE0EEENS1_30default_config_static_selectorELNS0_4arch9wavefront6targetE1EEEvT1_
	.p2align	8
	.type	_ZN7rocprim17ROCPRIM_400000_NS6detail17trampoline_kernelINS0_14default_configENS1_25transform_config_selectorIjLb0EEEZNS1_14transform_implILb0ES3_S5_N6thrust23THRUST_200600_302600_NS6detail15normal_iteratorINS8_10device_ptrIjEEEEPjNS0_8identityIjEEEE10hipError_tT2_T3_mT4_P12ihipStream_tbEUlT_E_NS1_11comp_targetILNS1_3genE4ELNS1_11target_archE910ELNS1_3gpuE8ELNS1_3repE0EEENS1_30default_config_static_selectorELNS0_4arch9wavefront6targetE1EEEvT1_,@function
_ZN7rocprim17ROCPRIM_400000_NS6detail17trampoline_kernelINS0_14default_configENS1_25transform_config_selectorIjLb0EEEZNS1_14transform_implILb0ES3_S5_N6thrust23THRUST_200600_302600_NS6detail15normal_iteratorINS8_10device_ptrIjEEEEPjNS0_8identityIjEEEE10hipError_tT2_T3_mT4_P12ihipStream_tbEUlT_E_NS1_11comp_targetILNS1_3genE4ELNS1_11target_archE910ELNS1_3gpuE8ELNS1_3repE0EEENS1_30default_config_static_selectorELNS0_4arch9wavefront6targetE1EEEvT1_: ; @_ZN7rocprim17ROCPRIM_400000_NS6detail17trampoline_kernelINS0_14default_configENS1_25transform_config_selectorIjLb0EEEZNS1_14transform_implILb0ES3_S5_N6thrust23THRUST_200600_302600_NS6detail15normal_iteratorINS8_10device_ptrIjEEEEPjNS0_8identityIjEEEE10hipError_tT2_T3_mT4_P12ihipStream_tbEUlT_E_NS1_11comp_targetILNS1_3genE4ELNS1_11target_archE910ELNS1_3gpuE8ELNS1_3repE0EEENS1_30default_config_static_selectorELNS0_4arch9wavefront6targetE1EEEvT1_
; %bb.0:
	s_load_dwordx8 s[8:15], s[4:5], 0x0
	s_load_dword s2, s[4:5], 0x28
	v_lshlrev_b32_e32 v1, 2, v0
	s_waitcnt lgkmcnt(0)
	s_lshl_b64 s[0:1], s[10:11], 2
	s_add_u32 s3, s8, s0
	s_addc_u32 s4, s9, s1
	s_add_u32 s10, s14, s0
	s_addc_u32 s11, s15, s1
	s_lshl_b32 s0, s6, 11
	s_mov_b32 s1, 0
	s_add_i32 s2, s2, -1
	s_lshl_b64 s[8:9], s[0:1], 2
	s_add_u32 s13, s3, s8
	s_addc_u32 s14, s4, s9
	s_cmp_lg_u32 s6, s2
	s_cbranch_scc0 .LBB159_2
; %bb.1:
	v_mov_b32_e32 v3, s14
	v_add_co_u32_e32 v2, vcc, s13, v1
	v_addc_co_u32_e32 v3, vcc, 0, v3, vcc
	flat_load_dword v6, v[2:3]
	v_add_co_u32_e32 v2, vcc, 0x1000, v2
	v_addc_co_u32_e32 v3, vcc, 0, v3, vcc
	flat_load_dword v3, v[2:3]
	s_add_u32 s4, s10, s8
	s_addc_u32 s5, s11, s9
	v_mov_b32_e32 v2, s5
	v_add_co_u32_e32 v4, vcc, s4, v1
	v_addc_co_u32_e32 v5, vcc, 0, v2, vcc
	s_waitcnt vmcnt(0) lgkmcnt(0)
	global_store_dword v1, v6, s[4:5]
	s_mov_b64 s[4:5], -1
	s_cbranch_execz .LBB159_3
	s_branch .LBB159_12
.LBB159_2:
	s_mov_b64 s[4:5], 0
                                        ; implicit-def: $vgpr3
                                        ; implicit-def: $vgpr4_vgpr5
.LBB159_3:
	s_sub_i32 s6, s12, s0
	v_cmp_gt_u32_e32 vcc, s6, v0
                                        ; implicit-def: $vgpr2_vgpr3
	s_and_saveexec_b64 s[2:3], vcc
	s_cbranch_execz .LBB159_5
; %bb.4:
	v_mov_b32_e32 v3, s14
	v_add_co_u32_e64 v2, s[0:1], s13, v1
	v_addc_co_u32_e64 v3, s[0:1], 0, v3, s[0:1]
	flat_load_dword v2, v[2:3]
.LBB159_5:
	s_or_b64 exec, exec, s[2:3]
	v_or_b32_e32 v0, 0x400, v0
	v_cmp_gt_u32_e64 s[0:1], s6, v0
	s_and_saveexec_b64 s[6:7], s[0:1]
	s_cbranch_execz .LBB159_7
; %bb.6:
	v_lshlrev_b32_e32 v0, 2, v0
	v_mov_b32_e32 v3, s14
	v_add_co_u32_e64 v4, s[2:3], s13, v0
	v_addc_co_u32_e64 v5, s[2:3], 0, v3, s[2:3]
	flat_load_dword v3, v[4:5]
.LBB159_7:
	s_or_b64 exec, exec, s[6:7]
	s_add_u32 s2, s10, s8
	s_addc_u32 s3, s11, s9
	v_mov_b32_e32 v0, s3
	v_add_co_u32_e64 v4, s[2:3], s2, v1
	v_addc_co_u32_e64 v5, s[2:3], 0, v0, s[2:3]
	s_and_saveexec_b64 s[2:3], vcc
	s_cbranch_execz .LBB159_9
; %bb.8:
	s_waitcnt vmcnt(0) lgkmcnt(0)
	global_store_dword v[4:5], v2, off
.LBB159_9:
	s_or_b64 exec, exec, s[2:3]
	s_and_saveexec_b64 s[2:3], s[0:1]
; %bb.10:
	s_or_b64 s[4:5], s[4:5], exec
; %bb.11:
	s_or_b64 exec, exec, s[2:3]
.LBB159_12:
	s_and_saveexec_b64 s[0:1], s[4:5]
	s_cbranch_execnz .LBB159_14
; %bb.13:
	s_endpgm
.LBB159_14:
	v_add_co_u32_e32 v0, vcc, 0x1000, v4
	v_addc_co_u32_e32 v1, vcc, 0, v5, vcc
	s_waitcnt vmcnt(0) lgkmcnt(0)
	global_store_dword v[0:1], v3, off
	s_endpgm
	.section	.rodata,"a",@progbits
	.p2align	6, 0x0
	.amdhsa_kernel _ZN7rocprim17ROCPRIM_400000_NS6detail17trampoline_kernelINS0_14default_configENS1_25transform_config_selectorIjLb0EEEZNS1_14transform_implILb0ES3_S5_N6thrust23THRUST_200600_302600_NS6detail15normal_iteratorINS8_10device_ptrIjEEEEPjNS0_8identityIjEEEE10hipError_tT2_T3_mT4_P12ihipStream_tbEUlT_E_NS1_11comp_targetILNS1_3genE4ELNS1_11target_archE910ELNS1_3gpuE8ELNS1_3repE0EEENS1_30default_config_static_selectorELNS0_4arch9wavefront6targetE1EEEvT1_
		.amdhsa_group_segment_fixed_size 0
		.amdhsa_private_segment_fixed_size 0
		.amdhsa_kernarg_size 296
		.amdhsa_user_sgpr_count 6
		.amdhsa_user_sgpr_private_segment_buffer 1
		.amdhsa_user_sgpr_dispatch_ptr 0
		.amdhsa_user_sgpr_queue_ptr 0
		.amdhsa_user_sgpr_kernarg_segment_ptr 1
		.amdhsa_user_sgpr_dispatch_id 0
		.amdhsa_user_sgpr_flat_scratch_init 0
		.amdhsa_user_sgpr_kernarg_preload_length 0
		.amdhsa_user_sgpr_kernarg_preload_offset 0
		.amdhsa_user_sgpr_private_segment_size 0
		.amdhsa_uses_dynamic_stack 0
		.amdhsa_system_sgpr_private_segment_wavefront_offset 0
		.amdhsa_system_sgpr_workgroup_id_x 1
		.amdhsa_system_sgpr_workgroup_id_y 0
		.amdhsa_system_sgpr_workgroup_id_z 0
		.amdhsa_system_sgpr_workgroup_info 0
		.amdhsa_system_vgpr_workitem_id 0
		.amdhsa_next_free_vgpr 7
		.amdhsa_next_free_sgpr 16
		.amdhsa_accum_offset 8
		.amdhsa_reserve_vcc 1
		.amdhsa_reserve_flat_scratch 0
		.amdhsa_float_round_mode_32 0
		.amdhsa_float_round_mode_16_64 0
		.amdhsa_float_denorm_mode_32 3
		.amdhsa_float_denorm_mode_16_64 3
		.amdhsa_dx10_clamp 1
		.amdhsa_ieee_mode 1
		.amdhsa_fp16_overflow 0
		.amdhsa_tg_split 0
		.amdhsa_exception_fp_ieee_invalid_op 0
		.amdhsa_exception_fp_denorm_src 0
		.amdhsa_exception_fp_ieee_div_zero 0
		.amdhsa_exception_fp_ieee_overflow 0
		.amdhsa_exception_fp_ieee_underflow 0
		.amdhsa_exception_fp_ieee_inexact 0
		.amdhsa_exception_int_div_zero 0
	.end_amdhsa_kernel
	.section	.text._ZN7rocprim17ROCPRIM_400000_NS6detail17trampoline_kernelINS0_14default_configENS1_25transform_config_selectorIjLb0EEEZNS1_14transform_implILb0ES3_S5_N6thrust23THRUST_200600_302600_NS6detail15normal_iteratorINS8_10device_ptrIjEEEEPjNS0_8identityIjEEEE10hipError_tT2_T3_mT4_P12ihipStream_tbEUlT_E_NS1_11comp_targetILNS1_3genE4ELNS1_11target_archE910ELNS1_3gpuE8ELNS1_3repE0EEENS1_30default_config_static_selectorELNS0_4arch9wavefront6targetE1EEEvT1_,"axG",@progbits,_ZN7rocprim17ROCPRIM_400000_NS6detail17trampoline_kernelINS0_14default_configENS1_25transform_config_selectorIjLb0EEEZNS1_14transform_implILb0ES3_S5_N6thrust23THRUST_200600_302600_NS6detail15normal_iteratorINS8_10device_ptrIjEEEEPjNS0_8identityIjEEEE10hipError_tT2_T3_mT4_P12ihipStream_tbEUlT_E_NS1_11comp_targetILNS1_3genE4ELNS1_11target_archE910ELNS1_3gpuE8ELNS1_3repE0EEENS1_30default_config_static_selectorELNS0_4arch9wavefront6targetE1EEEvT1_,comdat
.Lfunc_end159:
	.size	_ZN7rocprim17ROCPRIM_400000_NS6detail17trampoline_kernelINS0_14default_configENS1_25transform_config_selectorIjLb0EEEZNS1_14transform_implILb0ES3_S5_N6thrust23THRUST_200600_302600_NS6detail15normal_iteratorINS8_10device_ptrIjEEEEPjNS0_8identityIjEEEE10hipError_tT2_T3_mT4_P12ihipStream_tbEUlT_E_NS1_11comp_targetILNS1_3genE4ELNS1_11target_archE910ELNS1_3gpuE8ELNS1_3repE0EEENS1_30default_config_static_selectorELNS0_4arch9wavefront6targetE1EEEvT1_, .Lfunc_end159-_ZN7rocprim17ROCPRIM_400000_NS6detail17trampoline_kernelINS0_14default_configENS1_25transform_config_selectorIjLb0EEEZNS1_14transform_implILb0ES3_S5_N6thrust23THRUST_200600_302600_NS6detail15normal_iteratorINS8_10device_ptrIjEEEEPjNS0_8identityIjEEEE10hipError_tT2_T3_mT4_P12ihipStream_tbEUlT_E_NS1_11comp_targetILNS1_3genE4ELNS1_11target_archE910ELNS1_3gpuE8ELNS1_3repE0EEENS1_30default_config_static_selectorELNS0_4arch9wavefront6targetE1EEEvT1_
                                        ; -- End function
	.section	.AMDGPU.csdata,"",@progbits
; Kernel info:
; codeLenInByte = 376
; NumSgprs: 20
; NumVgprs: 7
; NumAgprs: 0
; TotalNumVgprs: 7
; ScratchSize: 0
; MemoryBound: 0
; FloatMode: 240
; IeeeMode: 1
; LDSByteSize: 0 bytes/workgroup (compile time only)
; SGPRBlocks: 2
; VGPRBlocks: 0
; NumSGPRsForWavesPerEU: 20
; NumVGPRsForWavesPerEU: 7
; AccumOffset: 8
; Occupancy: 8
; WaveLimiterHint : 1
; COMPUTE_PGM_RSRC2:SCRATCH_EN: 0
; COMPUTE_PGM_RSRC2:USER_SGPR: 6
; COMPUTE_PGM_RSRC2:TRAP_HANDLER: 0
; COMPUTE_PGM_RSRC2:TGID_X_EN: 1
; COMPUTE_PGM_RSRC2:TGID_Y_EN: 0
; COMPUTE_PGM_RSRC2:TGID_Z_EN: 0
; COMPUTE_PGM_RSRC2:TIDIG_COMP_CNT: 0
; COMPUTE_PGM_RSRC3_GFX90A:ACCUM_OFFSET: 1
; COMPUTE_PGM_RSRC3_GFX90A:TG_SPLIT: 0
	.section	.text._ZN7rocprim17ROCPRIM_400000_NS6detail17trampoline_kernelINS0_14default_configENS1_25transform_config_selectorIjLb0EEEZNS1_14transform_implILb0ES3_S5_N6thrust23THRUST_200600_302600_NS6detail15normal_iteratorINS8_10device_ptrIjEEEEPjNS0_8identityIjEEEE10hipError_tT2_T3_mT4_P12ihipStream_tbEUlT_E_NS1_11comp_targetILNS1_3genE3ELNS1_11target_archE908ELNS1_3gpuE7ELNS1_3repE0EEENS1_30default_config_static_selectorELNS0_4arch9wavefront6targetE1EEEvT1_,"axG",@progbits,_ZN7rocprim17ROCPRIM_400000_NS6detail17trampoline_kernelINS0_14default_configENS1_25transform_config_selectorIjLb0EEEZNS1_14transform_implILb0ES3_S5_N6thrust23THRUST_200600_302600_NS6detail15normal_iteratorINS8_10device_ptrIjEEEEPjNS0_8identityIjEEEE10hipError_tT2_T3_mT4_P12ihipStream_tbEUlT_E_NS1_11comp_targetILNS1_3genE3ELNS1_11target_archE908ELNS1_3gpuE7ELNS1_3repE0EEENS1_30default_config_static_selectorELNS0_4arch9wavefront6targetE1EEEvT1_,comdat
	.protected	_ZN7rocprim17ROCPRIM_400000_NS6detail17trampoline_kernelINS0_14default_configENS1_25transform_config_selectorIjLb0EEEZNS1_14transform_implILb0ES3_S5_N6thrust23THRUST_200600_302600_NS6detail15normal_iteratorINS8_10device_ptrIjEEEEPjNS0_8identityIjEEEE10hipError_tT2_T3_mT4_P12ihipStream_tbEUlT_E_NS1_11comp_targetILNS1_3genE3ELNS1_11target_archE908ELNS1_3gpuE7ELNS1_3repE0EEENS1_30default_config_static_selectorELNS0_4arch9wavefront6targetE1EEEvT1_ ; -- Begin function _ZN7rocprim17ROCPRIM_400000_NS6detail17trampoline_kernelINS0_14default_configENS1_25transform_config_selectorIjLb0EEEZNS1_14transform_implILb0ES3_S5_N6thrust23THRUST_200600_302600_NS6detail15normal_iteratorINS8_10device_ptrIjEEEEPjNS0_8identityIjEEEE10hipError_tT2_T3_mT4_P12ihipStream_tbEUlT_E_NS1_11comp_targetILNS1_3genE3ELNS1_11target_archE908ELNS1_3gpuE7ELNS1_3repE0EEENS1_30default_config_static_selectorELNS0_4arch9wavefront6targetE1EEEvT1_
	.globl	_ZN7rocprim17ROCPRIM_400000_NS6detail17trampoline_kernelINS0_14default_configENS1_25transform_config_selectorIjLb0EEEZNS1_14transform_implILb0ES3_S5_N6thrust23THRUST_200600_302600_NS6detail15normal_iteratorINS8_10device_ptrIjEEEEPjNS0_8identityIjEEEE10hipError_tT2_T3_mT4_P12ihipStream_tbEUlT_E_NS1_11comp_targetILNS1_3genE3ELNS1_11target_archE908ELNS1_3gpuE7ELNS1_3repE0EEENS1_30default_config_static_selectorELNS0_4arch9wavefront6targetE1EEEvT1_
	.p2align	8
	.type	_ZN7rocprim17ROCPRIM_400000_NS6detail17trampoline_kernelINS0_14default_configENS1_25transform_config_selectorIjLb0EEEZNS1_14transform_implILb0ES3_S5_N6thrust23THRUST_200600_302600_NS6detail15normal_iteratorINS8_10device_ptrIjEEEEPjNS0_8identityIjEEEE10hipError_tT2_T3_mT4_P12ihipStream_tbEUlT_E_NS1_11comp_targetILNS1_3genE3ELNS1_11target_archE908ELNS1_3gpuE7ELNS1_3repE0EEENS1_30default_config_static_selectorELNS0_4arch9wavefront6targetE1EEEvT1_,@function
_ZN7rocprim17ROCPRIM_400000_NS6detail17trampoline_kernelINS0_14default_configENS1_25transform_config_selectorIjLb0EEEZNS1_14transform_implILb0ES3_S5_N6thrust23THRUST_200600_302600_NS6detail15normal_iteratorINS8_10device_ptrIjEEEEPjNS0_8identityIjEEEE10hipError_tT2_T3_mT4_P12ihipStream_tbEUlT_E_NS1_11comp_targetILNS1_3genE3ELNS1_11target_archE908ELNS1_3gpuE7ELNS1_3repE0EEENS1_30default_config_static_selectorELNS0_4arch9wavefront6targetE1EEEvT1_: ; @_ZN7rocprim17ROCPRIM_400000_NS6detail17trampoline_kernelINS0_14default_configENS1_25transform_config_selectorIjLb0EEEZNS1_14transform_implILb0ES3_S5_N6thrust23THRUST_200600_302600_NS6detail15normal_iteratorINS8_10device_ptrIjEEEEPjNS0_8identityIjEEEE10hipError_tT2_T3_mT4_P12ihipStream_tbEUlT_E_NS1_11comp_targetILNS1_3genE3ELNS1_11target_archE908ELNS1_3gpuE7ELNS1_3repE0EEENS1_30default_config_static_selectorELNS0_4arch9wavefront6targetE1EEEvT1_
; %bb.0:
	.section	.rodata,"a",@progbits
	.p2align	6, 0x0
	.amdhsa_kernel _ZN7rocprim17ROCPRIM_400000_NS6detail17trampoline_kernelINS0_14default_configENS1_25transform_config_selectorIjLb0EEEZNS1_14transform_implILb0ES3_S5_N6thrust23THRUST_200600_302600_NS6detail15normal_iteratorINS8_10device_ptrIjEEEEPjNS0_8identityIjEEEE10hipError_tT2_T3_mT4_P12ihipStream_tbEUlT_E_NS1_11comp_targetILNS1_3genE3ELNS1_11target_archE908ELNS1_3gpuE7ELNS1_3repE0EEENS1_30default_config_static_selectorELNS0_4arch9wavefront6targetE1EEEvT1_
		.amdhsa_group_segment_fixed_size 0
		.amdhsa_private_segment_fixed_size 0
		.amdhsa_kernarg_size 40
		.amdhsa_user_sgpr_count 6
		.amdhsa_user_sgpr_private_segment_buffer 1
		.amdhsa_user_sgpr_dispatch_ptr 0
		.amdhsa_user_sgpr_queue_ptr 0
		.amdhsa_user_sgpr_kernarg_segment_ptr 1
		.amdhsa_user_sgpr_dispatch_id 0
		.amdhsa_user_sgpr_flat_scratch_init 0
		.amdhsa_user_sgpr_kernarg_preload_length 0
		.amdhsa_user_sgpr_kernarg_preload_offset 0
		.amdhsa_user_sgpr_private_segment_size 0
		.amdhsa_uses_dynamic_stack 0
		.amdhsa_system_sgpr_private_segment_wavefront_offset 0
		.amdhsa_system_sgpr_workgroup_id_x 1
		.amdhsa_system_sgpr_workgroup_id_y 0
		.amdhsa_system_sgpr_workgroup_id_z 0
		.amdhsa_system_sgpr_workgroup_info 0
		.amdhsa_system_vgpr_workitem_id 0
		.amdhsa_next_free_vgpr 1
		.amdhsa_next_free_sgpr 0
		.amdhsa_accum_offset 4
		.amdhsa_reserve_vcc 0
		.amdhsa_reserve_flat_scratch 0
		.amdhsa_float_round_mode_32 0
		.amdhsa_float_round_mode_16_64 0
		.amdhsa_float_denorm_mode_32 3
		.amdhsa_float_denorm_mode_16_64 3
		.amdhsa_dx10_clamp 1
		.amdhsa_ieee_mode 1
		.amdhsa_fp16_overflow 0
		.amdhsa_tg_split 0
		.amdhsa_exception_fp_ieee_invalid_op 0
		.amdhsa_exception_fp_denorm_src 0
		.amdhsa_exception_fp_ieee_div_zero 0
		.amdhsa_exception_fp_ieee_overflow 0
		.amdhsa_exception_fp_ieee_underflow 0
		.amdhsa_exception_fp_ieee_inexact 0
		.amdhsa_exception_int_div_zero 0
	.end_amdhsa_kernel
	.section	.text._ZN7rocprim17ROCPRIM_400000_NS6detail17trampoline_kernelINS0_14default_configENS1_25transform_config_selectorIjLb0EEEZNS1_14transform_implILb0ES3_S5_N6thrust23THRUST_200600_302600_NS6detail15normal_iteratorINS8_10device_ptrIjEEEEPjNS0_8identityIjEEEE10hipError_tT2_T3_mT4_P12ihipStream_tbEUlT_E_NS1_11comp_targetILNS1_3genE3ELNS1_11target_archE908ELNS1_3gpuE7ELNS1_3repE0EEENS1_30default_config_static_selectorELNS0_4arch9wavefront6targetE1EEEvT1_,"axG",@progbits,_ZN7rocprim17ROCPRIM_400000_NS6detail17trampoline_kernelINS0_14default_configENS1_25transform_config_selectorIjLb0EEEZNS1_14transform_implILb0ES3_S5_N6thrust23THRUST_200600_302600_NS6detail15normal_iteratorINS8_10device_ptrIjEEEEPjNS0_8identityIjEEEE10hipError_tT2_T3_mT4_P12ihipStream_tbEUlT_E_NS1_11comp_targetILNS1_3genE3ELNS1_11target_archE908ELNS1_3gpuE7ELNS1_3repE0EEENS1_30default_config_static_selectorELNS0_4arch9wavefront6targetE1EEEvT1_,comdat
.Lfunc_end160:
	.size	_ZN7rocprim17ROCPRIM_400000_NS6detail17trampoline_kernelINS0_14default_configENS1_25transform_config_selectorIjLb0EEEZNS1_14transform_implILb0ES3_S5_N6thrust23THRUST_200600_302600_NS6detail15normal_iteratorINS8_10device_ptrIjEEEEPjNS0_8identityIjEEEE10hipError_tT2_T3_mT4_P12ihipStream_tbEUlT_E_NS1_11comp_targetILNS1_3genE3ELNS1_11target_archE908ELNS1_3gpuE7ELNS1_3repE0EEENS1_30default_config_static_selectorELNS0_4arch9wavefront6targetE1EEEvT1_, .Lfunc_end160-_ZN7rocprim17ROCPRIM_400000_NS6detail17trampoline_kernelINS0_14default_configENS1_25transform_config_selectorIjLb0EEEZNS1_14transform_implILb0ES3_S5_N6thrust23THRUST_200600_302600_NS6detail15normal_iteratorINS8_10device_ptrIjEEEEPjNS0_8identityIjEEEE10hipError_tT2_T3_mT4_P12ihipStream_tbEUlT_E_NS1_11comp_targetILNS1_3genE3ELNS1_11target_archE908ELNS1_3gpuE7ELNS1_3repE0EEENS1_30default_config_static_selectorELNS0_4arch9wavefront6targetE1EEEvT1_
                                        ; -- End function
	.section	.AMDGPU.csdata,"",@progbits
; Kernel info:
; codeLenInByte = 0
; NumSgprs: 4
; NumVgprs: 0
; NumAgprs: 0
; TotalNumVgprs: 0
; ScratchSize: 0
; MemoryBound: 0
; FloatMode: 240
; IeeeMode: 1
; LDSByteSize: 0 bytes/workgroup (compile time only)
; SGPRBlocks: 0
; VGPRBlocks: 0
; NumSGPRsForWavesPerEU: 4
; NumVGPRsForWavesPerEU: 1
; AccumOffset: 4
; Occupancy: 8
; WaveLimiterHint : 0
; COMPUTE_PGM_RSRC2:SCRATCH_EN: 0
; COMPUTE_PGM_RSRC2:USER_SGPR: 6
; COMPUTE_PGM_RSRC2:TRAP_HANDLER: 0
; COMPUTE_PGM_RSRC2:TGID_X_EN: 1
; COMPUTE_PGM_RSRC2:TGID_Y_EN: 0
; COMPUTE_PGM_RSRC2:TGID_Z_EN: 0
; COMPUTE_PGM_RSRC2:TIDIG_COMP_CNT: 0
; COMPUTE_PGM_RSRC3_GFX90A:ACCUM_OFFSET: 0
; COMPUTE_PGM_RSRC3_GFX90A:TG_SPLIT: 0
	.section	.text._ZN7rocprim17ROCPRIM_400000_NS6detail17trampoline_kernelINS0_14default_configENS1_25transform_config_selectorIjLb0EEEZNS1_14transform_implILb0ES3_S5_N6thrust23THRUST_200600_302600_NS6detail15normal_iteratorINS8_10device_ptrIjEEEEPjNS0_8identityIjEEEE10hipError_tT2_T3_mT4_P12ihipStream_tbEUlT_E_NS1_11comp_targetILNS1_3genE2ELNS1_11target_archE906ELNS1_3gpuE6ELNS1_3repE0EEENS1_30default_config_static_selectorELNS0_4arch9wavefront6targetE1EEEvT1_,"axG",@progbits,_ZN7rocprim17ROCPRIM_400000_NS6detail17trampoline_kernelINS0_14default_configENS1_25transform_config_selectorIjLb0EEEZNS1_14transform_implILb0ES3_S5_N6thrust23THRUST_200600_302600_NS6detail15normal_iteratorINS8_10device_ptrIjEEEEPjNS0_8identityIjEEEE10hipError_tT2_T3_mT4_P12ihipStream_tbEUlT_E_NS1_11comp_targetILNS1_3genE2ELNS1_11target_archE906ELNS1_3gpuE6ELNS1_3repE0EEENS1_30default_config_static_selectorELNS0_4arch9wavefront6targetE1EEEvT1_,comdat
	.protected	_ZN7rocprim17ROCPRIM_400000_NS6detail17trampoline_kernelINS0_14default_configENS1_25transform_config_selectorIjLb0EEEZNS1_14transform_implILb0ES3_S5_N6thrust23THRUST_200600_302600_NS6detail15normal_iteratorINS8_10device_ptrIjEEEEPjNS0_8identityIjEEEE10hipError_tT2_T3_mT4_P12ihipStream_tbEUlT_E_NS1_11comp_targetILNS1_3genE2ELNS1_11target_archE906ELNS1_3gpuE6ELNS1_3repE0EEENS1_30default_config_static_selectorELNS0_4arch9wavefront6targetE1EEEvT1_ ; -- Begin function _ZN7rocprim17ROCPRIM_400000_NS6detail17trampoline_kernelINS0_14default_configENS1_25transform_config_selectorIjLb0EEEZNS1_14transform_implILb0ES3_S5_N6thrust23THRUST_200600_302600_NS6detail15normal_iteratorINS8_10device_ptrIjEEEEPjNS0_8identityIjEEEE10hipError_tT2_T3_mT4_P12ihipStream_tbEUlT_E_NS1_11comp_targetILNS1_3genE2ELNS1_11target_archE906ELNS1_3gpuE6ELNS1_3repE0EEENS1_30default_config_static_selectorELNS0_4arch9wavefront6targetE1EEEvT1_
	.globl	_ZN7rocprim17ROCPRIM_400000_NS6detail17trampoline_kernelINS0_14default_configENS1_25transform_config_selectorIjLb0EEEZNS1_14transform_implILb0ES3_S5_N6thrust23THRUST_200600_302600_NS6detail15normal_iteratorINS8_10device_ptrIjEEEEPjNS0_8identityIjEEEE10hipError_tT2_T3_mT4_P12ihipStream_tbEUlT_E_NS1_11comp_targetILNS1_3genE2ELNS1_11target_archE906ELNS1_3gpuE6ELNS1_3repE0EEENS1_30default_config_static_selectorELNS0_4arch9wavefront6targetE1EEEvT1_
	.p2align	8
	.type	_ZN7rocprim17ROCPRIM_400000_NS6detail17trampoline_kernelINS0_14default_configENS1_25transform_config_selectorIjLb0EEEZNS1_14transform_implILb0ES3_S5_N6thrust23THRUST_200600_302600_NS6detail15normal_iteratorINS8_10device_ptrIjEEEEPjNS0_8identityIjEEEE10hipError_tT2_T3_mT4_P12ihipStream_tbEUlT_E_NS1_11comp_targetILNS1_3genE2ELNS1_11target_archE906ELNS1_3gpuE6ELNS1_3repE0EEENS1_30default_config_static_selectorELNS0_4arch9wavefront6targetE1EEEvT1_,@function
_ZN7rocprim17ROCPRIM_400000_NS6detail17trampoline_kernelINS0_14default_configENS1_25transform_config_selectorIjLb0EEEZNS1_14transform_implILb0ES3_S5_N6thrust23THRUST_200600_302600_NS6detail15normal_iteratorINS8_10device_ptrIjEEEEPjNS0_8identityIjEEEE10hipError_tT2_T3_mT4_P12ihipStream_tbEUlT_E_NS1_11comp_targetILNS1_3genE2ELNS1_11target_archE906ELNS1_3gpuE6ELNS1_3repE0EEENS1_30default_config_static_selectorELNS0_4arch9wavefront6targetE1EEEvT1_: ; @_ZN7rocprim17ROCPRIM_400000_NS6detail17trampoline_kernelINS0_14default_configENS1_25transform_config_selectorIjLb0EEEZNS1_14transform_implILb0ES3_S5_N6thrust23THRUST_200600_302600_NS6detail15normal_iteratorINS8_10device_ptrIjEEEEPjNS0_8identityIjEEEE10hipError_tT2_T3_mT4_P12ihipStream_tbEUlT_E_NS1_11comp_targetILNS1_3genE2ELNS1_11target_archE906ELNS1_3gpuE6ELNS1_3repE0EEENS1_30default_config_static_selectorELNS0_4arch9wavefront6targetE1EEEvT1_
; %bb.0:
	.section	.rodata,"a",@progbits
	.p2align	6, 0x0
	.amdhsa_kernel _ZN7rocprim17ROCPRIM_400000_NS6detail17trampoline_kernelINS0_14default_configENS1_25transform_config_selectorIjLb0EEEZNS1_14transform_implILb0ES3_S5_N6thrust23THRUST_200600_302600_NS6detail15normal_iteratorINS8_10device_ptrIjEEEEPjNS0_8identityIjEEEE10hipError_tT2_T3_mT4_P12ihipStream_tbEUlT_E_NS1_11comp_targetILNS1_3genE2ELNS1_11target_archE906ELNS1_3gpuE6ELNS1_3repE0EEENS1_30default_config_static_selectorELNS0_4arch9wavefront6targetE1EEEvT1_
		.amdhsa_group_segment_fixed_size 0
		.amdhsa_private_segment_fixed_size 0
		.amdhsa_kernarg_size 40
		.amdhsa_user_sgpr_count 6
		.amdhsa_user_sgpr_private_segment_buffer 1
		.amdhsa_user_sgpr_dispatch_ptr 0
		.amdhsa_user_sgpr_queue_ptr 0
		.amdhsa_user_sgpr_kernarg_segment_ptr 1
		.amdhsa_user_sgpr_dispatch_id 0
		.amdhsa_user_sgpr_flat_scratch_init 0
		.amdhsa_user_sgpr_kernarg_preload_length 0
		.amdhsa_user_sgpr_kernarg_preload_offset 0
		.amdhsa_user_sgpr_private_segment_size 0
		.amdhsa_uses_dynamic_stack 0
		.amdhsa_system_sgpr_private_segment_wavefront_offset 0
		.amdhsa_system_sgpr_workgroup_id_x 1
		.amdhsa_system_sgpr_workgroup_id_y 0
		.amdhsa_system_sgpr_workgroup_id_z 0
		.amdhsa_system_sgpr_workgroup_info 0
		.amdhsa_system_vgpr_workitem_id 0
		.amdhsa_next_free_vgpr 1
		.amdhsa_next_free_sgpr 0
		.amdhsa_accum_offset 4
		.amdhsa_reserve_vcc 0
		.amdhsa_reserve_flat_scratch 0
		.amdhsa_float_round_mode_32 0
		.amdhsa_float_round_mode_16_64 0
		.amdhsa_float_denorm_mode_32 3
		.amdhsa_float_denorm_mode_16_64 3
		.amdhsa_dx10_clamp 1
		.amdhsa_ieee_mode 1
		.amdhsa_fp16_overflow 0
		.amdhsa_tg_split 0
		.amdhsa_exception_fp_ieee_invalid_op 0
		.amdhsa_exception_fp_denorm_src 0
		.amdhsa_exception_fp_ieee_div_zero 0
		.amdhsa_exception_fp_ieee_overflow 0
		.amdhsa_exception_fp_ieee_underflow 0
		.amdhsa_exception_fp_ieee_inexact 0
		.amdhsa_exception_int_div_zero 0
	.end_amdhsa_kernel
	.section	.text._ZN7rocprim17ROCPRIM_400000_NS6detail17trampoline_kernelINS0_14default_configENS1_25transform_config_selectorIjLb0EEEZNS1_14transform_implILb0ES3_S5_N6thrust23THRUST_200600_302600_NS6detail15normal_iteratorINS8_10device_ptrIjEEEEPjNS0_8identityIjEEEE10hipError_tT2_T3_mT4_P12ihipStream_tbEUlT_E_NS1_11comp_targetILNS1_3genE2ELNS1_11target_archE906ELNS1_3gpuE6ELNS1_3repE0EEENS1_30default_config_static_selectorELNS0_4arch9wavefront6targetE1EEEvT1_,"axG",@progbits,_ZN7rocprim17ROCPRIM_400000_NS6detail17trampoline_kernelINS0_14default_configENS1_25transform_config_selectorIjLb0EEEZNS1_14transform_implILb0ES3_S5_N6thrust23THRUST_200600_302600_NS6detail15normal_iteratorINS8_10device_ptrIjEEEEPjNS0_8identityIjEEEE10hipError_tT2_T3_mT4_P12ihipStream_tbEUlT_E_NS1_11comp_targetILNS1_3genE2ELNS1_11target_archE906ELNS1_3gpuE6ELNS1_3repE0EEENS1_30default_config_static_selectorELNS0_4arch9wavefront6targetE1EEEvT1_,comdat
.Lfunc_end161:
	.size	_ZN7rocprim17ROCPRIM_400000_NS6detail17trampoline_kernelINS0_14default_configENS1_25transform_config_selectorIjLb0EEEZNS1_14transform_implILb0ES3_S5_N6thrust23THRUST_200600_302600_NS6detail15normal_iteratorINS8_10device_ptrIjEEEEPjNS0_8identityIjEEEE10hipError_tT2_T3_mT4_P12ihipStream_tbEUlT_E_NS1_11comp_targetILNS1_3genE2ELNS1_11target_archE906ELNS1_3gpuE6ELNS1_3repE0EEENS1_30default_config_static_selectorELNS0_4arch9wavefront6targetE1EEEvT1_, .Lfunc_end161-_ZN7rocprim17ROCPRIM_400000_NS6detail17trampoline_kernelINS0_14default_configENS1_25transform_config_selectorIjLb0EEEZNS1_14transform_implILb0ES3_S5_N6thrust23THRUST_200600_302600_NS6detail15normal_iteratorINS8_10device_ptrIjEEEEPjNS0_8identityIjEEEE10hipError_tT2_T3_mT4_P12ihipStream_tbEUlT_E_NS1_11comp_targetILNS1_3genE2ELNS1_11target_archE906ELNS1_3gpuE6ELNS1_3repE0EEENS1_30default_config_static_selectorELNS0_4arch9wavefront6targetE1EEEvT1_
                                        ; -- End function
	.section	.AMDGPU.csdata,"",@progbits
; Kernel info:
; codeLenInByte = 0
; NumSgprs: 4
; NumVgprs: 0
; NumAgprs: 0
; TotalNumVgprs: 0
; ScratchSize: 0
; MemoryBound: 0
; FloatMode: 240
; IeeeMode: 1
; LDSByteSize: 0 bytes/workgroup (compile time only)
; SGPRBlocks: 0
; VGPRBlocks: 0
; NumSGPRsForWavesPerEU: 4
; NumVGPRsForWavesPerEU: 1
; AccumOffset: 4
; Occupancy: 8
; WaveLimiterHint : 0
; COMPUTE_PGM_RSRC2:SCRATCH_EN: 0
; COMPUTE_PGM_RSRC2:USER_SGPR: 6
; COMPUTE_PGM_RSRC2:TRAP_HANDLER: 0
; COMPUTE_PGM_RSRC2:TGID_X_EN: 1
; COMPUTE_PGM_RSRC2:TGID_Y_EN: 0
; COMPUTE_PGM_RSRC2:TGID_Z_EN: 0
; COMPUTE_PGM_RSRC2:TIDIG_COMP_CNT: 0
; COMPUTE_PGM_RSRC3_GFX90A:ACCUM_OFFSET: 0
; COMPUTE_PGM_RSRC3_GFX90A:TG_SPLIT: 0
	.section	.text._ZN7rocprim17ROCPRIM_400000_NS6detail17trampoline_kernelINS0_14default_configENS1_25transform_config_selectorIjLb0EEEZNS1_14transform_implILb0ES3_S5_N6thrust23THRUST_200600_302600_NS6detail15normal_iteratorINS8_10device_ptrIjEEEEPjNS0_8identityIjEEEE10hipError_tT2_T3_mT4_P12ihipStream_tbEUlT_E_NS1_11comp_targetILNS1_3genE10ELNS1_11target_archE1201ELNS1_3gpuE5ELNS1_3repE0EEENS1_30default_config_static_selectorELNS0_4arch9wavefront6targetE1EEEvT1_,"axG",@progbits,_ZN7rocprim17ROCPRIM_400000_NS6detail17trampoline_kernelINS0_14default_configENS1_25transform_config_selectorIjLb0EEEZNS1_14transform_implILb0ES3_S5_N6thrust23THRUST_200600_302600_NS6detail15normal_iteratorINS8_10device_ptrIjEEEEPjNS0_8identityIjEEEE10hipError_tT2_T3_mT4_P12ihipStream_tbEUlT_E_NS1_11comp_targetILNS1_3genE10ELNS1_11target_archE1201ELNS1_3gpuE5ELNS1_3repE0EEENS1_30default_config_static_selectorELNS0_4arch9wavefront6targetE1EEEvT1_,comdat
	.protected	_ZN7rocprim17ROCPRIM_400000_NS6detail17trampoline_kernelINS0_14default_configENS1_25transform_config_selectorIjLb0EEEZNS1_14transform_implILb0ES3_S5_N6thrust23THRUST_200600_302600_NS6detail15normal_iteratorINS8_10device_ptrIjEEEEPjNS0_8identityIjEEEE10hipError_tT2_T3_mT4_P12ihipStream_tbEUlT_E_NS1_11comp_targetILNS1_3genE10ELNS1_11target_archE1201ELNS1_3gpuE5ELNS1_3repE0EEENS1_30default_config_static_selectorELNS0_4arch9wavefront6targetE1EEEvT1_ ; -- Begin function _ZN7rocprim17ROCPRIM_400000_NS6detail17trampoline_kernelINS0_14default_configENS1_25transform_config_selectorIjLb0EEEZNS1_14transform_implILb0ES3_S5_N6thrust23THRUST_200600_302600_NS6detail15normal_iteratorINS8_10device_ptrIjEEEEPjNS0_8identityIjEEEE10hipError_tT2_T3_mT4_P12ihipStream_tbEUlT_E_NS1_11comp_targetILNS1_3genE10ELNS1_11target_archE1201ELNS1_3gpuE5ELNS1_3repE0EEENS1_30default_config_static_selectorELNS0_4arch9wavefront6targetE1EEEvT1_
	.globl	_ZN7rocprim17ROCPRIM_400000_NS6detail17trampoline_kernelINS0_14default_configENS1_25transform_config_selectorIjLb0EEEZNS1_14transform_implILb0ES3_S5_N6thrust23THRUST_200600_302600_NS6detail15normal_iteratorINS8_10device_ptrIjEEEEPjNS0_8identityIjEEEE10hipError_tT2_T3_mT4_P12ihipStream_tbEUlT_E_NS1_11comp_targetILNS1_3genE10ELNS1_11target_archE1201ELNS1_3gpuE5ELNS1_3repE0EEENS1_30default_config_static_selectorELNS0_4arch9wavefront6targetE1EEEvT1_
	.p2align	8
	.type	_ZN7rocprim17ROCPRIM_400000_NS6detail17trampoline_kernelINS0_14default_configENS1_25transform_config_selectorIjLb0EEEZNS1_14transform_implILb0ES3_S5_N6thrust23THRUST_200600_302600_NS6detail15normal_iteratorINS8_10device_ptrIjEEEEPjNS0_8identityIjEEEE10hipError_tT2_T3_mT4_P12ihipStream_tbEUlT_E_NS1_11comp_targetILNS1_3genE10ELNS1_11target_archE1201ELNS1_3gpuE5ELNS1_3repE0EEENS1_30default_config_static_selectorELNS0_4arch9wavefront6targetE1EEEvT1_,@function
_ZN7rocprim17ROCPRIM_400000_NS6detail17trampoline_kernelINS0_14default_configENS1_25transform_config_selectorIjLb0EEEZNS1_14transform_implILb0ES3_S5_N6thrust23THRUST_200600_302600_NS6detail15normal_iteratorINS8_10device_ptrIjEEEEPjNS0_8identityIjEEEE10hipError_tT2_T3_mT4_P12ihipStream_tbEUlT_E_NS1_11comp_targetILNS1_3genE10ELNS1_11target_archE1201ELNS1_3gpuE5ELNS1_3repE0EEENS1_30default_config_static_selectorELNS0_4arch9wavefront6targetE1EEEvT1_: ; @_ZN7rocprim17ROCPRIM_400000_NS6detail17trampoline_kernelINS0_14default_configENS1_25transform_config_selectorIjLb0EEEZNS1_14transform_implILb0ES3_S5_N6thrust23THRUST_200600_302600_NS6detail15normal_iteratorINS8_10device_ptrIjEEEEPjNS0_8identityIjEEEE10hipError_tT2_T3_mT4_P12ihipStream_tbEUlT_E_NS1_11comp_targetILNS1_3genE10ELNS1_11target_archE1201ELNS1_3gpuE5ELNS1_3repE0EEENS1_30default_config_static_selectorELNS0_4arch9wavefront6targetE1EEEvT1_
; %bb.0:
	.section	.rodata,"a",@progbits
	.p2align	6, 0x0
	.amdhsa_kernel _ZN7rocprim17ROCPRIM_400000_NS6detail17trampoline_kernelINS0_14default_configENS1_25transform_config_selectorIjLb0EEEZNS1_14transform_implILb0ES3_S5_N6thrust23THRUST_200600_302600_NS6detail15normal_iteratorINS8_10device_ptrIjEEEEPjNS0_8identityIjEEEE10hipError_tT2_T3_mT4_P12ihipStream_tbEUlT_E_NS1_11comp_targetILNS1_3genE10ELNS1_11target_archE1201ELNS1_3gpuE5ELNS1_3repE0EEENS1_30default_config_static_selectorELNS0_4arch9wavefront6targetE1EEEvT1_
		.amdhsa_group_segment_fixed_size 0
		.amdhsa_private_segment_fixed_size 0
		.amdhsa_kernarg_size 40
		.amdhsa_user_sgpr_count 6
		.amdhsa_user_sgpr_private_segment_buffer 1
		.amdhsa_user_sgpr_dispatch_ptr 0
		.amdhsa_user_sgpr_queue_ptr 0
		.amdhsa_user_sgpr_kernarg_segment_ptr 1
		.amdhsa_user_sgpr_dispatch_id 0
		.amdhsa_user_sgpr_flat_scratch_init 0
		.amdhsa_user_sgpr_kernarg_preload_length 0
		.amdhsa_user_sgpr_kernarg_preload_offset 0
		.amdhsa_user_sgpr_private_segment_size 0
		.amdhsa_uses_dynamic_stack 0
		.amdhsa_system_sgpr_private_segment_wavefront_offset 0
		.amdhsa_system_sgpr_workgroup_id_x 1
		.amdhsa_system_sgpr_workgroup_id_y 0
		.amdhsa_system_sgpr_workgroup_id_z 0
		.amdhsa_system_sgpr_workgroup_info 0
		.amdhsa_system_vgpr_workitem_id 0
		.amdhsa_next_free_vgpr 1
		.amdhsa_next_free_sgpr 0
		.amdhsa_accum_offset 4
		.amdhsa_reserve_vcc 0
		.amdhsa_reserve_flat_scratch 0
		.amdhsa_float_round_mode_32 0
		.amdhsa_float_round_mode_16_64 0
		.amdhsa_float_denorm_mode_32 3
		.amdhsa_float_denorm_mode_16_64 3
		.amdhsa_dx10_clamp 1
		.amdhsa_ieee_mode 1
		.amdhsa_fp16_overflow 0
		.amdhsa_tg_split 0
		.amdhsa_exception_fp_ieee_invalid_op 0
		.amdhsa_exception_fp_denorm_src 0
		.amdhsa_exception_fp_ieee_div_zero 0
		.amdhsa_exception_fp_ieee_overflow 0
		.amdhsa_exception_fp_ieee_underflow 0
		.amdhsa_exception_fp_ieee_inexact 0
		.amdhsa_exception_int_div_zero 0
	.end_amdhsa_kernel
	.section	.text._ZN7rocprim17ROCPRIM_400000_NS6detail17trampoline_kernelINS0_14default_configENS1_25transform_config_selectorIjLb0EEEZNS1_14transform_implILb0ES3_S5_N6thrust23THRUST_200600_302600_NS6detail15normal_iteratorINS8_10device_ptrIjEEEEPjNS0_8identityIjEEEE10hipError_tT2_T3_mT4_P12ihipStream_tbEUlT_E_NS1_11comp_targetILNS1_3genE10ELNS1_11target_archE1201ELNS1_3gpuE5ELNS1_3repE0EEENS1_30default_config_static_selectorELNS0_4arch9wavefront6targetE1EEEvT1_,"axG",@progbits,_ZN7rocprim17ROCPRIM_400000_NS6detail17trampoline_kernelINS0_14default_configENS1_25transform_config_selectorIjLb0EEEZNS1_14transform_implILb0ES3_S5_N6thrust23THRUST_200600_302600_NS6detail15normal_iteratorINS8_10device_ptrIjEEEEPjNS0_8identityIjEEEE10hipError_tT2_T3_mT4_P12ihipStream_tbEUlT_E_NS1_11comp_targetILNS1_3genE10ELNS1_11target_archE1201ELNS1_3gpuE5ELNS1_3repE0EEENS1_30default_config_static_selectorELNS0_4arch9wavefront6targetE1EEEvT1_,comdat
.Lfunc_end162:
	.size	_ZN7rocprim17ROCPRIM_400000_NS6detail17trampoline_kernelINS0_14default_configENS1_25transform_config_selectorIjLb0EEEZNS1_14transform_implILb0ES3_S5_N6thrust23THRUST_200600_302600_NS6detail15normal_iteratorINS8_10device_ptrIjEEEEPjNS0_8identityIjEEEE10hipError_tT2_T3_mT4_P12ihipStream_tbEUlT_E_NS1_11comp_targetILNS1_3genE10ELNS1_11target_archE1201ELNS1_3gpuE5ELNS1_3repE0EEENS1_30default_config_static_selectorELNS0_4arch9wavefront6targetE1EEEvT1_, .Lfunc_end162-_ZN7rocprim17ROCPRIM_400000_NS6detail17trampoline_kernelINS0_14default_configENS1_25transform_config_selectorIjLb0EEEZNS1_14transform_implILb0ES3_S5_N6thrust23THRUST_200600_302600_NS6detail15normal_iteratorINS8_10device_ptrIjEEEEPjNS0_8identityIjEEEE10hipError_tT2_T3_mT4_P12ihipStream_tbEUlT_E_NS1_11comp_targetILNS1_3genE10ELNS1_11target_archE1201ELNS1_3gpuE5ELNS1_3repE0EEENS1_30default_config_static_selectorELNS0_4arch9wavefront6targetE1EEEvT1_
                                        ; -- End function
	.section	.AMDGPU.csdata,"",@progbits
; Kernel info:
; codeLenInByte = 0
; NumSgprs: 4
; NumVgprs: 0
; NumAgprs: 0
; TotalNumVgprs: 0
; ScratchSize: 0
; MemoryBound: 0
; FloatMode: 240
; IeeeMode: 1
; LDSByteSize: 0 bytes/workgroup (compile time only)
; SGPRBlocks: 0
; VGPRBlocks: 0
; NumSGPRsForWavesPerEU: 4
; NumVGPRsForWavesPerEU: 1
; AccumOffset: 4
; Occupancy: 8
; WaveLimiterHint : 0
; COMPUTE_PGM_RSRC2:SCRATCH_EN: 0
; COMPUTE_PGM_RSRC2:USER_SGPR: 6
; COMPUTE_PGM_RSRC2:TRAP_HANDLER: 0
; COMPUTE_PGM_RSRC2:TGID_X_EN: 1
; COMPUTE_PGM_RSRC2:TGID_Y_EN: 0
; COMPUTE_PGM_RSRC2:TGID_Z_EN: 0
; COMPUTE_PGM_RSRC2:TIDIG_COMP_CNT: 0
; COMPUTE_PGM_RSRC3_GFX90A:ACCUM_OFFSET: 0
; COMPUTE_PGM_RSRC3_GFX90A:TG_SPLIT: 0
	.section	.text._ZN7rocprim17ROCPRIM_400000_NS6detail17trampoline_kernelINS0_14default_configENS1_25transform_config_selectorIjLb0EEEZNS1_14transform_implILb0ES3_S5_N6thrust23THRUST_200600_302600_NS6detail15normal_iteratorINS8_10device_ptrIjEEEEPjNS0_8identityIjEEEE10hipError_tT2_T3_mT4_P12ihipStream_tbEUlT_E_NS1_11comp_targetILNS1_3genE10ELNS1_11target_archE1200ELNS1_3gpuE4ELNS1_3repE0EEENS1_30default_config_static_selectorELNS0_4arch9wavefront6targetE1EEEvT1_,"axG",@progbits,_ZN7rocprim17ROCPRIM_400000_NS6detail17trampoline_kernelINS0_14default_configENS1_25transform_config_selectorIjLb0EEEZNS1_14transform_implILb0ES3_S5_N6thrust23THRUST_200600_302600_NS6detail15normal_iteratorINS8_10device_ptrIjEEEEPjNS0_8identityIjEEEE10hipError_tT2_T3_mT4_P12ihipStream_tbEUlT_E_NS1_11comp_targetILNS1_3genE10ELNS1_11target_archE1200ELNS1_3gpuE4ELNS1_3repE0EEENS1_30default_config_static_selectorELNS0_4arch9wavefront6targetE1EEEvT1_,comdat
	.protected	_ZN7rocprim17ROCPRIM_400000_NS6detail17trampoline_kernelINS0_14default_configENS1_25transform_config_selectorIjLb0EEEZNS1_14transform_implILb0ES3_S5_N6thrust23THRUST_200600_302600_NS6detail15normal_iteratorINS8_10device_ptrIjEEEEPjNS0_8identityIjEEEE10hipError_tT2_T3_mT4_P12ihipStream_tbEUlT_E_NS1_11comp_targetILNS1_3genE10ELNS1_11target_archE1200ELNS1_3gpuE4ELNS1_3repE0EEENS1_30default_config_static_selectorELNS0_4arch9wavefront6targetE1EEEvT1_ ; -- Begin function _ZN7rocprim17ROCPRIM_400000_NS6detail17trampoline_kernelINS0_14default_configENS1_25transform_config_selectorIjLb0EEEZNS1_14transform_implILb0ES3_S5_N6thrust23THRUST_200600_302600_NS6detail15normal_iteratorINS8_10device_ptrIjEEEEPjNS0_8identityIjEEEE10hipError_tT2_T3_mT4_P12ihipStream_tbEUlT_E_NS1_11comp_targetILNS1_3genE10ELNS1_11target_archE1200ELNS1_3gpuE4ELNS1_3repE0EEENS1_30default_config_static_selectorELNS0_4arch9wavefront6targetE1EEEvT1_
	.globl	_ZN7rocprim17ROCPRIM_400000_NS6detail17trampoline_kernelINS0_14default_configENS1_25transform_config_selectorIjLb0EEEZNS1_14transform_implILb0ES3_S5_N6thrust23THRUST_200600_302600_NS6detail15normal_iteratorINS8_10device_ptrIjEEEEPjNS0_8identityIjEEEE10hipError_tT2_T3_mT4_P12ihipStream_tbEUlT_E_NS1_11comp_targetILNS1_3genE10ELNS1_11target_archE1200ELNS1_3gpuE4ELNS1_3repE0EEENS1_30default_config_static_selectorELNS0_4arch9wavefront6targetE1EEEvT1_
	.p2align	8
	.type	_ZN7rocprim17ROCPRIM_400000_NS6detail17trampoline_kernelINS0_14default_configENS1_25transform_config_selectorIjLb0EEEZNS1_14transform_implILb0ES3_S5_N6thrust23THRUST_200600_302600_NS6detail15normal_iteratorINS8_10device_ptrIjEEEEPjNS0_8identityIjEEEE10hipError_tT2_T3_mT4_P12ihipStream_tbEUlT_E_NS1_11comp_targetILNS1_3genE10ELNS1_11target_archE1200ELNS1_3gpuE4ELNS1_3repE0EEENS1_30default_config_static_selectorELNS0_4arch9wavefront6targetE1EEEvT1_,@function
_ZN7rocprim17ROCPRIM_400000_NS6detail17trampoline_kernelINS0_14default_configENS1_25transform_config_selectorIjLb0EEEZNS1_14transform_implILb0ES3_S5_N6thrust23THRUST_200600_302600_NS6detail15normal_iteratorINS8_10device_ptrIjEEEEPjNS0_8identityIjEEEE10hipError_tT2_T3_mT4_P12ihipStream_tbEUlT_E_NS1_11comp_targetILNS1_3genE10ELNS1_11target_archE1200ELNS1_3gpuE4ELNS1_3repE0EEENS1_30default_config_static_selectorELNS0_4arch9wavefront6targetE1EEEvT1_: ; @_ZN7rocprim17ROCPRIM_400000_NS6detail17trampoline_kernelINS0_14default_configENS1_25transform_config_selectorIjLb0EEEZNS1_14transform_implILb0ES3_S5_N6thrust23THRUST_200600_302600_NS6detail15normal_iteratorINS8_10device_ptrIjEEEEPjNS0_8identityIjEEEE10hipError_tT2_T3_mT4_P12ihipStream_tbEUlT_E_NS1_11comp_targetILNS1_3genE10ELNS1_11target_archE1200ELNS1_3gpuE4ELNS1_3repE0EEENS1_30default_config_static_selectorELNS0_4arch9wavefront6targetE1EEEvT1_
; %bb.0:
	.section	.rodata,"a",@progbits
	.p2align	6, 0x0
	.amdhsa_kernel _ZN7rocprim17ROCPRIM_400000_NS6detail17trampoline_kernelINS0_14default_configENS1_25transform_config_selectorIjLb0EEEZNS1_14transform_implILb0ES3_S5_N6thrust23THRUST_200600_302600_NS6detail15normal_iteratorINS8_10device_ptrIjEEEEPjNS0_8identityIjEEEE10hipError_tT2_T3_mT4_P12ihipStream_tbEUlT_E_NS1_11comp_targetILNS1_3genE10ELNS1_11target_archE1200ELNS1_3gpuE4ELNS1_3repE0EEENS1_30default_config_static_selectorELNS0_4arch9wavefront6targetE1EEEvT1_
		.amdhsa_group_segment_fixed_size 0
		.amdhsa_private_segment_fixed_size 0
		.amdhsa_kernarg_size 40
		.amdhsa_user_sgpr_count 6
		.amdhsa_user_sgpr_private_segment_buffer 1
		.amdhsa_user_sgpr_dispatch_ptr 0
		.amdhsa_user_sgpr_queue_ptr 0
		.amdhsa_user_sgpr_kernarg_segment_ptr 1
		.amdhsa_user_sgpr_dispatch_id 0
		.amdhsa_user_sgpr_flat_scratch_init 0
		.amdhsa_user_sgpr_kernarg_preload_length 0
		.amdhsa_user_sgpr_kernarg_preload_offset 0
		.amdhsa_user_sgpr_private_segment_size 0
		.amdhsa_uses_dynamic_stack 0
		.amdhsa_system_sgpr_private_segment_wavefront_offset 0
		.amdhsa_system_sgpr_workgroup_id_x 1
		.amdhsa_system_sgpr_workgroup_id_y 0
		.amdhsa_system_sgpr_workgroup_id_z 0
		.amdhsa_system_sgpr_workgroup_info 0
		.amdhsa_system_vgpr_workitem_id 0
		.amdhsa_next_free_vgpr 1
		.amdhsa_next_free_sgpr 0
		.amdhsa_accum_offset 4
		.amdhsa_reserve_vcc 0
		.amdhsa_reserve_flat_scratch 0
		.amdhsa_float_round_mode_32 0
		.amdhsa_float_round_mode_16_64 0
		.amdhsa_float_denorm_mode_32 3
		.amdhsa_float_denorm_mode_16_64 3
		.amdhsa_dx10_clamp 1
		.amdhsa_ieee_mode 1
		.amdhsa_fp16_overflow 0
		.amdhsa_tg_split 0
		.amdhsa_exception_fp_ieee_invalid_op 0
		.amdhsa_exception_fp_denorm_src 0
		.amdhsa_exception_fp_ieee_div_zero 0
		.amdhsa_exception_fp_ieee_overflow 0
		.amdhsa_exception_fp_ieee_underflow 0
		.amdhsa_exception_fp_ieee_inexact 0
		.amdhsa_exception_int_div_zero 0
	.end_amdhsa_kernel
	.section	.text._ZN7rocprim17ROCPRIM_400000_NS6detail17trampoline_kernelINS0_14default_configENS1_25transform_config_selectorIjLb0EEEZNS1_14transform_implILb0ES3_S5_N6thrust23THRUST_200600_302600_NS6detail15normal_iteratorINS8_10device_ptrIjEEEEPjNS0_8identityIjEEEE10hipError_tT2_T3_mT4_P12ihipStream_tbEUlT_E_NS1_11comp_targetILNS1_3genE10ELNS1_11target_archE1200ELNS1_3gpuE4ELNS1_3repE0EEENS1_30default_config_static_selectorELNS0_4arch9wavefront6targetE1EEEvT1_,"axG",@progbits,_ZN7rocprim17ROCPRIM_400000_NS6detail17trampoline_kernelINS0_14default_configENS1_25transform_config_selectorIjLb0EEEZNS1_14transform_implILb0ES3_S5_N6thrust23THRUST_200600_302600_NS6detail15normal_iteratorINS8_10device_ptrIjEEEEPjNS0_8identityIjEEEE10hipError_tT2_T3_mT4_P12ihipStream_tbEUlT_E_NS1_11comp_targetILNS1_3genE10ELNS1_11target_archE1200ELNS1_3gpuE4ELNS1_3repE0EEENS1_30default_config_static_selectorELNS0_4arch9wavefront6targetE1EEEvT1_,comdat
.Lfunc_end163:
	.size	_ZN7rocprim17ROCPRIM_400000_NS6detail17trampoline_kernelINS0_14default_configENS1_25transform_config_selectorIjLb0EEEZNS1_14transform_implILb0ES3_S5_N6thrust23THRUST_200600_302600_NS6detail15normal_iteratorINS8_10device_ptrIjEEEEPjNS0_8identityIjEEEE10hipError_tT2_T3_mT4_P12ihipStream_tbEUlT_E_NS1_11comp_targetILNS1_3genE10ELNS1_11target_archE1200ELNS1_3gpuE4ELNS1_3repE0EEENS1_30default_config_static_selectorELNS0_4arch9wavefront6targetE1EEEvT1_, .Lfunc_end163-_ZN7rocprim17ROCPRIM_400000_NS6detail17trampoline_kernelINS0_14default_configENS1_25transform_config_selectorIjLb0EEEZNS1_14transform_implILb0ES3_S5_N6thrust23THRUST_200600_302600_NS6detail15normal_iteratorINS8_10device_ptrIjEEEEPjNS0_8identityIjEEEE10hipError_tT2_T3_mT4_P12ihipStream_tbEUlT_E_NS1_11comp_targetILNS1_3genE10ELNS1_11target_archE1200ELNS1_3gpuE4ELNS1_3repE0EEENS1_30default_config_static_selectorELNS0_4arch9wavefront6targetE1EEEvT1_
                                        ; -- End function
	.section	.AMDGPU.csdata,"",@progbits
; Kernel info:
; codeLenInByte = 0
; NumSgprs: 4
; NumVgprs: 0
; NumAgprs: 0
; TotalNumVgprs: 0
; ScratchSize: 0
; MemoryBound: 0
; FloatMode: 240
; IeeeMode: 1
; LDSByteSize: 0 bytes/workgroup (compile time only)
; SGPRBlocks: 0
; VGPRBlocks: 0
; NumSGPRsForWavesPerEU: 4
; NumVGPRsForWavesPerEU: 1
; AccumOffset: 4
; Occupancy: 8
; WaveLimiterHint : 0
; COMPUTE_PGM_RSRC2:SCRATCH_EN: 0
; COMPUTE_PGM_RSRC2:USER_SGPR: 6
; COMPUTE_PGM_RSRC2:TRAP_HANDLER: 0
; COMPUTE_PGM_RSRC2:TGID_X_EN: 1
; COMPUTE_PGM_RSRC2:TGID_Y_EN: 0
; COMPUTE_PGM_RSRC2:TGID_Z_EN: 0
; COMPUTE_PGM_RSRC2:TIDIG_COMP_CNT: 0
; COMPUTE_PGM_RSRC3_GFX90A:ACCUM_OFFSET: 0
; COMPUTE_PGM_RSRC3_GFX90A:TG_SPLIT: 0
	.section	.text._ZN7rocprim17ROCPRIM_400000_NS6detail17trampoline_kernelINS0_14default_configENS1_25transform_config_selectorIjLb0EEEZNS1_14transform_implILb0ES3_S5_N6thrust23THRUST_200600_302600_NS6detail15normal_iteratorINS8_10device_ptrIjEEEEPjNS0_8identityIjEEEE10hipError_tT2_T3_mT4_P12ihipStream_tbEUlT_E_NS1_11comp_targetILNS1_3genE9ELNS1_11target_archE1100ELNS1_3gpuE3ELNS1_3repE0EEENS1_30default_config_static_selectorELNS0_4arch9wavefront6targetE1EEEvT1_,"axG",@progbits,_ZN7rocprim17ROCPRIM_400000_NS6detail17trampoline_kernelINS0_14default_configENS1_25transform_config_selectorIjLb0EEEZNS1_14transform_implILb0ES3_S5_N6thrust23THRUST_200600_302600_NS6detail15normal_iteratorINS8_10device_ptrIjEEEEPjNS0_8identityIjEEEE10hipError_tT2_T3_mT4_P12ihipStream_tbEUlT_E_NS1_11comp_targetILNS1_3genE9ELNS1_11target_archE1100ELNS1_3gpuE3ELNS1_3repE0EEENS1_30default_config_static_selectorELNS0_4arch9wavefront6targetE1EEEvT1_,comdat
	.protected	_ZN7rocprim17ROCPRIM_400000_NS6detail17trampoline_kernelINS0_14default_configENS1_25transform_config_selectorIjLb0EEEZNS1_14transform_implILb0ES3_S5_N6thrust23THRUST_200600_302600_NS6detail15normal_iteratorINS8_10device_ptrIjEEEEPjNS0_8identityIjEEEE10hipError_tT2_T3_mT4_P12ihipStream_tbEUlT_E_NS1_11comp_targetILNS1_3genE9ELNS1_11target_archE1100ELNS1_3gpuE3ELNS1_3repE0EEENS1_30default_config_static_selectorELNS0_4arch9wavefront6targetE1EEEvT1_ ; -- Begin function _ZN7rocprim17ROCPRIM_400000_NS6detail17trampoline_kernelINS0_14default_configENS1_25transform_config_selectorIjLb0EEEZNS1_14transform_implILb0ES3_S5_N6thrust23THRUST_200600_302600_NS6detail15normal_iteratorINS8_10device_ptrIjEEEEPjNS0_8identityIjEEEE10hipError_tT2_T3_mT4_P12ihipStream_tbEUlT_E_NS1_11comp_targetILNS1_3genE9ELNS1_11target_archE1100ELNS1_3gpuE3ELNS1_3repE0EEENS1_30default_config_static_selectorELNS0_4arch9wavefront6targetE1EEEvT1_
	.globl	_ZN7rocprim17ROCPRIM_400000_NS6detail17trampoline_kernelINS0_14default_configENS1_25transform_config_selectorIjLb0EEEZNS1_14transform_implILb0ES3_S5_N6thrust23THRUST_200600_302600_NS6detail15normal_iteratorINS8_10device_ptrIjEEEEPjNS0_8identityIjEEEE10hipError_tT2_T3_mT4_P12ihipStream_tbEUlT_E_NS1_11comp_targetILNS1_3genE9ELNS1_11target_archE1100ELNS1_3gpuE3ELNS1_3repE0EEENS1_30default_config_static_selectorELNS0_4arch9wavefront6targetE1EEEvT1_
	.p2align	8
	.type	_ZN7rocprim17ROCPRIM_400000_NS6detail17trampoline_kernelINS0_14default_configENS1_25transform_config_selectorIjLb0EEEZNS1_14transform_implILb0ES3_S5_N6thrust23THRUST_200600_302600_NS6detail15normal_iteratorINS8_10device_ptrIjEEEEPjNS0_8identityIjEEEE10hipError_tT2_T3_mT4_P12ihipStream_tbEUlT_E_NS1_11comp_targetILNS1_3genE9ELNS1_11target_archE1100ELNS1_3gpuE3ELNS1_3repE0EEENS1_30default_config_static_selectorELNS0_4arch9wavefront6targetE1EEEvT1_,@function
_ZN7rocprim17ROCPRIM_400000_NS6detail17trampoline_kernelINS0_14default_configENS1_25transform_config_selectorIjLb0EEEZNS1_14transform_implILb0ES3_S5_N6thrust23THRUST_200600_302600_NS6detail15normal_iteratorINS8_10device_ptrIjEEEEPjNS0_8identityIjEEEE10hipError_tT2_T3_mT4_P12ihipStream_tbEUlT_E_NS1_11comp_targetILNS1_3genE9ELNS1_11target_archE1100ELNS1_3gpuE3ELNS1_3repE0EEENS1_30default_config_static_selectorELNS0_4arch9wavefront6targetE1EEEvT1_: ; @_ZN7rocprim17ROCPRIM_400000_NS6detail17trampoline_kernelINS0_14default_configENS1_25transform_config_selectorIjLb0EEEZNS1_14transform_implILb0ES3_S5_N6thrust23THRUST_200600_302600_NS6detail15normal_iteratorINS8_10device_ptrIjEEEEPjNS0_8identityIjEEEE10hipError_tT2_T3_mT4_P12ihipStream_tbEUlT_E_NS1_11comp_targetILNS1_3genE9ELNS1_11target_archE1100ELNS1_3gpuE3ELNS1_3repE0EEENS1_30default_config_static_selectorELNS0_4arch9wavefront6targetE1EEEvT1_
; %bb.0:
	.section	.rodata,"a",@progbits
	.p2align	6, 0x0
	.amdhsa_kernel _ZN7rocprim17ROCPRIM_400000_NS6detail17trampoline_kernelINS0_14default_configENS1_25transform_config_selectorIjLb0EEEZNS1_14transform_implILb0ES3_S5_N6thrust23THRUST_200600_302600_NS6detail15normal_iteratorINS8_10device_ptrIjEEEEPjNS0_8identityIjEEEE10hipError_tT2_T3_mT4_P12ihipStream_tbEUlT_E_NS1_11comp_targetILNS1_3genE9ELNS1_11target_archE1100ELNS1_3gpuE3ELNS1_3repE0EEENS1_30default_config_static_selectorELNS0_4arch9wavefront6targetE1EEEvT1_
		.amdhsa_group_segment_fixed_size 0
		.amdhsa_private_segment_fixed_size 0
		.amdhsa_kernarg_size 40
		.amdhsa_user_sgpr_count 6
		.amdhsa_user_sgpr_private_segment_buffer 1
		.amdhsa_user_sgpr_dispatch_ptr 0
		.amdhsa_user_sgpr_queue_ptr 0
		.amdhsa_user_sgpr_kernarg_segment_ptr 1
		.amdhsa_user_sgpr_dispatch_id 0
		.amdhsa_user_sgpr_flat_scratch_init 0
		.amdhsa_user_sgpr_kernarg_preload_length 0
		.amdhsa_user_sgpr_kernarg_preload_offset 0
		.amdhsa_user_sgpr_private_segment_size 0
		.amdhsa_uses_dynamic_stack 0
		.amdhsa_system_sgpr_private_segment_wavefront_offset 0
		.amdhsa_system_sgpr_workgroup_id_x 1
		.amdhsa_system_sgpr_workgroup_id_y 0
		.amdhsa_system_sgpr_workgroup_id_z 0
		.amdhsa_system_sgpr_workgroup_info 0
		.amdhsa_system_vgpr_workitem_id 0
		.amdhsa_next_free_vgpr 1
		.amdhsa_next_free_sgpr 0
		.amdhsa_accum_offset 4
		.amdhsa_reserve_vcc 0
		.amdhsa_reserve_flat_scratch 0
		.amdhsa_float_round_mode_32 0
		.amdhsa_float_round_mode_16_64 0
		.amdhsa_float_denorm_mode_32 3
		.amdhsa_float_denorm_mode_16_64 3
		.amdhsa_dx10_clamp 1
		.amdhsa_ieee_mode 1
		.amdhsa_fp16_overflow 0
		.amdhsa_tg_split 0
		.amdhsa_exception_fp_ieee_invalid_op 0
		.amdhsa_exception_fp_denorm_src 0
		.amdhsa_exception_fp_ieee_div_zero 0
		.amdhsa_exception_fp_ieee_overflow 0
		.amdhsa_exception_fp_ieee_underflow 0
		.amdhsa_exception_fp_ieee_inexact 0
		.amdhsa_exception_int_div_zero 0
	.end_amdhsa_kernel
	.section	.text._ZN7rocprim17ROCPRIM_400000_NS6detail17trampoline_kernelINS0_14default_configENS1_25transform_config_selectorIjLb0EEEZNS1_14transform_implILb0ES3_S5_N6thrust23THRUST_200600_302600_NS6detail15normal_iteratorINS8_10device_ptrIjEEEEPjNS0_8identityIjEEEE10hipError_tT2_T3_mT4_P12ihipStream_tbEUlT_E_NS1_11comp_targetILNS1_3genE9ELNS1_11target_archE1100ELNS1_3gpuE3ELNS1_3repE0EEENS1_30default_config_static_selectorELNS0_4arch9wavefront6targetE1EEEvT1_,"axG",@progbits,_ZN7rocprim17ROCPRIM_400000_NS6detail17trampoline_kernelINS0_14default_configENS1_25transform_config_selectorIjLb0EEEZNS1_14transform_implILb0ES3_S5_N6thrust23THRUST_200600_302600_NS6detail15normal_iteratorINS8_10device_ptrIjEEEEPjNS0_8identityIjEEEE10hipError_tT2_T3_mT4_P12ihipStream_tbEUlT_E_NS1_11comp_targetILNS1_3genE9ELNS1_11target_archE1100ELNS1_3gpuE3ELNS1_3repE0EEENS1_30default_config_static_selectorELNS0_4arch9wavefront6targetE1EEEvT1_,comdat
.Lfunc_end164:
	.size	_ZN7rocprim17ROCPRIM_400000_NS6detail17trampoline_kernelINS0_14default_configENS1_25transform_config_selectorIjLb0EEEZNS1_14transform_implILb0ES3_S5_N6thrust23THRUST_200600_302600_NS6detail15normal_iteratorINS8_10device_ptrIjEEEEPjNS0_8identityIjEEEE10hipError_tT2_T3_mT4_P12ihipStream_tbEUlT_E_NS1_11comp_targetILNS1_3genE9ELNS1_11target_archE1100ELNS1_3gpuE3ELNS1_3repE0EEENS1_30default_config_static_selectorELNS0_4arch9wavefront6targetE1EEEvT1_, .Lfunc_end164-_ZN7rocprim17ROCPRIM_400000_NS6detail17trampoline_kernelINS0_14default_configENS1_25transform_config_selectorIjLb0EEEZNS1_14transform_implILb0ES3_S5_N6thrust23THRUST_200600_302600_NS6detail15normal_iteratorINS8_10device_ptrIjEEEEPjNS0_8identityIjEEEE10hipError_tT2_T3_mT4_P12ihipStream_tbEUlT_E_NS1_11comp_targetILNS1_3genE9ELNS1_11target_archE1100ELNS1_3gpuE3ELNS1_3repE0EEENS1_30default_config_static_selectorELNS0_4arch9wavefront6targetE1EEEvT1_
                                        ; -- End function
	.section	.AMDGPU.csdata,"",@progbits
; Kernel info:
; codeLenInByte = 0
; NumSgprs: 4
; NumVgprs: 0
; NumAgprs: 0
; TotalNumVgprs: 0
; ScratchSize: 0
; MemoryBound: 0
; FloatMode: 240
; IeeeMode: 1
; LDSByteSize: 0 bytes/workgroup (compile time only)
; SGPRBlocks: 0
; VGPRBlocks: 0
; NumSGPRsForWavesPerEU: 4
; NumVGPRsForWavesPerEU: 1
; AccumOffset: 4
; Occupancy: 8
; WaveLimiterHint : 0
; COMPUTE_PGM_RSRC2:SCRATCH_EN: 0
; COMPUTE_PGM_RSRC2:USER_SGPR: 6
; COMPUTE_PGM_RSRC2:TRAP_HANDLER: 0
; COMPUTE_PGM_RSRC2:TGID_X_EN: 1
; COMPUTE_PGM_RSRC2:TGID_Y_EN: 0
; COMPUTE_PGM_RSRC2:TGID_Z_EN: 0
; COMPUTE_PGM_RSRC2:TIDIG_COMP_CNT: 0
; COMPUTE_PGM_RSRC3_GFX90A:ACCUM_OFFSET: 0
; COMPUTE_PGM_RSRC3_GFX90A:TG_SPLIT: 0
	.section	.text._ZN7rocprim17ROCPRIM_400000_NS6detail17trampoline_kernelINS0_14default_configENS1_25transform_config_selectorIjLb0EEEZNS1_14transform_implILb0ES3_S5_N6thrust23THRUST_200600_302600_NS6detail15normal_iteratorINS8_10device_ptrIjEEEEPjNS0_8identityIjEEEE10hipError_tT2_T3_mT4_P12ihipStream_tbEUlT_E_NS1_11comp_targetILNS1_3genE8ELNS1_11target_archE1030ELNS1_3gpuE2ELNS1_3repE0EEENS1_30default_config_static_selectorELNS0_4arch9wavefront6targetE1EEEvT1_,"axG",@progbits,_ZN7rocprim17ROCPRIM_400000_NS6detail17trampoline_kernelINS0_14default_configENS1_25transform_config_selectorIjLb0EEEZNS1_14transform_implILb0ES3_S5_N6thrust23THRUST_200600_302600_NS6detail15normal_iteratorINS8_10device_ptrIjEEEEPjNS0_8identityIjEEEE10hipError_tT2_T3_mT4_P12ihipStream_tbEUlT_E_NS1_11comp_targetILNS1_3genE8ELNS1_11target_archE1030ELNS1_3gpuE2ELNS1_3repE0EEENS1_30default_config_static_selectorELNS0_4arch9wavefront6targetE1EEEvT1_,comdat
	.protected	_ZN7rocprim17ROCPRIM_400000_NS6detail17trampoline_kernelINS0_14default_configENS1_25transform_config_selectorIjLb0EEEZNS1_14transform_implILb0ES3_S5_N6thrust23THRUST_200600_302600_NS6detail15normal_iteratorINS8_10device_ptrIjEEEEPjNS0_8identityIjEEEE10hipError_tT2_T3_mT4_P12ihipStream_tbEUlT_E_NS1_11comp_targetILNS1_3genE8ELNS1_11target_archE1030ELNS1_3gpuE2ELNS1_3repE0EEENS1_30default_config_static_selectorELNS0_4arch9wavefront6targetE1EEEvT1_ ; -- Begin function _ZN7rocprim17ROCPRIM_400000_NS6detail17trampoline_kernelINS0_14default_configENS1_25transform_config_selectorIjLb0EEEZNS1_14transform_implILb0ES3_S5_N6thrust23THRUST_200600_302600_NS6detail15normal_iteratorINS8_10device_ptrIjEEEEPjNS0_8identityIjEEEE10hipError_tT2_T3_mT4_P12ihipStream_tbEUlT_E_NS1_11comp_targetILNS1_3genE8ELNS1_11target_archE1030ELNS1_3gpuE2ELNS1_3repE0EEENS1_30default_config_static_selectorELNS0_4arch9wavefront6targetE1EEEvT1_
	.globl	_ZN7rocprim17ROCPRIM_400000_NS6detail17trampoline_kernelINS0_14default_configENS1_25transform_config_selectorIjLb0EEEZNS1_14transform_implILb0ES3_S5_N6thrust23THRUST_200600_302600_NS6detail15normal_iteratorINS8_10device_ptrIjEEEEPjNS0_8identityIjEEEE10hipError_tT2_T3_mT4_P12ihipStream_tbEUlT_E_NS1_11comp_targetILNS1_3genE8ELNS1_11target_archE1030ELNS1_3gpuE2ELNS1_3repE0EEENS1_30default_config_static_selectorELNS0_4arch9wavefront6targetE1EEEvT1_
	.p2align	8
	.type	_ZN7rocprim17ROCPRIM_400000_NS6detail17trampoline_kernelINS0_14default_configENS1_25transform_config_selectorIjLb0EEEZNS1_14transform_implILb0ES3_S5_N6thrust23THRUST_200600_302600_NS6detail15normal_iteratorINS8_10device_ptrIjEEEEPjNS0_8identityIjEEEE10hipError_tT2_T3_mT4_P12ihipStream_tbEUlT_E_NS1_11comp_targetILNS1_3genE8ELNS1_11target_archE1030ELNS1_3gpuE2ELNS1_3repE0EEENS1_30default_config_static_selectorELNS0_4arch9wavefront6targetE1EEEvT1_,@function
_ZN7rocprim17ROCPRIM_400000_NS6detail17trampoline_kernelINS0_14default_configENS1_25transform_config_selectorIjLb0EEEZNS1_14transform_implILb0ES3_S5_N6thrust23THRUST_200600_302600_NS6detail15normal_iteratorINS8_10device_ptrIjEEEEPjNS0_8identityIjEEEE10hipError_tT2_T3_mT4_P12ihipStream_tbEUlT_E_NS1_11comp_targetILNS1_3genE8ELNS1_11target_archE1030ELNS1_3gpuE2ELNS1_3repE0EEENS1_30default_config_static_selectorELNS0_4arch9wavefront6targetE1EEEvT1_: ; @_ZN7rocprim17ROCPRIM_400000_NS6detail17trampoline_kernelINS0_14default_configENS1_25transform_config_selectorIjLb0EEEZNS1_14transform_implILb0ES3_S5_N6thrust23THRUST_200600_302600_NS6detail15normal_iteratorINS8_10device_ptrIjEEEEPjNS0_8identityIjEEEE10hipError_tT2_T3_mT4_P12ihipStream_tbEUlT_E_NS1_11comp_targetILNS1_3genE8ELNS1_11target_archE1030ELNS1_3gpuE2ELNS1_3repE0EEENS1_30default_config_static_selectorELNS0_4arch9wavefront6targetE1EEEvT1_
; %bb.0:
	.section	.rodata,"a",@progbits
	.p2align	6, 0x0
	.amdhsa_kernel _ZN7rocprim17ROCPRIM_400000_NS6detail17trampoline_kernelINS0_14default_configENS1_25transform_config_selectorIjLb0EEEZNS1_14transform_implILb0ES3_S5_N6thrust23THRUST_200600_302600_NS6detail15normal_iteratorINS8_10device_ptrIjEEEEPjNS0_8identityIjEEEE10hipError_tT2_T3_mT4_P12ihipStream_tbEUlT_E_NS1_11comp_targetILNS1_3genE8ELNS1_11target_archE1030ELNS1_3gpuE2ELNS1_3repE0EEENS1_30default_config_static_selectorELNS0_4arch9wavefront6targetE1EEEvT1_
		.amdhsa_group_segment_fixed_size 0
		.amdhsa_private_segment_fixed_size 0
		.amdhsa_kernarg_size 40
		.amdhsa_user_sgpr_count 6
		.amdhsa_user_sgpr_private_segment_buffer 1
		.amdhsa_user_sgpr_dispatch_ptr 0
		.amdhsa_user_sgpr_queue_ptr 0
		.amdhsa_user_sgpr_kernarg_segment_ptr 1
		.amdhsa_user_sgpr_dispatch_id 0
		.amdhsa_user_sgpr_flat_scratch_init 0
		.amdhsa_user_sgpr_kernarg_preload_length 0
		.amdhsa_user_sgpr_kernarg_preload_offset 0
		.amdhsa_user_sgpr_private_segment_size 0
		.amdhsa_uses_dynamic_stack 0
		.amdhsa_system_sgpr_private_segment_wavefront_offset 0
		.amdhsa_system_sgpr_workgroup_id_x 1
		.amdhsa_system_sgpr_workgroup_id_y 0
		.amdhsa_system_sgpr_workgroup_id_z 0
		.amdhsa_system_sgpr_workgroup_info 0
		.amdhsa_system_vgpr_workitem_id 0
		.amdhsa_next_free_vgpr 1
		.amdhsa_next_free_sgpr 0
		.amdhsa_accum_offset 4
		.amdhsa_reserve_vcc 0
		.amdhsa_reserve_flat_scratch 0
		.amdhsa_float_round_mode_32 0
		.amdhsa_float_round_mode_16_64 0
		.amdhsa_float_denorm_mode_32 3
		.amdhsa_float_denorm_mode_16_64 3
		.amdhsa_dx10_clamp 1
		.amdhsa_ieee_mode 1
		.amdhsa_fp16_overflow 0
		.amdhsa_tg_split 0
		.amdhsa_exception_fp_ieee_invalid_op 0
		.amdhsa_exception_fp_denorm_src 0
		.amdhsa_exception_fp_ieee_div_zero 0
		.amdhsa_exception_fp_ieee_overflow 0
		.amdhsa_exception_fp_ieee_underflow 0
		.amdhsa_exception_fp_ieee_inexact 0
		.amdhsa_exception_int_div_zero 0
	.end_amdhsa_kernel
	.section	.text._ZN7rocprim17ROCPRIM_400000_NS6detail17trampoline_kernelINS0_14default_configENS1_25transform_config_selectorIjLb0EEEZNS1_14transform_implILb0ES3_S5_N6thrust23THRUST_200600_302600_NS6detail15normal_iteratorINS8_10device_ptrIjEEEEPjNS0_8identityIjEEEE10hipError_tT2_T3_mT4_P12ihipStream_tbEUlT_E_NS1_11comp_targetILNS1_3genE8ELNS1_11target_archE1030ELNS1_3gpuE2ELNS1_3repE0EEENS1_30default_config_static_selectorELNS0_4arch9wavefront6targetE1EEEvT1_,"axG",@progbits,_ZN7rocprim17ROCPRIM_400000_NS6detail17trampoline_kernelINS0_14default_configENS1_25transform_config_selectorIjLb0EEEZNS1_14transform_implILb0ES3_S5_N6thrust23THRUST_200600_302600_NS6detail15normal_iteratorINS8_10device_ptrIjEEEEPjNS0_8identityIjEEEE10hipError_tT2_T3_mT4_P12ihipStream_tbEUlT_E_NS1_11comp_targetILNS1_3genE8ELNS1_11target_archE1030ELNS1_3gpuE2ELNS1_3repE0EEENS1_30default_config_static_selectorELNS0_4arch9wavefront6targetE1EEEvT1_,comdat
.Lfunc_end165:
	.size	_ZN7rocprim17ROCPRIM_400000_NS6detail17trampoline_kernelINS0_14default_configENS1_25transform_config_selectorIjLb0EEEZNS1_14transform_implILb0ES3_S5_N6thrust23THRUST_200600_302600_NS6detail15normal_iteratorINS8_10device_ptrIjEEEEPjNS0_8identityIjEEEE10hipError_tT2_T3_mT4_P12ihipStream_tbEUlT_E_NS1_11comp_targetILNS1_3genE8ELNS1_11target_archE1030ELNS1_3gpuE2ELNS1_3repE0EEENS1_30default_config_static_selectorELNS0_4arch9wavefront6targetE1EEEvT1_, .Lfunc_end165-_ZN7rocprim17ROCPRIM_400000_NS6detail17trampoline_kernelINS0_14default_configENS1_25transform_config_selectorIjLb0EEEZNS1_14transform_implILb0ES3_S5_N6thrust23THRUST_200600_302600_NS6detail15normal_iteratorINS8_10device_ptrIjEEEEPjNS0_8identityIjEEEE10hipError_tT2_T3_mT4_P12ihipStream_tbEUlT_E_NS1_11comp_targetILNS1_3genE8ELNS1_11target_archE1030ELNS1_3gpuE2ELNS1_3repE0EEENS1_30default_config_static_selectorELNS0_4arch9wavefront6targetE1EEEvT1_
                                        ; -- End function
	.section	.AMDGPU.csdata,"",@progbits
; Kernel info:
; codeLenInByte = 0
; NumSgprs: 4
; NumVgprs: 0
; NumAgprs: 0
; TotalNumVgprs: 0
; ScratchSize: 0
; MemoryBound: 0
; FloatMode: 240
; IeeeMode: 1
; LDSByteSize: 0 bytes/workgroup (compile time only)
; SGPRBlocks: 0
; VGPRBlocks: 0
; NumSGPRsForWavesPerEU: 4
; NumVGPRsForWavesPerEU: 1
; AccumOffset: 4
; Occupancy: 8
; WaveLimiterHint : 0
; COMPUTE_PGM_RSRC2:SCRATCH_EN: 0
; COMPUTE_PGM_RSRC2:USER_SGPR: 6
; COMPUTE_PGM_RSRC2:TRAP_HANDLER: 0
; COMPUTE_PGM_RSRC2:TGID_X_EN: 1
; COMPUTE_PGM_RSRC2:TGID_Y_EN: 0
; COMPUTE_PGM_RSRC2:TGID_Z_EN: 0
; COMPUTE_PGM_RSRC2:TIDIG_COMP_CNT: 0
; COMPUTE_PGM_RSRC3_GFX90A:ACCUM_OFFSET: 0
; COMPUTE_PGM_RSRC3_GFX90A:TG_SPLIT: 0
	.section	.text._ZN7rocprim17ROCPRIM_400000_NS6detail17trampoline_kernelINS0_14default_configENS1_25transform_config_selectorIN6thrust23THRUST_200600_302600_NS5tupleIffNS6_9null_typeES8_S8_S8_S8_S8_S8_S8_EELb0EEEZNS1_14transform_implILb0ES3_SA_NS6_6detail15normal_iteratorINS6_10device_ptrIS9_EEEEPS9_NS0_8identityIS9_EEEE10hipError_tT2_T3_mT4_P12ihipStream_tbEUlT_E_NS1_11comp_targetILNS1_3genE0ELNS1_11target_archE4294967295ELNS1_3gpuE0ELNS1_3repE0EEENS1_30default_config_static_selectorELNS0_4arch9wavefront6targetE1EEEvT1_,"axG",@progbits,_ZN7rocprim17ROCPRIM_400000_NS6detail17trampoline_kernelINS0_14default_configENS1_25transform_config_selectorIN6thrust23THRUST_200600_302600_NS5tupleIffNS6_9null_typeES8_S8_S8_S8_S8_S8_S8_EELb0EEEZNS1_14transform_implILb0ES3_SA_NS6_6detail15normal_iteratorINS6_10device_ptrIS9_EEEEPS9_NS0_8identityIS9_EEEE10hipError_tT2_T3_mT4_P12ihipStream_tbEUlT_E_NS1_11comp_targetILNS1_3genE0ELNS1_11target_archE4294967295ELNS1_3gpuE0ELNS1_3repE0EEENS1_30default_config_static_selectorELNS0_4arch9wavefront6targetE1EEEvT1_,comdat
	.protected	_ZN7rocprim17ROCPRIM_400000_NS6detail17trampoline_kernelINS0_14default_configENS1_25transform_config_selectorIN6thrust23THRUST_200600_302600_NS5tupleIffNS6_9null_typeES8_S8_S8_S8_S8_S8_S8_EELb0EEEZNS1_14transform_implILb0ES3_SA_NS6_6detail15normal_iteratorINS6_10device_ptrIS9_EEEEPS9_NS0_8identityIS9_EEEE10hipError_tT2_T3_mT4_P12ihipStream_tbEUlT_E_NS1_11comp_targetILNS1_3genE0ELNS1_11target_archE4294967295ELNS1_3gpuE0ELNS1_3repE0EEENS1_30default_config_static_selectorELNS0_4arch9wavefront6targetE1EEEvT1_ ; -- Begin function _ZN7rocprim17ROCPRIM_400000_NS6detail17trampoline_kernelINS0_14default_configENS1_25transform_config_selectorIN6thrust23THRUST_200600_302600_NS5tupleIffNS6_9null_typeES8_S8_S8_S8_S8_S8_S8_EELb0EEEZNS1_14transform_implILb0ES3_SA_NS6_6detail15normal_iteratorINS6_10device_ptrIS9_EEEEPS9_NS0_8identityIS9_EEEE10hipError_tT2_T3_mT4_P12ihipStream_tbEUlT_E_NS1_11comp_targetILNS1_3genE0ELNS1_11target_archE4294967295ELNS1_3gpuE0ELNS1_3repE0EEENS1_30default_config_static_selectorELNS0_4arch9wavefront6targetE1EEEvT1_
	.globl	_ZN7rocprim17ROCPRIM_400000_NS6detail17trampoline_kernelINS0_14default_configENS1_25transform_config_selectorIN6thrust23THRUST_200600_302600_NS5tupleIffNS6_9null_typeES8_S8_S8_S8_S8_S8_S8_EELb0EEEZNS1_14transform_implILb0ES3_SA_NS6_6detail15normal_iteratorINS6_10device_ptrIS9_EEEEPS9_NS0_8identityIS9_EEEE10hipError_tT2_T3_mT4_P12ihipStream_tbEUlT_E_NS1_11comp_targetILNS1_3genE0ELNS1_11target_archE4294967295ELNS1_3gpuE0ELNS1_3repE0EEENS1_30default_config_static_selectorELNS0_4arch9wavefront6targetE1EEEvT1_
	.p2align	8
	.type	_ZN7rocprim17ROCPRIM_400000_NS6detail17trampoline_kernelINS0_14default_configENS1_25transform_config_selectorIN6thrust23THRUST_200600_302600_NS5tupleIffNS6_9null_typeES8_S8_S8_S8_S8_S8_S8_EELb0EEEZNS1_14transform_implILb0ES3_SA_NS6_6detail15normal_iteratorINS6_10device_ptrIS9_EEEEPS9_NS0_8identityIS9_EEEE10hipError_tT2_T3_mT4_P12ihipStream_tbEUlT_E_NS1_11comp_targetILNS1_3genE0ELNS1_11target_archE4294967295ELNS1_3gpuE0ELNS1_3repE0EEENS1_30default_config_static_selectorELNS0_4arch9wavefront6targetE1EEEvT1_,@function
_ZN7rocprim17ROCPRIM_400000_NS6detail17trampoline_kernelINS0_14default_configENS1_25transform_config_selectorIN6thrust23THRUST_200600_302600_NS5tupleIffNS6_9null_typeES8_S8_S8_S8_S8_S8_S8_EELb0EEEZNS1_14transform_implILb0ES3_SA_NS6_6detail15normal_iteratorINS6_10device_ptrIS9_EEEEPS9_NS0_8identityIS9_EEEE10hipError_tT2_T3_mT4_P12ihipStream_tbEUlT_E_NS1_11comp_targetILNS1_3genE0ELNS1_11target_archE4294967295ELNS1_3gpuE0ELNS1_3repE0EEENS1_30default_config_static_selectorELNS0_4arch9wavefront6targetE1EEEvT1_: ; @_ZN7rocprim17ROCPRIM_400000_NS6detail17trampoline_kernelINS0_14default_configENS1_25transform_config_selectorIN6thrust23THRUST_200600_302600_NS5tupleIffNS6_9null_typeES8_S8_S8_S8_S8_S8_S8_EELb0EEEZNS1_14transform_implILb0ES3_SA_NS6_6detail15normal_iteratorINS6_10device_ptrIS9_EEEEPS9_NS0_8identityIS9_EEEE10hipError_tT2_T3_mT4_P12ihipStream_tbEUlT_E_NS1_11comp_targetILNS1_3genE0ELNS1_11target_archE4294967295ELNS1_3gpuE0ELNS1_3repE0EEENS1_30default_config_static_selectorELNS0_4arch9wavefront6targetE1EEEvT1_
; %bb.0:
	.section	.rodata,"a",@progbits
	.p2align	6, 0x0
	.amdhsa_kernel _ZN7rocprim17ROCPRIM_400000_NS6detail17trampoline_kernelINS0_14default_configENS1_25transform_config_selectorIN6thrust23THRUST_200600_302600_NS5tupleIffNS6_9null_typeES8_S8_S8_S8_S8_S8_S8_EELb0EEEZNS1_14transform_implILb0ES3_SA_NS6_6detail15normal_iteratorINS6_10device_ptrIS9_EEEEPS9_NS0_8identityIS9_EEEE10hipError_tT2_T3_mT4_P12ihipStream_tbEUlT_E_NS1_11comp_targetILNS1_3genE0ELNS1_11target_archE4294967295ELNS1_3gpuE0ELNS1_3repE0EEENS1_30default_config_static_selectorELNS0_4arch9wavefront6targetE1EEEvT1_
		.amdhsa_group_segment_fixed_size 0
		.amdhsa_private_segment_fixed_size 0
		.amdhsa_kernarg_size 40
		.amdhsa_user_sgpr_count 6
		.amdhsa_user_sgpr_private_segment_buffer 1
		.amdhsa_user_sgpr_dispatch_ptr 0
		.amdhsa_user_sgpr_queue_ptr 0
		.amdhsa_user_sgpr_kernarg_segment_ptr 1
		.amdhsa_user_sgpr_dispatch_id 0
		.amdhsa_user_sgpr_flat_scratch_init 0
		.amdhsa_user_sgpr_kernarg_preload_length 0
		.amdhsa_user_sgpr_kernarg_preload_offset 0
		.amdhsa_user_sgpr_private_segment_size 0
		.amdhsa_uses_dynamic_stack 0
		.amdhsa_system_sgpr_private_segment_wavefront_offset 0
		.amdhsa_system_sgpr_workgroup_id_x 1
		.amdhsa_system_sgpr_workgroup_id_y 0
		.amdhsa_system_sgpr_workgroup_id_z 0
		.amdhsa_system_sgpr_workgroup_info 0
		.amdhsa_system_vgpr_workitem_id 0
		.amdhsa_next_free_vgpr 1
		.amdhsa_next_free_sgpr 0
		.amdhsa_accum_offset 4
		.amdhsa_reserve_vcc 0
		.amdhsa_reserve_flat_scratch 0
		.amdhsa_float_round_mode_32 0
		.amdhsa_float_round_mode_16_64 0
		.amdhsa_float_denorm_mode_32 3
		.amdhsa_float_denorm_mode_16_64 3
		.amdhsa_dx10_clamp 1
		.amdhsa_ieee_mode 1
		.amdhsa_fp16_overflow 0
		.amdhsa_tg_split 0
		.amdhsa_exception_fp_ieee_invalid_op 0
		.amdhsa_exception_fp_denorm_src 0
		.amdhsa_exception_fp_ieee_div_zero 0
		.amdhsa_exception_fp_ieee_overflow 0
		.amdhsa_exception_fp_ieee_underflow 0
		.amdhsa_exception_fp_ieee_inexact 0
		.amdhsa_exception_int_div_zero 0
	.end_amdhsa_kernel
	.section	.text._ZN7rocprim17ROCPRIM_400000_NS6detail17trampoline_kernelINS0_14default_configENS1_25transform_config_selectorIN6thrust23THRUST_200600_302600_NS5tupleIffNS6_9null_typeES8_S8_S8_S8_S8_S8_S8_EELb0EEEZNS1_14transform_implILb0ES3_SA_NS6_6detail15normal_iteratorINS6_10device_ptrIS9_EEEEPS9_NS0_8identityIS9_EEEE10hipError_tT2_T3_mT4_P12ihipStream_tbEUlT_E_NS1_11comp_targetILNS1_3genE0ELNS1_11target_archE4294967295ELNS1_3gpuE0ELNS1_3repE0EEENS1_30default_config_static_selectorELNS0_4arch9wavefront6targetE1EEEvT1_,"axG",@progbits,_ZN7rocprim17ROCPRIM_400000_NS6detail17trampoline_kernelINS0_14default_configENS1_25transform_config_selectorIN6thrust23THRUST_200600_302600_NS5tupleIffNS6_9null_typeES8_S8_S8_S8_S8_S8_S8_EELb0EEEZNS1_14transform_implILb0ES3_SA_NS6_6detail15normal_iteratorINS6_10device_ptrIS9_EEEEPS9_NS0_8identityIS9_EEEE10hipError_tT2_T3_mT4_P12ihipStream_tbEUlT_E_NS1_11comp_targetILNS1_3genE0ELNS1_11target_archE4294967295ELNS1_3gpuE0ELNS1_3repE0EEENS1_30default_config_static_selectorELNS0_4arch9wavefront6targetE1EEEvT1_,comdat
.Lfunc_end166:
	.size	_ZN7rocprim17ROCPRIM_400000_NS6detail17trampoline_kernelINS0_14default_configENS1_25transform_config_selectorIN6thrust23THRUST_200600_302600_NS5tupleIffNS6_9null_typeES8_S8_S8_S8_S8_S8_S8_EELb0EEEZNS1_14transform_implILb0ES3_SA_NS6_6detail15normal_iteratorINS6_10device_ptrIS9_EEEEPS9_NS0_8identityIS9_EEEE10hipError_tT2_T3_mT4_P12ihipStream_tbEUlT_E_NS1_11comp_targetILNS1_3genE0ELNS1_11target_archE4294967295ELNS1_3gpuE0ELNS1_3repE0EEENS1_30default_config_static_selectorELNS0_4arch9wavefront6targetE1EEEvT1_, .Lfunc_end166-_ZN7rocprim17ROCPRIM_400000_NS6detail17trampoline_kernelINS0_14default_configENS1_25transform_config_selectorIN6thrust23THRUST_200600_302600_NS5tupleIffNS6_9null_typeES8_S8_S8_S8_S8_S8_S8_EELb0EEEZNS1_14transform_implILb0ES3_SA_NS6_6detail15normal_iteratorINS6_10device_ptrIS9_EEEEPS9_NS0_8identityIS9_EEEE10hipError_tT2_T3_mT4_P12ihipStream_tbEUlT_E_NS1_11comp_targetILNS1_3genE0ELNS1_11target_archE4294967295ELNS1_3gpuE0ELNS1_3repE0EEENS1_30default_config_static_selectorELNS0_4arch9wavefront6targetE1EEEvT1_
                                        ; -- End function
	.section	.AMDGPU.csdata,"",@progbits
; Kernel info:
; codeLenInByte = 0
; NumSgprs: 4
; NumVgprs: 0
; NumAgprs: 0
; TotalNumVgprs: 0
; ScratchSize: 0
; MemoryBound: 0
; FloatMode: 240
; IeeeMode: 1
; LDSByteSize: 0 bytes/workgroup (compile time only)
; SGPRBlocks: 0
; VGPRBlocks: 0
; NumSGPRsForWavesPerEU: 4
; NumVGPRsForWavesPerEU: 1
; AccumOffset: 4
; Occupancy: 8
; WaveLimiterHint : 0
; COMPUTE_PGM_RSRC2:SCRATCH_EN: 0
; COMPUTE_PGM_RSRC2:USER_SGPR: 6
; COMPUTE_PGM_RSRC2:TRAP_HANDLER: 0
; COMPUTE_PGM_RSRC2:TGID_X_EN: 1
; COMPUTE_PGM_RSRC2:TGID_Y_EN: 0
; COMPUTE_PGM_RSRC2:TGID_Z_EN: 0
; COMPUTE_PGM_RSRC2:TIDIG_COMP_CNT: 0
; COMPUTE_PGM_RSRC3_GFX90A:ACCUM_OFFSET: 0
; COMPUTE_PGM_RSRC3_GFX90A:TG_SPLIT: 0
	.section	.text._ZN7rocprim17ROCPRIM_400000_NS6detail17trampoline_kernelINS0_14default_configENS1_25transform_config_selectorIN6thrust23THRUST_200600_302600_NS5tupleIffNS6_9null_typeES8_S8_S8_S8_S8_S8_S8_EELb0EEEZNS1_14transform_implILb0ES3_SA_NS6_6detail15normal_iteratorINS6_10device_ptrIS9_EEEEPS9_NS0_8identityIS9_EEEE10hipError_tT2_T3_mT4_P12ihipStream_tbEUlT_E_NS1_11comp_targetILNS1_3genE5ELNS1_11target_archE942ELNS1_3gpuE9ELNS1_3repE0EEENS1_30default_config_static_selectorELNS0_4arch9wavefront6targetE1EEEvT1_,"axG",@progbits,_ZN7rocprim17ROCPRIM_400000_NS6detail17trampoline_kernelINS0_14default_configENS1_25transform_config_selectorIN6thrust23THRUST_200600_302600_NS5tupleIffNS6_9null_typeES8_S8_S8_S8_S8_S8_S8_EELb0EEEZNS1_14transform_implILb0ES3_SA_NS6_6detail15normal_iteratorINS6_10device_ptrIS9_EEEEPS9_NS0_8identityIS9_EEEE10hipError_tT2_T3_mT4_P12ihipStream_tbEUlT_E_NS1_11comp_targetILNS1_3genE5ELNS1_11target_archE942ELNS1_3gpuE9ELNS1_3repE0EEENS1_30default_config_static_selectorELNS0_4arch9wavefront6targetE1EEEvT1_,comdat
	.protected	_ZN7rocprim17ROCPRIM_400000_NS6detail17trampoline_kernelINS0_14default_configENS1_25transform_config_selectorIN6thrust23THRUST_200600_302600_NS5tupleIffNS6_9null_typeES8_S8_S8_S8_S8_S8_S8_EELb0EEEZNS1_14transform_implILb0ES3_SA_NS6_6detail15normal_iteratorINS6_10device_ptrIS9_EEEEPS9_NS0_8identityIS9_EEEE10hipError_tT2_T3_mT4_P12ihipStream_tbEUlT_E_NS1_11comp_targetILNS1_3genE5ELNS1_11target_archE942ELNS1_3gpuE9ELNS1_3repE0EEENS1_30default_config_static_selectorELNS0_4arch9wavefront6targetE1EEEvT1_ ; -- Begin function _ZN7rocprim17ROCPRIM_400000_NS6detail17trampoline_kernelINS0_14default_configENS1_25transform_config_selectorIN6thrust23THRUST_200600_302600_NS5tupleIffNS6_9null_typeES8_S8_S8_S8_S8_S8_S8_EELb0EEEZNS1_14transform_implILb0ES3_SA_NS6_6detail15normal_iteratorINS6_10device_ptrIS9_EEEEPS9_NS0_8identityIS9_EEEE10hipError_tT2_T3_mT4_P12ihipStream_tbEUlT_E_NS1_11comp_targetILNS1_3genE5ELNS1_11target_archE942ELNS1_3gpuE9ELNS1_3repE0EEENS1_30default_config_static_selectorELNS0_4arch9wavefront6targetE1EEEvT1_
	.globl	_ZN7rocprim17ROCPRIM_400000_NS6detail17trampoline_kernelINS0_14default_configENS1_25transform_config_selectorIN6thrust23THRUST_200600_302600_NS5tupleIffNS6_9null_typeES8_S8_S8_S8_S8_S8_S8_EELb0EEEZNS1_14transform_implILb0ES3_SA_NS6_6detail15normal_iteratorINS6_10device_ptrIS9_EEEEPS9_NS0_8identityIS9_EEEE10hipError_tT2_T3_mT4_P12ihipStream_tbEUlT_E_NS1_11comp_targetILNS1_3genE5ELNS1_11target_archE942ELNS1_3gpuE9ELNS1_3repE0EEENS1_30default_config_static_selectorELNS0_4arch9wavefront6targetE1EEEvT1_
	.p2align	8
	.type	_ZN7rocprim17ROCPRIM_400000_NS6detail17trampoline_kernelINS0_14default_configENS1_25transform_config_selectorIN6thrust23THRUST_200600_302600_NS5tupleIffNS6_9null_typeES8_S8_S8_S8_S8_S8_S8_EELb0EEEZNS1_14transform_implILb0ES3_SA_NS6_6detail15normal_iteratorINS6_10device_ptrIS9_EEEEPS9_NS0_8identityIS9_EEEE10hipError_tT2_T3_mT4_P12ihipStream_tbEUlT_E_NS1_11comp_targetILNS1_3genE5ELNS1_11target_archE942ELNS1_3gpuE9ELNS1_3repE0EEENS1_30default_config_static_selectorELNS0_4arch9wavefront6targetE1EEEvT1_,@function
_ZN7rocprim17ROCPRIM_400000_NS6detail17trampoline_kernelINS0_14default_configENS1_25transform_config_selectorIN6thrust23THRUST_200600_302600_NS5tupleIffNS6_9null_typeES8_S8_S8_S8_S8_S8_S8_EELb0EEEZNS1_14transform_implILb0ES3_SA_NS6_6detail15normal_iteratorINS6_10device_ptrIS9_EEEEPS9_NS0_8identityIS9_EEEE10hipError_tT2_T3_mT4_P12ihipStream_tbEUlT_E_NS1_11comp_targetILNS1_3genE5ELNS1_11target_archE942ELNS1_3gpuE9ELNS1_3repE0EEENS1_30default_config_static_selectorELNS0_4arch9wavefront6targetE1EEEvT1_: ; @_ZN7rocprim17ROCPRIM_400000_NS6detail17trampoline_kernelINS0_14default_configENS1_25transform_config_selectorIN6thrust23THRUST_200600_302600_NS5tupleIffNS6_9null_typeES8_S8_S8_S8_S8_S8_S8_EELb0EEEZNS1_14transform_implILb0ES3_SA_NS6_6detail15normal_iteratorINS6_10device_ptrIS9_EEEEPS9_NS0_8identityIS9_EEEE10hipError_tT2_T3_mT4_P12ihipStream_tbEUlT_E_NS1_11comp_targetILNS1_3genE5ELNS1_11target_archE942ELNS1_3gpuE9ELNS1_3repE0EEENS1_30default_config_static_selectorELNS0_4arch9wavefront6targetE1EEEvT1_
; %bb.0:
	.section	.rodata,"a",@progbits
	.p2align	6, 0x0
	.amdhsa_kernel _ZN7rocprim17ROCPRIM_400000_NS6detail17trampoline_kernelINS0_14default_configENS1_25transform_config_selectorIN6thrust23THRUST_200600_302600_NS5tupleIffNS6_9null_typeES8_S8_S8_S8_S8_S8_S8_EELb0EEEZNS1_14transform_implILb0ES3_SA_NS6_6detail15normal_iteratorINS6_10device_ptrIS9_EEEEPS9_NS0_8identityIS9_EEEE10hipError_tT2_T3_mT4_P12ihipStream_tbEUlT_E_NS1_11comp_targetILNS1_3genE5ELNS1_11target_archE942ELNS1_3gpuE9ELNS1_3repE0EEENS1_30default_config_static_selectorELNS0_4arch9wavefront6targetE1EEEvT1_
		.amdhsa_group_segment_fixed_size 0
		.amdhsa_private_segment_fixed_size 0
		.amdhsa_kernarg_size 40
		.amdhsa_user_sgpr_count 6
		.amdhsa_user_sgpr_private_segment_buffer 1
		.amdhsa_user_sgpr_dispatch_ptr 0
		.amdhsa_user_sgpr_queue_ptr 0
		.amdhsa_user_sgpr_kernarg_segment_ptr 1
		.amdhsa_user_sgpr_dispatch_id 0
		.amdhsa_user_sgpr_flat_scratch_init 0
		.amdhsa_user_sgpr_kernarg_preload_length 0
		.amdhsa_user_sgpr_kernarg_preload_offset 0
		.amdhsa_user_sgpr_private_segment_size 0
		.amdhsa_uses_dynamic_stack 0
		.amdhsa_system_sgpr_private_segment_wavefront_offset 0
		.amdhsa_system_sgpr_workgroup_id_x 1
		.amdhsa_system_sgpr_workgroup_id_y 0
		.amdhsa_system_sgpr_workgroup_id_z 0
		.amdhsa_system_sgpr_workgroup_info 0
		.amdhsa_system_vgpr_workitem_id 0
		.amdhsa_next_free_vgpr 1
		.amdhsa_next_free_sgpr 0
		.amdhsa_accum_offset 4
		.amdhsa_reserve_vcc 0
		.amdhsa_reserve_flat_scratch 0
		.amdhsa_float_round_mode_32 0
		.amdhsa_float_round_mode_16_64 0
		.amdhsa_float_denorm_mode_32 3
		.amdhsa_float_denorm_mode_16_64 3
		.amdhsa_dx10_clamp 1
		.amdhsa_ieee_mode 1
		.amdhsa_fp16_overflow 0
		.amdhsa_tg_split 0
		.amdhsa_exception_fp_ieee_invalid_op 0
		.amdhsa_exception_fp_denorm_src 0
		.amdhsa_exception_fp_ieee_div_zero 0
		.amdhsa_exception_fp_ieee_overflow 0
		.amdhsa_exception_fp_ieee_underflow 0
		.amdhsa_exception_fp_ieee_inexact 0
		.amdhsa_exception_int_div_zero 0
	.end_amdhsa_kernel
	.section	.text._ZN7rocprim17ROCPRIM_400000_NS6detail17trampoline_kernelINS0_14default_configENS1_25transform_config_selectorIN6thrust23THRUST_200600_302600_NS5tupleIffNS6_9null_typeES8_S8_S8_S8_S8_S8_S8_EELb0EEEZNS1_14transform_implILb0ES3_SA_NS6_6detail15normal_iteratorINS6_10device_ptrIS9_EEEEPS9_NS0_8identityIS9_EEEE10hipError_tT2_T3_mT4_P12ihipStream_tbEUlT_E_NS1_11comp_targetILNS1_3genE5ELNS1_11target_archE942ELNS1_3gpuE9ELNS1_3repE0EEENS1_30default_config_static_selectorELNS0_4arch9wavefront6targetE1EEEvT1_,"axG",@progbits,_ZN7rocprim17ROCPRIM_400000_NS6detail17trampoline_kernelINS0_14default_configENS1_25transform_config_selectorIN6thrust23THRUST_200600_302600_NS5tupleIffNS6_9null_typeES8_S8_S8_S8_S8_S8_S8_EELb0EEEZNS1_14transform_implILb0ES3_SA_NS6_6detail15normal_iteratorINS6_10device_ptrIS9_EEEEPS9_NS0_8identityIS9_EEEE10hipError_tT2_T3_mT4_P12ihipStream_tbEUlT_E_NS1_11comp_targetILNS1_3genE5ELNS1_11target_archE942ELNS1_3gpuE9ELNS1_3repE0EEENS1_30default_config_static_selectorELNS0_4arch9wavefront6targetE1EEEvT1_,comdat
.Lfunc_end167:
	.size	_ZN7rocprim17ROCPRIM_400000_NS6detail17trampoline_kernelINS0_14default_configENS1_25transform_config_selectorIN6thrust23THRUST_200600_302600_NS5tupleIffNS6_9null_typeES8_S8_S8_S8_S8_S8_S8_EELb0EEEZNS1_14transform_implILb0ES3_SA_NS6_6detail15normal_iteratorINS6_10device_ptrIS9_EEEEPS9_NS0_8identityIS9_EEEE10hipError_tT2_T3_mT4_P12ihipStream_tbEUlT_E_NS1_11comp_targetILNS1_3genE5ELNS1_11target_archE942ELNS1_3gpuE9ELNS1_3repE0EEENS1_30default_config_static_selectorELNS0_4arch9wavefront6targetE1EEEvT1_, .Lfunc_end167-_ZN7rocprim17ROCPRIM_400000_NS6detail17trampoline_kernelINS0_14default_configENS1_25transform_config_selectorIN6thrust23THRUST_200600_302600_NS5tupleIffNS6_9null_typeES8_S8_S8_S8_S8_S8_S8_EELb0EEEZNS1_14transform_implILb0ES3_SA_NS6_6detail15normal_iteratorINS6_10device_ptrIS9_EEEEPS9_NS0_8identityIS9_EEEE10hipError_tT2_T3_mT4_P12ihipStream_tbEUlT_E_NS1_11comp_targetILNS1_3genE5ELNS1_11target_archE942ELNS1_3gpuE9ELNS1_3repE0EEENS1_30default_config_static_selectorELNS0_4arch9wavefront6targetE1EEEvT1_
                                        ; -- End function
	.section	.AMDGPU.csdata,"",@progbits
; Kernel info:
; codeLenInByte = 0
; NumSgprs: 4
; NumVgprs: 0
; NumAgprs: 0
; TotalNumVgprs: 0
; ScratchSize: 0
; MemoryBound: 0
; FloatMode: 240
; IeeeMode: 1
; LDSByteSize: 0 bytes/workgroup (compile time only)
; SGPRBlocks: 0
; VGPRBlocks: 0
; NumSGPRsForWavesPerEU: 4
; NumVGPRsForWavesPerEU: 1
; AccumOffset: 4
; Occupancy: 8
; WaveLimiterHint : 0
; COMPUTE_PGM_RSRC2:SCRATCH_EN: 0
; COMPUTE_PGM_RSRC2:USER_SGPR: 6
; COMPUTE_PGM_RSRC2:TRAP_HANDLER: 0
; COMPUTE_PGM_RSRC2:TGID_X_EN: 1
; COMPUTE_PGM_RSRC2:TGID_Y_EN: 0
; COMPUTE_PGM_RSRC2:TGID_Z_EN: 0
; COMPUTE_PGM_RSRC2:TIDIG_COMP_CNT: 0
; COMPUTE_PGM_RSRC3_GFX90A:ACCUM_OFFSET: 0
; COMPUTE_PGM_RSRC3_GFX90A:TG_SPLIT: 0
	.section	.text._ZN7rocprim17ROCPRIM_400000_NS6detail17trampoline_kernelINS0_14default_configENS1_25transform_config_selectorIN6thrust23THRUST_200600_302600_NS5tupleIffNS6_9null_typeES8_S8_S8_S8_S8_S8_S8_EELb0EEEZNS1_14transform_implILb0ES3_SA_NS6_6detail15normal_iteratorINS6_10device_ptrIS9_EEEEPS9_NS0_8identityIS9_EEEE10hipError_tT2_T3_mT4_P12ihipStream_tbEUlT_E_NS1_11comp_targetILNS1_3genE4ELNS1_11target_archE910ELNS1_3gpuE8ELNS1_3repE0EEENS1_30default_config_static_selectorELNS0_4arch9wavefront6targetE1EEEvT1_,"axG",@progbits,_ZN7rocprim17ROCPRIM_400000_NS6detail17trampoline_kernelINS0_14default_configENS1_25transform_config_selectorIN6thrust23THRUST_200600_302600_NS5tupleIffNS6_9null_typeES8_S8_S8_S8_S8_S8_S8_EELb0EEEZNS1_14transform_implILb0ES3_SA_NS6_6detail15normal_iteratorINS6_10device_ptrIS9_EEEEPS9_NS0_8identityIS9_EEEE10hipError_tT2_T3_mT4_P12ihipStream_tbEUlT_E_NS1_11comp_targetILNS1_3genE4ELNS1_11target_archE910ELNS1_3gpuE8ELNS1_3repE0EEENS1_30default_config_static_selectorELNS0_4arch9wavefront6targetE1EEEvT1_,comdat
	.protected	_ZN7rocprim17ROCPRIM_400000_NS6detail17trampoline_kernelINS0_14default_configENS1_25transform_config_selectorIN6thrust23THRUST_200600_302600_NS5tupleIffNS6_9null_typeES8_S8_S8_S8_S8_S8_S8_EELb0EEEZNS1_14transform_implILb0ES3_SA_NS6_6detail15normal_iteratorINS6_10device_ptrIS9_EEEEPS9_NS0_8identityIS9_EEEE10hipError_tT2_T3_mT4_P12ihipStream_tbEUlT_E_NS1_11comp_targetILNS1_3genE4ELNS1_11target_archE910ELNS1_3gpuE8ELNS1_3repE0EEENS1_30default_config_static_selectorELNS0_4arch9wavefront6targetE1EEEvT1_ ; -- Begin function _ZN7rocprim17ROCPRIM_400000_NS6detail17trampoline_kernelINS0_14default_configENS1_25transform_config_selectorIN6thrust23THRUST_200600_302600_NS5tupleIffNS6_9null_typeES8_S8_S8_S8_S8_S8_S8_EELb0EEEZNS1_14transform_implILb0ES3_SA_NS6_6detail15normal_iteratorINS6_10device_ptrIS9_EEEEPS9_NS0_8identityIS9_EEEE10hipError_tT2_T3_mT4_P12ihipStream_tbEUlT_E_NS1_11comp_targetILNS1_3genE4ELNS1_11target_archE910ELNS1_3gpuE8ELNS1_3repE0EEENS1_30default_config_static_selectorELNS0_4arch9wavefront6targetE1EEEvT1_
	.globl	_ZN7rocprim17ROCPRIM_400000_NS6detail17trampoline_kernelINS0_14default_configENS1_25transform_config_selectorIN6thrust23THRUST_200600_302600_NS5tupleIffNS6_9null_typeES8_S8_S8_S8_S8_S8_S8_EELb0EEEZNS1_14transform_implILb0ES3_SA_NS6_6detail15normal_iteratorINS6_10device_ptrIS9_EEEEPS9_NS0_8identityIS9_EEEE10hipError_tT2_T3_mT4_P12ihipStream_tbEUlT_E_NS1_11comp_targetILNS1_3genE4ELNS1_11target_archE910ELNS1_3gpuE8ELNS1_3repE0EEENS1_30default_config_static_selectorELNS0_4arch9wavefront6targetE1EEEvT1_
	.p2align	8
	.type	_ZN7rocprim17ROCPRIM_400000_NS6detail17trampoline_kernelINS0_14default_configENS1_25transform_config_selectorIN6thrust23THRUST_200600_302600_NS5tupleIffNS6_9null_typeES8_S8_S8_S8_S8_S8_S8_EELb0EEEZNS1_14transform_implILb0ES3_SA_NS6_6detail15normal_iteratorINS6_10device_ptrIS9_EEEEPS9_NS0_8identityIS9_EEEE10hipError_tT2_T3_mT4_P12ihipStream_tbEUlT_E_NS1_11comp_targetILNS1_3genE4ELNS1_11target_archE910ELNS1_3gpuE8ELNS1_3repE0EEENS1_30default_config_static_selectorELNS0_4arch9wavefront6targetE1EEEvT1_,@function
_ZN7rocprim17ROCPRIM_400000_NS6detail17trampoline_kernelINS0_14default_configENS1_25transform_config_selectorIN6thrust23THRUST_200600_302600_NS5tupleIffNS6_9null_typeES8_S8_S8_S8_S8_S8_S8_EELb0EEEZNS1_14transform_implILb0ES3_SA_NS6_6detail15normal_iteratorINS6_10device_ptrIS9_EEEEPS9_NS0_8identityIS9_EEEE10hipError_tT2_T3_mT4_P12ihipStream_tbEUlT_E_NS1_11comp_targetILNS1_3genE4ELNS1_11target_archE910ELNS1_3gpuE8ELNS1_3repE0EEENS1_30default_config_static_selectorELNS0_4arch9wavefront6targetE1EEEvT1_: ; @_ZN7rocprim17ROCPRIM_400000_NS6detail17trampoline_kernelINS0_14default_configENS1_25transform_config_selectorIN6thrust23THRUST_200600_302600_NS5tupleIffNS6_9null_typeES8_S8_S8_S8_S8_S8_S8_EELb0EEEZNS1_14transform_implILb0ES3_SA_NS6_6detail15normal_iteratorINS6_10device_ptrIS9_EEEEPS9_NS0_8identityIS9_EEEE10hipError_tT2_T3_mT4_P12ihipStream_tbEUlT_E_NS1_11comp_targetILNS1_3genE4ELNS1_11target_archE910ELNS1_3gpuE8ELNS1_3repE0EEENS1_30default_config_static_selectorELNS0_4arch9wavefront6targetE1EEEvT1_
; %bb.0:
	s_load_dwordx8 s[8:15], s[4:5], 0x0
	s_load_dword s2, s[4:5], 0x28
	v_lshlrev_b32_e32 v6, 3, v0
	s_waitcnt lgkmcnt(0)
	s_lshl_b64 s[0:1], s[10:11], 3
	s_add_u32 s3, s8, s0
	s_addc_u32 s7, s9, s1
	s_add_u32 s8, s14, s0
	s_addc_u32 s9, s15, s1
	s_lshl_b32 s0, s6, 9
	s_mov_b32 s1, 0
	s_add_i32 s2, s2, -1
	s_lshl_b64 s[4:5], s[0:1], 3
	s_add_u32 s10, s3, s4
	s_addc_u32 s11, s7, s5
	s_cmp_lg_u32 s6, s2
	s_mov_b64 s[2:3], -1
	s_cbranch_scc0 .LBB168_2
; %bb.1:
	v_mov_b32_e32 v1, s11
	v_add_co_u32_e32 v2, vcc, s10, v6
	v_addc_co_u32_e32 v3, vcc, 0, v1, vcc
	flat_load_dwordx2 v[4:5], v[2:3]
	flat_load_dwordx2 v[8:9], v[2:3] offset:2048
	s_add_u32 s2, s8, s4
	s_addc_u32 s3, s9, s5
	s_waitcnt vmcnt(0) lgkmcnt(0)
	global_store_dwordx2 v6, v[4:5], s[2:3]
	global_store_dwordx2 v6, v[8:9], s[2:3] offset:2048
	s_mov_b64 s[2:3], 0
.LBB168_2:
	s_andn2_b64 vcc, exec, s[2:3]
	s_cbranch_vccnz .LBB168_13
; %bb.3:
	s_sub_i32 s6, s12, s0
	v_cmp_gt_u32_e32 vcc, s6, v0
	v_mov_b32_e32 v2, 0
	v_mov_b32_e32 v3, 0
	s_and_saveexec_b64 s[2:3], vcc
	s_cbranch_execz .LBB168_5
; %bb.4:
	v_mov_b32_e32 v1, s11
	v_add_co_u32_e64 v2, s[0:1], s10, v6
	v_addc_co_u32_e64 v3, s[0:1], 0, v1, s[0:1]
	flat_load_dwordx2 v[2:3], v[2:3]
.LBB168_5:
	s_or_b64 exec, exec, s[2:3]
	v_or_b32_e32 v1, 0x100, v0
	v_cmp_gt_u32_e64 s[0:1], s6, v1
	v_cmp_le_u32_e64 s[2:3], s6, v1
                                        ; implicit-def: $sgpr12
	s_and_saveexec_b64 s[6:7], s[2:3]
	s_xor_b64 s[2:3], exec, s[6:7]
; %bb.6:
	v_mov_b32_e32 v1, 0
	s_mov_b32 s12, 0
                                        ; implicit-def: $vgpr6
; %bb.7:
	s_or_saveexec_b64 s[6:7], s[2:3]
	v_mov_b32_e32 v4, s12
	v_mov_b32_e32 v5, s12
	s_xor_b64 exec, exec, s[6:7]
	s_cbranch_execz .LBB168_9
; %bb.8:
	v_mov_b32_e32 v1, s11
	v_add_co_u32_e64 v4, s[2:3], s10, v6
	v_addc_co_u32_e64 v5, s[2:3], 0, v1, s[2:3]
	flat_load_dwordx2 v[4:5], v[4:5] offset:2048
	v_mov_b32_e32 v1, 0
.LBB168_9:
	s_or_b64 exec, exec, s[6:7]
	s_add_u32 s2, s8, s4
	s_addc_u32 s3, s9, s5
	v_lshlrev_b64 v[0:1], 3, v[0:1]
	v_mov_b32_e32 v6, s3
	v_add_co_u32_e64 v0, s[2:3], s2, v0
	v_addc_co_u32_e64 v1, s[2:3], v6, v1, s[2:3]
	s_and_saveexec_b64 s[2:3], vcc
	s_cbranch_execz .LBB168_11
; %bb.10:
	s_waitcnt vmcnt(0) lgkmcnt(0)
	global_store_dwordx2 v[0:1], v[2:3], off
.LBB168_11:
	s_or_b64 exec, exec, s[2:3]
	s_and_saveexec_b64 s[2:3], s[0:1]
	s_cbranch_execz .LBB168_13
; %bb.12:
	s_waitcnt vmcnt(0) lgkmcnt(0)
	global_store_dwordx2 v[0:1], v[4:5], off offset:2048
.LBB168_13:
	s_endpgm
	.section	.rodata,"a",@progbits
	.p2align	6, 0x0
	.amdhsa_kernel _ZN7rocprim17ROCPRIM_400000_NS6detail17trampoline_kernelINS0_14default_configENS1_25transform_config_selectorIN6thrust23THRUST_200600_302600_NS5tupleIffNS6_9null_typeES8_S8_S8_S8_S8_S8_S8_EELb0EEEZNS1_14transform_implILb0ES3_SA_NS6_6detail15normal_iteratorINS6_10device_ptrIS9_EEEEPS9_NS0_8identityIS9_EEEE10hipError_tT2_T3_mT4_P12ihipStream_tbEUlT_E_NS1_11comp_targetILNS1_3genE4ELNS1_11target_archE910ELNS1_3gpuE8ELNS1_3repE0EEENS1_30default_config_static_selectorELNS0_4arch9wavefront6targetE1EEEvT1_
		.amdhsa_group_segment_fixed_size 0
		.amdhsa_private_segment_fixed_size 0
		.amdhsa_kernarg_size 296
		.amdhsa_user_sgpr_count 6
		.amdhsa_user_sgpr_private_segment_buffer 1
		.amdhsa_user_sgpr_dispatch_ptr 0
		.amdhsa_user_sgpr_queue_ptr 0
		.amdhsa_user_sgpr_kernarg_segment_ptr 1
		.amdhsa_user_sgpr_dispatch_id 0
		.amdhsa_user_sgpr_flat_scratch_init 0
		.amdhsa_user_sgpr_kernarg_preload_length 0
		.amdhsa_user_sgpr_kernarg_preload_offset 0
		.amdhsa_user_sgpr_private_segment_size 0
		.amdhsa_uses_dynamic_stack 0
		.amdhsa_system_sgpr_private_segment_wavefront_offset 0
		.amdhsa_system_sgpr_workgroup_id_x 1
		.amdhsa_system_sgpr_workgroup_id_y 0
		.amdhsa_system_sgpr_workgroup_id_z 0
		.amdhsa_system_sgpr_workgroup_info 0
		.amdhsa_system_vgpr_workitem_id 0
		.amdhsa_next_free_vgpr 10
		.amdhsa_next_free_sgpr 16
		.amdhsa_accum_offset 12
		.amdhsa_reserve_vcc 1
		.amdhsa_reserve_flat_scratch 0
		.amdhsa_float_round_mode_32 0
		.amdhsa_float_round_mode_16_64 0
		.amdhsa_float_denorm_mode_32 3
		.amdhsa_float_denorm_mode_16_64 3
		.amdhsa_dx10_clamp 1
		.amdhsa_ieee_mode 1
		.amdhsa_fp16_overflow 0
		.amdhsa_tg_split 0
		.amdhsa_exception_fp_ieee_invalid_op 0
		.amdhsa_exception_fp_denorm_src 0
		.amdhsa_exception_fp_ieee_div_zero 0
		.amdhsa_exception_fp_ieee_overflow 0
		.amdhsa_exception_fp_ieee_underflow 0
		.amdhsa_exception_fp_ieee_inexact 0
		.amdhsa_exception_int_div_zero 0
	.end_amdhsa_kernel
	.section	.text._ZN7rocprim17ROCPRIM_400000_NS6detail17trampoline_kernelINS0_14default_configENS1_25transform_config_selectorIN6thrust23THRUST_200600_302600_NS5tupleIffNS6_9null_typeES8_S8_S8_S8_S8_S8_S8_EELb0EEEZNS1_14transform_implILb0ES3_SA_NS6_6detail15normal_iteratorINS6_10device_ptrIS9_EEEEPS9_NS0_8identityIS9_EEEE10hipError_tT2_T3_mT4_P12ihipStream_tbEUlT_E_NS1_11comp_targetILNS1_3genE4ELNS1_11target_archE910ELNS1_3gpuE8ELNS1_3repE0EEENS1_30default_config_static_selectorELNS0_4arch9wavefront6targetE1EEEvT1_,"axG",@progbits,_ZN7rocprim17ROCPRIM_400000_NS6detail17trampoline_kernelINS0_14default_configENS1_25transform_config_selectorIN6thrust23THRUST_200600_302600_NS5tupleIffNS6_9null_typeES8_S8_S8_S8_S8_S8_S8_EELb0EEEZNS1_14transform_implILb0ES3_SA_NS6_6detail15normal_iteratorINS6_10device_ptrIS9_EEEEPS9_NS0_8identityIS9_EEEE10hipError_tT2_T3_mT4_P12ihipStream_tbEUlT_E_NS1_11comp_targetILNS1_3genE4ELNS1_11target_archE910ELNS1_3gpuE8ELNS1_3repE0EEENS1_30default_config_static_selectorELNS0_4arch9wavefront6targetE1EEEvT1_,comdat
.Lfunc_end168:
	.size	_ZN7rocprim17ROCPRIM_400000_NS6detail17trampoline_kernelINS0_14default_configENS1_25transform_config_selectorIN6thrust23THRUST_200600_302600_NS5tupleIffNS6_9null_typeES8_S8_S8_S8_S8_S8_S8_EELb0EEEZNS1_14transform_implILb0ES3_SA_NS6_6detail15normal_iteratorINS6_10device_ptrIS9_EEEEPS9_NS0_8identityIS9_EEEE10hipError_tT2_T3_mT4_P12ihipStream_tbEUlT_E_NS1_11comp_targetILNS1_3genE4ELNS1_11target_archE910ELNS1_3gpuE8ELNS1_3repE0EEENS1_30default_config_static_selectorELNS0_4arch9wavefront6targetE1EEEvT1_, .Lfunc_end168-_ZN7rocprim17ROCPRIM_400000_NS6detail17trampoline_kernelINS0_14default_configENS1_25transform_config_selectorIN6thrust23THRUST_200600_302600_NS5tupleIffNS6_9null_typeES8_S8_S8_S8_S8_S8_S8_EELb0EEEZNS1_14transform_implILb0ES3_SA_NS6_6detail15normal_iteratorINS6_10device_ptrIS9_EEEEPS9_NS0_8identityIS9_EEEE10hipError_tT2_T3_mT4_P12ihipStream_tbEUlT_E_NS1_11comp_targetILNS1_3genE4ELNS1_11target_archE910ELNS1_3gpuE8ELNS1_3repE0EEENS1_30default_config_static_selectorELNS0_4arch9wavefront6targetE1EEEvT1_
                                        ; -- End function
	.section	.AMDGPU.csdata,"",@progbits
; Kernel info:
; codeLenInByte = 384
; NumSgprs: 20
; NumVgprs: 10
; NumAgprs: 0
; TotalNumVgprs: 10
; ScratchSize: 0
; MemoryBound: 0
; FloatMode: 240
; IeeeMode: 1
; LDSByteSize: 0 bytes/workgroup (compile time only)
; SGPRBlocks: 2
; VGPRBlocks: 1
; NumSGPRsForWavesPerEU: 20
; NumVGPRsForWavesPerEU: 10
; AccumOffset: 12
; Occupancy: 8
; WaveLimiterHint : 1
; COMPUTE_PGM_RSRC2:SCRATCH_EN: 0
; COMPUTE_PGM_RSRC2:USER_SGPR: 6
; COMPUTE_PGM_RSRC2:TRAP_HANDLER: 0
; COMPUTE_PGM_RSRC2:TGID_X_EN: 1
; COMPUTE_PGM_RSRC2:TGID_Y_EN: 0
; COMPUTE_PGM_RSRC2:TGID_Z_EN: 0
; COMPUTE_PGM_RSRC2:TIDIG_COMP_CNT: 0
; COMPUTE_PGM_RSRC3_GFX90A:ACCUM_OFFSET: 2
; COMPUTE_PGM_RSRC3_GFX90A:TG_SPLIT: 0
	.section	.text._ZN7rocprim17ROCPRIM_400000_NS6detail17trampoline_kernelINS0_14default_configENS1_25transform_config_selectorIN6thrust23THRUST_200600_302600_NS5tupleIffNS6_9null_typeES8_S8_S8_S8_S8_S8_S8_EELb0EEEZNS1_14transform_implILb0ES3_SA_NS6_6detail15normal_iteratorINS6_10device_ptrIS9_EEEEPS9_NS0_8identityIS9_EEEE10hipError_tT2_T3_mT4_P12ihipStream_tbEUlT_E_NS1_11comp_targetILNS1_3genE3ELNS1_11target_archE908ELNS1_3gpuE7ELNS1_3repE0EEENS1_30default_config_static_selectorELNS0_4arch9wavefront6targetE1EEEvT1_,"axG",@progbits,_ZN7rocprim17ROCPRIM_400000_NS6detail17trampoline_kernelINS0_14default_configENS1_25transform_config_selectorIN6thrust23THRUST_200600_302600_NS5tupleIffNS6_9null_typeES8_S8_S8_S8_S8_S8_S8_EELb0EEEZNS1_14transform_implILb0ES3_SA_NS6_6detail15normal_iteratorINS6_10device_ptrIS9_EEEEPS9_NS0_8identityIS9_EEEE10hipError_tT2_T3_mT4_P12ihipStream_tbEUlT_E_NS1_11comp_targetILNS1_3genE3ELNS1_11target_archE908ELNS1_3gpuE7ELNS1_3repE0EEENS1_30default_config_static_selectorELNS0_4arch9wavefront6targetE1EEEvT1_,comdat
	.protected	_ZN7rocprim17ROCPRIM_400000_NS6detail17trampoline_kernelINS0_14default_configENS1_25transform_config_selectorIN6thrust23THRUST_200600_302600_NS5tupleIffNS6_9null_typeES8_S8_S8_S8_S8_S8_S8_EELb0EEEZNS1_14transform_implILb0ES3_SA_NS6_6detail15normal_iteratorINS6_10device_ptrIS9_EEEEPS9_NS0_8identityIS9_EEEE10hipError_tT2_T3_mT4_P12ihipStream_tbEUlT_E_NS1_11comp_targetILNS1_3genE3ELNS1_11target_archE908ELNS1_3gpuE7ELNS1_3repE0EEENS1_30default_config_static_selectorELNS0_4arch9wavefront6targetE1EEEvT1_ ; -- Begin function _ZN7rocprim17ROCPRIM_400000_NS6detail17trampoline_kernelINS0_14default_configENS1_25transform_config_selectorIN6thrust23THRUST_200600_302600_NS5tupleIffNS6_9null_typeES8_S8_S8_S8_S8_S8_S8_EELb0EEEZNS1_14transform_implILb0ES3_SA_NS6_6detail15normal_iteratorINS6_10device_ptrIS9_EEEEPS9_NS0_8identityIS9_EEEE10hipError_tT2_T3_mT4_P12ihipStream_tbEUlT_E_NS1_11comp_targetILNS1_3genE3ELNS1_11target_archE908ELNS1_3gpuE7ELNS1_3repE0EEENS1_30default_config_static_selectorELNS0_4arch9wavefront6targetE1EEEvT1_
	.globl	_ZN7rocprim17ROCPRIM_400000_NS6detail17trampoline_kernelINS0_14default_configENS1_25transform_config_selectorIN6thrust23THRUST_200600_302600_NS5tupleIffNS6_9null_typeES8_S8_S8_S8_S8_S8_S8_EELb0EEEZNS1_14transform_implILb0ES3_SA_NS6_6detail15normal_iteratorINS6_10device_ptrIS9_EEEEPS9_NS0_8identityIS9_EEEE10hipError_tT2_T3_mT4_P12ihipStream_tbEUlT_E_NS1_11comp_targetILNS1_3genE3ELNS1_11target_archE908ELNS1_3gpuE7ELNS1_3repE0EEENS1_30default_config_static_selectorELNS0_4arch9wavefront6targetE1EEEvT1_
	.p2align	8
	.type	_ZN7rocprim17ROCPRIM_400000_NS6detail17trampoline_kernelINS0_14default_configENS1_25transform_config_selectorIN6thrust23THRUST_200600_302600_NS5tupleIffNS6_9null_typeES8_S8_S8_S8_S8_S8_S8_EELb0EEEZNS1_14transform_implILb0ES3_SA_NS6_6detail15normal_iteratorINS6_10device_ptrIS9_EEEEPS9_NS0_8identityIS9_EEEE10hipError_tT2_T3_mT4_P12ihipStream_tbEUlT_E_NS1_11comp_targetILNS1_3genE3ELNS1_11target_archE908ELNS1_3gpuE7ELNS1_3repE0EEENS1_30default_config_static_selectorELNS0_4arch9wavefront6targetE1EEEvT1_,@function
_ZN7rocprim17ROCPRIM_400000_NS6detail17trampoline_kernelINS0_14default_configENS1_25transform_config_selectorIN6thrust23THRUST_200600_302600_NS5tupleIffNS6_9null_typeES8_S8_S8_S8_S8_S8_S8_EELb0EEEZNS1_14transform_implILb0ES3_SA_NS6_6detail15normal_iteratorINS6_10device_ptrIS9_EEEEPS9_NS0_8identityIS9_EEEE10hipError_tT2_T3_mT4_P12ihipStream_tbEUlT_E_NS1_11comp_targetILNS1_3genE3ELNS1_11target_archE908ELNS1_3gpuE7ELNS1_3repE0EEENS1_30default_config_static_selectorELNS0_4arch9wavefront6targetE1EEEvT1_: ; @_ZN7rocprim17ROCPRIM_400000_NS6detail17trampoline_kernelINS0_14default_configENS1_25transform_config_selectorIN6thrust23THRUST_200600_302600_NS5tupleIffNS6_9null_typeES8_S8_S8_S8_S8_S8_S8_EELb0EEEZNS1_14transform_implILb0ES3_SA_NS6_6detail15normal_iteratorINS6_10device_ptrIS9_EEEEPS9_NS0_8identityIS9_EEEE10hipError_tT2_T3_mT4_P12ihipStream_tbEUlT_E_NS1_11comp_targetILNS1_3genE3ELNS1_11target_archE908ELNS1_3gpuE7ELNS1_3repE0EEENS1_30default_config_static_selectorELNS0_4arch9wavefront6targetE1EEEvT1_
; %bb.0:
	.section	.rodata,"a",@progbits
	.p2align	6, 0x0
	.amdhsa_kernel _ZN7rocprim17ROCPRIM_400000_NS6detail17trampoline_kernelINS0_14default_configENS1_25transform_config_selectorIN6thrust23THRUST_200600_302600_NS5tupleIffNS6_9null_typeES8_S8_S8_S8_S8_S8_S8_EELb0EEEZNS1_14transform_implILb0ES3_SA_NS6_6detail15normal_iteratorINS6_10device_ptrIS9_EEEEPS9_NS0_8identityIS9_EEEE10hipError_tT2_T3_mT4_P12ihipStream_tbEUlT_E_NS1_11comp_targetILNS1_3genE3ELNS1_11target_archE908ELNS1_3gpuE7ELNS1_3repE0EEENS1_30default_config_static_selectorELNS0_4arch9wavefront6targetE1EEEvT1_
		.amdhsa_group_segment_fixed_size 0
		.amdhsa_private_segment_fixed_size 0
		.amdhsa_kernarg_size 40
		.amdhsa_user_sgpr_count 6
		.amdhsa_user_sgpr_private_segment_buffer 1
		.amdhsa_user_sgpr_dispatch_ptr 0
		.amdhsa_user_sgpr_queue_ptr 0
		.amdhsa_user_sgpr_kernarg_segment_ptr 1
		.amdhsa_user_sgpr_dispatch_id 0
		.amdhsa_user_sgpr_flat_scratch_init 0
		.amdhsa_user_sgpr_kernarg_preload_length 0
		.amdhsa_user_sgpr_kernarg_preload_offset 0
		.amdhsa_user_sgpr_private_segment_size 0
		.amdhsa_uses_dynamic_stack 0
		.amdhsa_system_sgpr_private_segment_wavefront_offset 0
		.amdhsa_system_sgpr_workgroup_id_x 1
		.amdhsa_system_sgpr_workgroup_id_y 0
		.amdhsa_system_sgpr_workgroup_id_z 0
		.amdhsa_system_sgpr_workgroup_info 0
		.amdhsa_system_vgpr_workitem_id 0
		.amdhsa_next_free_vgpr 1
		.amdhsa_next_free_sgpr 0
		.amdhsa_accum_offset 4
		.amdhsa_reserve_vcc 0
		.amdhsa_reserve_flat_scratch 0
		.amdhsa_float_round_mode_32 0
		.amdhsa_float_round_mode_16_64 0
		.amdhsa_float_denorm_mode_32 3
		.amdhsa_float_denorm_mode_16_64 3
		.amdhsa_dx10_clamp 1
		.amdhsa_ieee_mode 1
		.amdhsa_fp16_overflow 0
		.amdhsa_tg_split 0
		.amdhsa_exception_fp_ieee_invalid_op 0
		.amdhsa_exception_fp_denorm_src 0
		.amdhsa_exception_fp_ieee_div_zero 0
		.amdhsa_exception_fp_ieee_overflow 0
		.amdhsa_exception_fp_ieee_underflow 0
		.amdhsa_exception_fp_ieee_inexact 0
		.amdhsa_exception_int_div_zero 0
	.end_amdhsa_kernel
	.section	.text._ZN7rocprim17ROCPRIM_400000_NS6detail17trampoline_kernelINS0_14default_configENS1_25transform_config_selectorIN6thrust23THRUST_200600_302600_NS5tupleIffNS6_9null_typeES8_S8_S8_S8_S8_S8_S8_EELb0EEEZNS1_14transform_implILb0ES3_SA_NS6_6detail15normal_iteratorINS6_10device_ptrIS9_EEEEPS9_NS0_8identityIS9_EEEE10hipError_tT2_T3_mT4_P12ihipStream_tbEUlT_E_NS1_11comp_targetILNS1_3genE3ELNS1_11target_archE908ELNS1_3gpuE7ELNS1_3repE0EEENS1_30default_config_static_selectorELNS0_4arch9wavefront6targetE1EEEvT1_,"axG",@progbits,_ZN7rocprim17ROCPRIM_400000_NS6detail17trampoline_kernelINS0_14default_configENS1_25transform_config_selectorIN6thrust23THRUST_200600_302600_NS5tupleIffNS6_9null_typeES8_S8_S8_S8_S8_S8_S8_EELb0EEEZNS1_14transform_implILb0ES3_SA_NS6_6detail15normal_iteratorINS6_10device_ptrIS9_EEEEPS9_NS0_8identityIS9_EEEE10hipError_tT2_T3_mT4_P12ihipStream_tbEUlT_E_NS1_11comp_targetILNS1_3genE3ELNS1_11target_archE908ELNS1_3gpuE7ELNS1_3repE0EEENS1_30default_config_static_selectorELNS0_4arch9wavefront6targetE1EEEvT1_,comdat
.Lfunc_end169:
	.size	_ZN7rocprim17ROCPRIM_400000_NS6detail17trampoline_kernelINS0_14default_configENS1_25transform_config_selectorIN6thrust23THRUST_200600_302600_NS5tupleIffNS6_9null_typeES8_S8_S8_S8_S8_S8_S8_EELb0EEEZNS1_14transform_implILb0ES3_SA_NS6_6detail15normal_iteratorINS6_10device_ptrIS9_EEEEPS9_NS0_8identityIS9_EEEE10hipError_tT2_T3_mT4_P12ihipStream_tbEUlT_E_NS1_11comp_targetILNS1_3genE3ELNS1_11target_archE908ELNS1_3gpuE7ELNS1_3repE0EEENS1_30default_config_static_selectorELNS0_4arch9wavefront6targetE1EEEvT1_, .Lfunc_end169-_ZN7rocprim17ROCPRIM_400000_NS6detail17trampoline_kernelINS0_14default_configENS1_25transform_config_selectorIN6thrust23THRUST_200600_302600_NS5tupleIffNS6_9null_typeES8_S8_S8_S8_S8_S8_S8_EELb0EEEZNS1_14transform_implILb0ES3_SA_NS6_6detail15normal_iteratorINS6_10device_ptrIS9_EEEEPS9_NS0_8identityIS9_EEEE10hipError_tT2_T3_mT4_P12ihipStream_tbEUlT_E_NS1_11comp_targetILNS1_3genE3ELNS1_11target_archE908ELNS1_3gpuE7ELNS1_3repE0EEENS1_30default_config_static_selectorELNS0_4arch9wavefront6targetE1EEEvT1_
                                        ; -- End function
	.section	.AMDGPU.csdata,"",@progbits
; Kernel info:
; codeLenInByte = 0
; NumSgprs: 4
; NumVgprs: 0
; NumAgprs: 0
; TotalNumVgprs: 0
; ScratchSize: 0
; MemoryBound: 0
; FloatMode: 240
; IeeeMode: 1
; LDSByteSize: 0 bytes/workgroup (compile time only)
; SGPRBlocks: 0
; VGPRBlocks: 0
; NumSGPRsForWavesPerEU: 4
; NumVGPRsForWavesPerEU: 1
; AccumOffset: 4
; Occupancy: 8
; WaveLimiterHint : 0
; COMPUTE_PGM_RSRC2:SCRATCH_EN: 0
; COMPUTE_PGM_RSRC2:USER_SGPR: 6
; COMPUTE_PGM_RSRC2:TRAP_HANDLER: 0
; COMPUTE_PGM_RSRC2:TGID_X_EN: 1
; COMPUTE_PGM_RSRC2:TGID_Y_EN: 0
; COMPUTE_PGM_RSRC2:TGID_Z_EN: 0
; COMPUTE_PGM_RSRC2:TIDIG_COMP_CNT: 0
; COMPUTE_PGM_RSRC3_GFX90A:ACCUM_OFFSET: 0
; COMPUTE_PGM_RSRC3_GFX90A:TG_SPLIT: 0
	.section	.text._ZN7rocprim17ROCPRIM_400000_NS6detail17trampoline_kernelINS0_14default_configENS1_25transform_config_selectorIN6thrust23THRUST_200600_302600_NS5tupleIffNS6_9null_typeES8_S8_S8_S8_S8_S8_S8_EELb0EEEZNS1_14transform_implILb0ES3_SA_NS6_6detail15normal_iteratorINS6_10device_ptrIS9_EEEEPS9_NS0_8identityIS9_EEEE10hipError_tT2_T3_mT4_P12ihipStream_tbEUlT_E_NS1_11comp_targetILNS1_3genE2ELNS1_11target_archE906ELNS1_3gpuE6ELNS1_3repE0EEENS1_30default_config_static_selectorELNS0_4arch9wavefront6targetE1EEEvT1_,"axG",@progbits,_ZN7rocprim17ROCPRIM_400000_NS6detail17trampoline_kernelINS0_14default_configENS1_25transform_config_selectorIN6thrust23THRUST_200600_302600_NS5tupleIffNS6_9null_typeES8_S8_S8_S8_S8_S8_S8_EELb0EEEZNS1_14transform_implILb0ES3_SA_NS6_6detail15normal_iteratorINS6_10device_ptrIS9_EEEEPS9_NS0_8identityIS9_EEEE10hipError_tT2_T3_mT4_P12ihipStream_tbEUlT_E_NS1_11comp_targetILNS1_3genE2ELNS1_11target_archE906ELNS1_3gpuE6ELNS1_3repE0EEENS1_30default_config_static_selectorELNS0_4arch9wavefront6targetE1EEEvT1_,comdat
	.protected	_ZN7rocprim17ROCPRIM_400000_NS6detail17trampoline_kernelINS0_14default_configENS1_25transform_config_selectorIN6thrust23THRUST_200600_302600_NS5tupleIffNS6_9null_typeES8_S8_S8_S8_S8_S8_S8_EELb0EEEZNS1_14transform_implILb0ES3_SA_NS6_6detail15normal_iteratorINS6_10device_ptrIS9_EEEEPS9_NS0_8identityIS9_EEEE10hipError_tT2_T3_mT4_P12ihipStream_tbEUlT_E_NS1_11comp_targetILNS1_3genE2ELNS1_11target_archE906ELNS1_3gpuE6ELNS1_3repE0EEENS1_30default_config_static_selectorELNS0_4arch9wavefront6targetE1EEEvT1_ ; -- Begin function _ZN7rocprim17ROCPRIM_400000_NS6detail17trampoline_kernelINS0_14default_configENS1_25transform_config_selectorIN6thrust23THRUST_200600_302600_NS5tupleIffNS6_9null_typeES8_S8_S8_S8_S8_S8_S8_EELb0EEEZNS1_14transform_implILb0ES3_SA_NS6_6detail15normal_iteratorINS6_10device_ptrIS9_EEEEPS9_NS0_8identityIS9_EEEE10hipError_tT2_T3_mT4_P12ihipStream_tbEUlT_E_NS1_11comp_targetILNS1_3genE2ELNS1_11target_archE906ELNS1_3gpuE6ELNS1_3repE0EEENS1_30default_config_static_selectorELNS0_4arch9wavefront6targetE1EEEvT1_
	.globl	_ZN7rocprim17ROCPRIM_400000_NS6detail17trampoline_kernelINS0_14default_configENS1_25transform_config_selectorIN6thrust23THRUST_200600_302600_NS5tupleIffNS6_9null_typeES8_S8_S8_S8_S8_S8_S8_EELb0EEEZNS1_14transform_implILb0ES3_SA_NS6_6detail15normal_iteratorINS6_10device_ptrIS9_EEEEPS9_NS0_8identityIS9_EEEE10hipError_tT2_T3_mT4_P12ihipStream_tbEUlT_E_NS1_11comp_targetILNS1_3genE2ELNS1_11target_archE906ELNS1_3gpuE6ELNS1_3repE0EEENS1_30default_config_static_selectorELNS0_4arch9wavefront6targetE1EEEvT1_
	.p2align	8
	.type	_ZN7rocprim17ROCPRIM_400000_NS6detail17trampoline_kernelINS0_14default_configENS1_25transform_config_selectorIN6thrust23THRUST_200600_302600_NS5tupleIffNS6_9null_typeES8_S8_S8_S8_S8_S8_S8_EELb0EEEZNS1_14transform_implILb0ES3_SA_NS6_6detail15normal_iteratorINS6_10device_ptrIS9_EEEEPS9_NS0_8identityIS9_EEEE10hipError_tT2_T3_mT4_P12ihipStream_tbEUlT_E_NS1_11comp_targetILNS1_3genE2ELNS1_11target_archE906ELNS1_3gpuE6ELNS1_3repE0EEENS1_30default_config_static_selectorELNS0_4arch9wavefront6targetE1EEEvT1_,@function
_ZN7rocprim17ROCPRIM_400000_NS6detail17trampoline_kernelINS0_14default_configENS1_25transform_config_selectorIN6thrust23THRUST_200600_302600_NS5tupleIffNS6_9null_typeES8_S8_S8_S8_S8_S8_S8_EELb0EEEZNS1_14transform_implILb0ES3_SA_NS6_6detail15normal_iteratorINS6_10device_ptrIS9_EEEEPS9_NS0_8identityIS9_EEEE10hipError_tT2_T3_mT4_P12ihipStream_tbEUlT_E_NS1_11comp_targetILNS1_3genE2ELNS1_11target_archE906ELNS1_3gpuE6ELNS1_3repE0EEENS1_30default_config_static_selectorELNS0_4arch9wavefront6targetE1EEEvT1_: ; @_ZN7rocprim17ROCPRIM_400000_NS6detail17trampoline_kernelINS0_14default_configENS1_25transform_config_selectorIN6thrust23THRUST_200600_302600_NS5tupleIffNS6_9null_typeES8_S8_S8_S8_S8_S8_S8_EELb0EEEZNS1_14transform_implILb0ES3_SA_NS6_6detail15normal_iteratorINS6_10device_ptrIS9_EEEEPS9_NS0_8identityIS9_EEEE10hipError_tT2_T3_mT4_P12ihipStream_tbEUlT_E_NS1_11comp_targetILNS1_3genE2ELNS1_11target_archE906ELNS1_3gpuE6ELNS1_3repE0EEENS1_30default_config_static_selectorELNS0_4arch9wavefront6targetE1EEEvT1_
; %bb.0:
	.section	.rodata,"a",@progbits
	.p2align	6, 0x0
	.amdhsa_kernel _ZN7rocprim17ROCPRIM_400000_NS6detail17trampoline_kernelINS0_14default_configENS1_25transform_config_selectorIN6thrust23THRUST_200600_302600_NS5tupleIffNS6_9null_typeES8_S8_S8_S8_S8_S8_S8_EELb0EEEZNS1_14transform_implILb0ES3_SA_NS6_6detail15normal_iteratorINS6_10device_ptrIS9_EEEEPS9_NS0_8identityIS9_EEEE10hipError_tT2_T3_mT4_P12ihipStream_tbEUlT_E_NS1_11comp_targetILNS1_3genE2ELNS1_11target_archE906ELNS1_3gpuE6ELNS1_3repE0EEENS1_30default_config_static_selectorELNS0_4arch9wavefront6targetE1EEEvT1_
		.amdhsa_group_segment_fixed_size 0
		.amdhsa_private_segment_fixed_size 0
		.amdhsa_kernarg_size 40
		.amdhsa_user_sgpr_count 6
		.amdhsa_user_sgpr_private_segment_buffer 1
		.amdhsa_user_sgpr_dispatch_ptr 0
		.amdhsa_user_sgpr_queue_ptr 0
		.amdhsa_user_sgpr_kernarg_segment_ptr 1
		.amdhsa_user_sgpr_dispatch_id 0
		.amdhsa_user_sgpr_flat_scratch_init 0
		.amdhsa_user_sgpr_kernarg_preload_length 0
		.amdhsa_user_sgpr_kernarg_preload_offset 0
		.amdhsa_user_sgpr_private_segment_size 0
		.amdhsa_uses_dynamic_stack 0
		.amdhsa_system_sgpr_private_segment_wavefront_offset 0
		.amdhsa_system_sgpr_workgroup_id_x 1
		.amdhsa_system_sgpr_workgroup_id_y 0
		.amdhsa_system_sgpr_workgroup_id_z 0
		.amdhsa_system_sgpr_workgroup_info 0
		.amdhsa_system_vgpr_workitem_id 0
		.amdhsa_next_free_vgpr 1
		.amdhsa_next_free_sgpr 0
		.amdhsa_accum_offset 4
		.amdhsa_reserve_vcc 0
		.amdhsa_reserve_flat_scratch 0
		.amdhsa_float_round_mode_32 0
		.amdhsa_float_round_mode_16_64 0
		.amdhsa_float_denorm_mode_32 3
		.amdhsa_float_denorm_mode_16_64 3
		.amdhsa_dx10_clamp 1
		.amdhsa_ieee_mode 1
		.amdhsa_fp16_overflow 0
		.amdhsa_tg_split 0
		.amdhsa_exception_fp_ieee_invalid_op 0
		.amdhsa_exception_fp_denorm_src 0
		.amdhsa_exception_fp_ieee_div_zero 0
		.amdhsa_exception_fp_ieee_overflow 0
		.amdhsa_exception_fp_ieee_underflow 0
		.amdhsa_exception_fp_ieee_inexact 0
		.amdhsa_exception_int_div_zero 0
	.end_amdhsa_kernel
	.section	.text._ZN7rocprim17ROCPRIM_400000_NS6detail17trampoline_kernelINS0_14default_configENS1_25transform_config_selectorIN6thrust23THRUST_200600_302600_NS5tupleIffNS6_9null_typeES8_S8_S8_S8_S8_S8_S8_EELb0EEEZNS1_14transform_implILb0ES3_SA_NS6_6detail15normal_iteratorINS6_10device_ptrIS9_EEEEPS9_NS0_8identityIS9_EEEE10hipError_tT2_T3_mT4_P12ihipStream_tbEUlT_E_NS1_11comp_targetILNS1_3genE2ELNS1_11target_archE906ELNS1_3gpuE6ELNS1_3repE0EEENS1_30default_config_static_selectorELNS0_4arch9wavefront6targetE1EEEvT1_,"axG",@progbits,_ZN7rocprim17ROCPRIM_400000_NS6detail17trampoline_kernelINS0_14default_configENS1_25transform_config_selectorIN6thrust23THRUST_200600_302600_NS5tupleIffNS6_9null_typeES8_S8_S8_S8_S8_S8_S8_EELb0EEEZNS1_14transform_implILb0ES3_SA_NS6_6detail15normal_iteratorINS6_10device_ptrIS9_EEEEPS9_NS0_8identityIS9_EEEE10hipError_tT2_T3_mT4_P12ihipStream_tbEUlT_E_NS1_11comp_targetILNS1_3genE2ELNS1_11target_archE906ELNS1_3gpuE6ELNS1_3repE0EEENS1_30default_config_static_selectorELNS0_4arch9wavefront6targetE1EEEvT1_,comdat
.Lfunc_end170:
	.size	_ZN7rocprim17ROCPRIM_400000_NS6detail17trampoline_kernelINS0_14default_configENS1_25transform_config_selectorIN6thrust23THRUST_200600_302600_NS5tupleIffNS6_9null_typeES8_S8_S8_S8_S8_S8_S8_EELb0EEEZNS1_14transform_implILb0ES3_SA_NS6_6detail15normal_iteratorINS6_10device_ptrIS9_EEEEPS9_NS0_8identityIS9_EEEE10hipError_tT2_T3_mT4_P12ihipStream_tbEUlT_E_NS1_11comp_targetILNS1_3genE2ELNS1_11target_archE906ELNS1_3gpuE6ELNS1_3repE0EEENS1_30default_config_static_selectorELNS0_4arch9wavefront6targetE1EEEvT1_, .Lfunc_end170-_ZN7rocprim17ROCPRIM_400000_NS6detail17trampoline_kernelINS0_14default_configENS1_25transform_config_selectorIN6thrust23THRUST_200600_302600_NS5tupleIffNS6_9null_typeES8_S8_S8_S8_S8_S8_S8_EELb0EEEZNS1_14transform_implILb0ES3_SA_NS6_6detail15normal_iteratorINS6_10device_ptrIS9_EEEEPS9_NS0_8identityIS9_EEEE10hipError_tT2_T3_mT4_P12ihipStream_tbEUlT_E_NS1_11comp_targetILNS1_3genE2ELNS1_11target_archE906ELNS1_3gpuE6ELNS1_3repE0EEENS1_30default_config_static_selectorELNS0_4arch9wavefront6targetE1EEEvT1_
                                        ; -- End function
	.section	.AMDGPU.csdata,"",@progbits
; Kernel info:
; codeLenInByte = 0
; NumSgprs: 4
; NumVgprs: 0
; NumAgprs: 0
; TotalNumVgprs: 0
; ScratchSize: 0
; MemoryBound: 0
; FloatMode: 240
; IeeeMode: 1
; LDSByteSize: 0 bytes/workgroup (compile time only)
; SGPRBlocks: 0
; VGPRBlocks: 0
; NumSGPRsForWavesPerEU: 4
; NumVGPRsForWavesPerEU: 1
; AccumOffset: 4
; Occupancy: 8
; WaveLimiterHint : 0
; COMPUTE_PGM_RSRC2:SCRATCH_EN: 0
; COMPUTE_PGM_RSRC2:USER_SGPR: 6
; COMPUTE_PGM_RSRC2:TRAP_HANDLER: 0
; COMPUTE_PGM_RSRC2:TGID_X_EN: 1
; COMPUTE_PGM_RSRC2:TGID_Y_EN: 0
; COMPUTE_PGM_RSRC2:TGID_Z_EN: 0
; COMPUTE_PGM_RSRC2:TIDIG_COMP_CNT: 0
; COMPUTE_PGM_RSRC3_GFX90A:ACCUM_OFFSET: 0
; COMPUTE_PGM_RSRC3_GFX90A:TG_SPLIT: 0
	.section	.text._ZN7rocprim17ROCPRIM_400000_NS6detail17trampoline_kernelINS0_14default_configENS1_25transform_config_selectorIN6thrust23THRUST_200600_302600_NS5tupleIffNS6_9null_typeES8_S8_S8_S8_S8_S8_S8_EELb0EEEZNS1_14transform_implILb0ES3_SA_NS6_6detail15normal_iteratorINS6_10device_ptrIS9_EEEEPS9_NS0_8identityIS9_EEEE10hipError_tT2_T3_mT4_P12ihipStream_tbEUlT_E_NS1_11comp_targetILNS1_3genE10ELNS1_11target_archE1201ELNS1_3gpuE5ELNS1_3repE0EEENS1_30default_config_static_selectorELNS0_4arch9wavefront6targetE1EEEvT1_,"axG",@progbits,_ZN7rocprim17ROCPRIM_400000_NS6detail17trampoline_kernelINS0_14default_configENS1_25transform_config_selectorIN6thrust23THRUST_200600_302600_NS5tupleIffNS6_9null_typeES8_S8_S8_S8_S8_S8_S8_EELb0EEEZNS1_14transform_implILb0ES3_SA_NS6_6detail15normal_iteratorINS6_10device_ptrIS9_EEEEPS9_NS0_8identityIS9_EEEE10hipError_tT2_T3_mT4_P12ihipStream_tbEUlT_E_NS1_11comp_targetILNS1_3genE10ELNS1_11target_archE1201ELNS1_3gpuE5ELNS1_3repE0EEENS1_30default_config_static_selectorELNS0_4arch9wavefront6targetE1EEEvT1_,comdat
	.protected	_ZN7rocprim17ROCPRIM_400000_NS6detail17trampoline_kernelINS0_14default_configENS1_25transform_config_selectorIN6thrust23THRUST_200600_302600_NS5tupleIffNS6_9null_typeES8_S8_S8_S8_S8_S8_S8_EELb0EEEZNS1_14transform_implILb0ES3_SA_NS6_6detail15normal_iteratorINS6_10device_ptrIS9_EEEEPS9_NS0_8identityIS9_EEEE10hipError_tT2_T3_mT4_P12ihipStream_tbEUlT_E_NS1_11comp_targetILNS1_3genE10ELNS1_11target_archE1201ELNS1_3gpuE5ELNS1_3repE0EEENS1_30default_config_static_selectorELNS0_4arch9wavefront6targetE1EEEvT1_ ; -- Begin function _ZN7rocprim17ROCPRIM_400000_NS6detail17trampoline_kernelINS0_14default_configENS1_25transform_config_selectorIN6thrust23THRUST_200600_302600_NS5tupleIffNS6_9null_typeES8_S8_S8_S8_S8_S8_S8_EELb0EEEZNS1_14transform_implILb0ES3_SA_NS6_6detail15normal_iteratorINS6_10device_ptrIS9_EEEEPS9_NS0_8identityIS9_EEEE10hipError_tT2_T3_mT4_P12ihipStream_tbEUlT_E_NS1_11comp_targetILNS1_3genE10ELNS1_11target_archE1201ELNS1_3gpuE5ELNS1_3repE0EEENS1_30default_config_static_selectorELNS0_4arch9wavefront6targetE1EEEvT1_
	.globl	_ZN7rocprim17ROCPRIM_400000_NS6detail17trampoline_kernelINS0_14default_configENS1_25transform_config_selectorIN6thrust23THRUST_200600_302600_NS5tupleIffNS6_9null_typeES8_S8_S8_S8_S8_S8_S8_EELb0EEEZNS1_14transform_implILb0ES3_SA_NS6_6detail15normal_iteratorINS6_10device_ptrIS9_EEEEPS9_NS0_8identityIS9_EEEE10hipError_tT2_T3_mT4_P12ihipStream_tbEUlT_E_NS1_11comp_targetILNS1_3genE10ELNS1_11target_archE1201ELNS1_3gpuE5ELNS1_3repE0EEENS1_30default_config_static_selectorELNS0_4arch9wavefront6targetE1EEEvT1_
	.p2align	8
	.type	_ZN7rocprim17ROCPRIM_400000_NS6detail17trampoline_kernelINS0_14default_configENS1_25transform_config_selectorIN6thrust23THRUST_200600_302600_NS5tupleIffNS6_9null_typeES8_S8_S8_S8_S8_S8_S8_EELb0EEEZNS1_14transform_implILb0ES3_SA_NS6_6detail15normal_iteratorINS6_10device_ptrIS9_EEEEPS9_NS0_8identityIS9_EEEE10hipError_tT2_T3_mT4_P12ihipStream_tbEUlT_E_NS1_11comp_targetILNS1_3genE10ELNS1_11target_archE1201ELNS1_3gpuE5ELNS1_3repE0EEENS1_30default_config_static_selectorELNS0_4arch9wavefront6targetE1EEEvT1_,@function
_ZN7rocprim17ROCPRIM_400000_NS6detail17trampoline_kernelINS0_14default_configENS1_25transform_config_selectorIN6thrust23THRUST_200600_302600_NS5tupleIffNS6_9null_typeES8_S8_S8_S8_S8_S8_S8_EELb0EEEZNS1_14transform_implILb0ES3_SA_NS6_6detail15normal_iteratorINS6_10device_ptrIS9_EEEEPS9_NS0_8identityIS9_EEEE10hipError_tT2_T3_mT4_P12ihipStream_tbEUlT_E_NS1_11comp_targetILNS1_3genE10ELNS1_11target_archE1201ELNS1_3gpuE5ELNS1_3repE0EEENS1_30default_config_static_selectorELNS0_4arch9wavefront6targetE1EEEvT1_: ; @_ZN7rocprim17ROCPRIM_400000_NS6detail17trampoline_kernelINS0_14default_configENS1_25transform_config_selectorIN6thrust23THRUST_200600_302600_NS5tupleIffNS6_9null_typeES8_S8_S8_S8_S8_S8_S8_EELb0EEEZNS1_14transform_implILb0ES3_SA_NS6_6detail15normal_iteratorINS6_10device_ptrIS9_EEEEPS9_NS0_8identityIS9_EEEE10hipError_tT2_T3_mT4_P12ihipStream_tbEUlT_E_NS1_11comp_targetILNS1_3genE10ELNS1_11target_archE1201ELNS1_3gpuE5ELNS1_3repE0EEENS1_30default_config_static_selectorELNS0_4arch9wavefront6targetE1EEEvT1_
; %bb.0:
	.section	.rodata,"a",@progbits
	.p2align	6, 0x0
	.amdhsa_kernel _ZN7rocprim17ROCPRIM_400000_NS6detail17trampoline_kernelINS0_14default_configENS1_25transform_config_selectorIN6thrust23THRUST_200600_302600_NS5tupleIffNS6_9null_typeES8_S8_S8_S8_S8_S8_S8_EELb0EEEZNS1_14transform_implILb0ES3_SA_NS6_6detail15normal_iteratorINS6_10device_ptrIS9_EEEEPS9_NS0_8identityIS9_EEEE10hipError_tT2_T3_mT4_P12ihipStream_tbEUlT_E_NS1_11comp_targetILNS1_3genE10ELNS1_11target_archE1201ELNS1_3gpuE5ELNS1_3repE0EEENS1_30default_config_static_selectorELNS0_4arch9wavefront6targetE1EEEvT1_
		.amdhsa_group_segment_fixed_size 0
		.amdhsa_private_segment_fixed_size 0
		.amdhsa_kernarg_size 40
		.amdhsa_user_sgpr_count 6
		.amdhsa_user_sgpr_private_segment_buffer 1
		.amdhsa_user_sgpr_dispatch_ptr 0
		.amdhsa_user_sgpr_queue_ptr 0
		.amdhsa_user_sgpr_kernarg_segment_ptr 1
		.amdhsa_user_sgpr_dispatch_id 0
		.amdhsa_user_sgpr_flat_scratch_init 0
		.amdhsa_user_sgpr_kernarg_preload_length 0
		.amdhsa_user_sgpr_kernarg_preload_offset 0
		.amdhsa_user_sgpr_private_segment_size 0
		.amdhsa_uses_dynamic_stack 0
		.amdhsa_system_sgpr_private_segment_wavefront_offset 0
		.amdhsa_system_sgpr_workgroup_id_x 1
		.amdhsa_system_sgpr_workgroup_id_y 0
		.amdhsa_system_sgpr_workgroup_id_z 0
		.amdhsa_system_sgpr_workgroup_info 0
		.amdhsa_system_vgpr_workitem_id 0
		.amdhsa_next_free_vgpr 1
		.amdhsa_next_free_sgpr 0
		.amdhsa_accum_offset 4
		.amdhsa_reserve_vcc 0
		.amdhsa_reserve_flat_scratch 0
		.amdhsa_float_round_mode_32 0
		.amdhsa_float_round_mode_16_64 0
		.amdhsa_float_denorm_mode_32 3
		.amdhsa_float_denorm_mode_16_64 3
		.amdhsa_dx10_clamp 1
		.amdhsa_ieee_mode 1
		.amdhsa_fp16_overflow 0
		.amdhsa_tg_split 0
		.amdhsa_exception_fp_ieee_invalid_op 0
		.amdhsa_exception_fp_denorm_src 0
		.amdhsa_exception_fp_ieee_div_zero 0
		.amdhsa_exception_fp_ieee_overflow 0
		.amdhsa_exception_fp_ieee_underflow 0
		.amdhsa_exception_fp_ieee_inexact 0
		.amdhsa_exception_int_div_zero 0
	.end_amdhsa_kernel
	.section	.text._ZN7rocprim17ROCPRIM_400000_NS6detail17trampoline_kernelINS0_14default_configENS1_25transform_config_selectorIN6thrust23THRUST_200600_302600_NS5tupleIffNS6_9null_typeES8_S8_S8_S8_S8_S8_S8_EELb0EEEZNS1_14transform_implILb0ES3_SA_NS6_6detail15normal_iteratorINS6_10device_ptrIS9_EEEEPS9_NS0_8identityIS9_EEEE10hipError_tT2_T3_mT4_P12ihipStream_tbEUlT_E_NS1_11comp_targetILNS1_3genE10ELNS1_11target_archE1201ELNS1_3gpuE5ELNS1_3repE0EEENS1_30default_config_static_selectorELNS0_4arch9wavefront6targetE1EEEvT1_,"axG",@progbits,_ZN7rocprim17ROCPRIM_400000_NS6detail17trampoline_kernelINS0_14default_configENS1_25transform_config_selectorIN6thrust23THRUST_200600_302600_NS5tupleIffNS6_9null_typeES8_S8_S8_S8_S8_S8_S8_EELb0EEEZNS1_14transform_implILb0ES3_SA_NS6_6detail15normal_iteratorINS6_10device_ptrIS9_EEEEPS9_NS0_8identityIS9_EEEE10hipError_tT2_T3_mT4_P12ihipStream_tbEUlT_E_NS1_11comp_targetILNS1_3genE10ELNS1_11target_archE1201ELNS1_3gpuE5ELNS1_3repE0EEENS1_30default_config_static_selectorELNS0_4arch9wavefront6targetE1EEEvT1_,comdat
.Lfunc_end171:
	.size	_ZN7rocprim17ROCPRIM_400000_NS6detail17trampoline_kernelINS0_14default_configENS1_25transform_config_selectorIN6thrust23THRUST_200600_302600_NS5tupleIffNS6_9null_typeES8_S8_S8_S8_S8_S8_S8_EELb0EEEZNS1_14transform_implILb0ES3_SA_NS6_6detail15normal_iteratorINS6_10device_ptrIS9_EEEEPS9_NS0_8identityIS9_EEEE10hipError_tT2_T3_mT4_P12ihipStream_tbEUlT_E_NS1_11comp_targetILNS1_3genE10ELNS1_11target_archE1201ELNS1_3gpuE5ELNS1_3repE0EEENS1_30default_config_static_selectorELNS0_4arch9wavefront6targetE1EEEvT1_, .Lfunc_end171-_ZN7rocprim17ROCPRIM_400000_NS6detail17trampoline_kernelINS0_14default_configENS1_25transform_config_selectorIN6thrust23THRUST_200600_302600_NS5tupleIffNS6_9null_typeES8_S8_S8_S8_S8_S8_S8_EELb0EEEZNS1_14transform_implILb0ES3_SA_NS6_6detail15normal_iteratorINS6_10device_ptrIS9_EEEEPS9_NS0_8identityIS9_EEEE10hipError_tT2_T3_mT4_P12ihipStream_tbEUlT_E_NS1_11comp_targetILNS1_3genE10ELNS1_11target_archE1201ELNS1_3gpuE5ELNS1_3repE0EEENS1_30default_config_static_selectorELNS0_4arch9wavefront6targetE1EEEvT1_
                                        ; -- End function
	.section	.AMDGPU.csdata,"",@progbits
; Kernel info:
; codeLenInByte = 0
; NumSgprs: 4
; NumVgprs: 0
; NumAgprs: 0
; TotalNumVgprs: 0
; ScratchSize: 0
; MemoryBound: 0
; FloatMode: 240
; IeeeMode: 1
; LDSByteSize: 0 bytes/workgroup (compile time only)
; SGPRBlocks: 0
; VGPRBlocks: 0
; NumSGPRsForWavesPerEU: 4
; NumVGPRsForWavesPerEU: 1
; AccumOffset: 4
; Occupancy: 8
; WaveLimiterHint : 0
; COMPUTE_PGM_RSRC2:SCRATCH_EN: 0
; COMPUTE_PGM_RSRC2:USER_SGPR: 6
; COMPUTE_PGM_RSRC2:TRAP_HANDLER: 0
; COMPUTE_PGM_RSRC2:TGID_X_EN: 1
; COMPUTE_PGM_RSRC2:TGID_Y_EN: 0
; COMPUTE_PGM_RSRC2:TGID_Z_EN: 0
; COMPUTE_PGM_RSRC2:TIDIG_COMP_CNT: 0
; COMPUTE_PGM_RSRC3_GFX90A:ACCUM_OFFSET: 0
; COMPUTE_PGM_RSRC3_GFX90A:TG_SPLIT: 0
	.section	.text._ZN7rocprim17ROCPRIM_400000_NS6detail17trampoline_kernelINS0_14default_configENS1_25transform_config_selectorIN6thrust23THRUST_200600_302600_NS5tupleIffNS6_9null_typeES8_S8_S8_S8_S8_S8_S8_EELb0EEEZNS1_14transform_implILb0ES3_SA_NS6_6detail15normal_iteratorINS6_10device_ptrIS9_EEEEPS9_NS0_8identityIS9_EEEE10hipError_tT2_T3_mT4_P12ihipStream_tbEUlT_E_NS1_11comp_targetILNS1_3genE10ELNS1_11target_archE1200ELNS1_3gpuE4ELNS1_3repE0EEENS1_30default_config_static_selectorELNS0_4arch9wavefront6targetE1EEEvT1_,"axG",@progbits,_ZN7rocprim17ROCPRIM_400000_NS6detail17trampoline_kernelINS0_14default_configENS1_25transform_config_selectorIN6thrust23THRUST_200600_302600_NS5tupleIffNS6_9null_typeES8_S8_S8_S8_S8_S8_S8_EELb0EEEZNS1_14transform_implILb0ES3_SA_NS6_6detail15normal_iteratorINS6_10device_ptrIS9_EEEEPS9_NS0_8identityIS9_EEEE10hipError_tT2_T3_mT4_P12ihipStream_tbEUlT_E_NS1_11comp_targetILNS1_3genE10ELNS1_11target_archE1200ELNS1_3gpuE4ELNS1_3repE0EEENS1_30default_config_static_selectorELNS0_4arch9wavefront6targetE1EEEvT1_,comdat
	.protected	_ZN7rocprim17ROCPRIM_400000_NS6detail17trampoline_kernelINS0_14default_configENS1_25transform_config_selectorIN6thrust23THRUST_200600_302600_NS5tupleIffNS6_9null_typeES8_S8_S8_S8_S8_S8_S8_EELb0EEEZNS1_14transform_implILb0ES3_SA_NS6_6detail15normal_iteratorINS6_10device_ptrIS9_EEEEPS9_NS0_8identityIS9_EEEE10hipError_tT2_T3_mT4_P12ihipStream_tbEUlT_E_NS1_11comp_targetILNS1_3genE10ELNS1_11target_archE1200ELNS1_3gpuE4ELNS1_3repE0EEENS1_30default_config_static_selectorELNS0_4arch9wavefront6targetE1EEEvT1_ ; -- Begin function _ZN7rocprim17ROCPRIM_400000_NS6detail17trampoline_kernelINS0_14default_configENS1_25transform_config_selectorIN6thrust23THRUST_200600_302600_NS5tupleIffNS6_9null_typeES8_S8_S8_S8_S8_S8_S8_EELb0EEEZNS1_14transform_implILb0ES3_SA_NS6_6detail15normal_iteratorINS6_10device_ptrIS9_EEEEPS9_NS0_8identityIS9_EEEE10hipError_tT2_T3_mT4_P12ihipStream_tbEUlT_E_NS1_11comp_targetILNS1_3genE10ELNS1_11target_archE1200ELNS1_3gpuE4ELNS1_3repE0EEENS1_30default_config_static_selectorELNS0_4arch9wavefront6targetE1EEEvT1_
	.globl	_ZN7rocprim17ROCPRIM_400000_NS6detail17trampoline_kernelINS0_14default_configENS1_25transform_config_selectorIN6thrust23THRUST_200600_302600_NS5tupleIffNS6_9null_typeES8_S8_S8_S8_S8_S8_S8_EELb0EEEZNS1_14transform_implILb0ES3_SA_NS6_6detail15normal_iteratorINS6_10device_ptrIS9_EEEEPS9_NS0_8identityIS9_EEEE10hipError_tT2_T3_mT4_P12ihipStream_tbEUlT_E_NS1_11comp_targetILNS1_3genE10ELNS1_11target_archE1200ELNS1_3gpuE4ELNS1_3repE0EEENS1_30default_config_static_selectorELNS0_4arch9wavefront6targetE1EEEvT1_
	.p2align	8
	.type	_ZN7rocprim17ROCPRIM_400000_NS6detail17trampoline_kernelINS0_14default_configENS1_25transform_config_selectorIN6thrust23THRUST_200600_302600_NS5tupleIffNS6_9null_typeES8_S8_S8_S8_S8_S8_S8_EELb0EEEZNS1_14transform_implILb0ES3_SA_NS6_6detail15normal_iteratorINS6_10device_ptrIS9_EEEEPS9_NS0_8identityIS9_EEEE10hipError_tT2_T3_mT4_P12ihipStream_tbEUlT_E_NS1_11comp_targetILNS1_3genE10ELNS1_11target_archE1200ELNS1_3gpuE4ELNS1_3repE0EEENS1_30default_config_static_selectorELNS0_4arch9wavefront6targetE1EEEvT1_,@function
_ZN7rocprim17ROCPRIM_400000_NS6detail17trampoline_kernelINS0_14default_configENS1_25transform_config_selectorIN6thrust23THRUST_200600_302600_NS5tupleIffNS6_9null_typeES8_S8_S8_S8_S8_S8_S8_EELb0EEEZNS1_14transform_implILb0ES3_SA_NS6_6detail15normal_iteratorINS6_10device_ptrIS9_EEEEPS9_NS0_8identityIS9_EEEE10hipError_tT2_T3_mT4_P12ihipStream_tbEUlT_E_NS1_11comp_targetILNS1_3genE10ELNS1_11target_archE1200ELNS1_3gpuE4ELNS1_3repE0EEENS1_30default_config_static_selectorELNS0_4arch9wavefront6targetE1EEEvT1_: ; @_ZN7rocprim17ROCPRIM_400000_NS6detail17trampoline_kernelINS0_14default_configENS1_25transform_config_selectorIN6thrust23THRUST_200600_302600_NS5tupleIffNS6_9null_typeES8_S8_S8_S8_S8_S8_S8_EELb0EEEZNS1_14transform_implILb0ES3_SA_NS6_6detail15normal_iteratorINS6_10device_ptrIS9_EEEEPS9_NS0_8identityIS9_EEEE10hipError_tT2_T3_mT4_P12ihipStream_tbEUlT_E_NS1_11comp_targetILNS1_3genE10ELNS1_11target_archE1200ELNS1_3gpuE4ELNS1_3repE0EEENS1_30default_config_static_selectorELNS0_4arch9wavefront6targetE1EEEvT1_
; %bb.0:
	.section	.rodata,"a",@progbits
	.p2align	6, 0x0
	.amdhsa_kernel _ZN7rocprim17ROCPRIM_400000_NS6detail17trampoline_kernelINS0_14default_configENS1_25transform_config_selectorIN6thrust23THRUST_200600_302600_NS5tupleIffNS6_9null_typeES8_S8_S8_S8_S8_S8_S8_EELb0EEEZNS1_14transform_implILb0ES3_SA_NS6_6detail15normal_iteratorINS6_10device_ptrIS9_EEEEPS9_NS0_8identityIS9_EEEE10hipError_tT2_T3_mT4_P12ihipStream_tbEUlT_E_NS1_11comp_targetILNS1_3genE10ELNS1_11target_archE1200ELNS1_3gpuE4ELNS1_3repE0EEENS1_30default_config_static_selectorELNS0_4arch9wavefront6targetE1EEEvT1_
		.amdhsa_group_segment_fixed_size 0
		.amdhsa_private_segment_fixed_size 0
		.amdhsa_kernarg_size 40
		.amdhsa_user_sgpr_count 6
		.amdhsa_user_sgpr_private_segment_buffer 1
		.amdhsa_user_sgpr_dispatch_ptr 0
		.amdhsa_user_sgpr_queue_ptr 0
		.amdhsa_user_sgpr_kernarg_segment_ptr 1
		.amdhsa_user_sgpr_dispatch_id 0
		.amdhsa_user_sgpr_flat_scratch_init 0
		.amdhsa_user_sgpr_kernarg_preload_length 0
		.amdhsa_user_sgpr_kernarg_preload_offset 0
		.amdhsa_user_sgpr_private_segment_size 0
		.amdhsa_uses_dynamic_stack 0
		.amdhsa_system_sgpr_private_segment_wavefront_offset 0
		.amdhsa_system_sgpr_workgroup_id_x 1
		.amdhsa_system_sgpr_workgroup_id_y 0
		.amdhsa_system_sgpr_workgroup_id_z 0
		.amdhsa_system_sgpr_workgroup_info 0
		.amdhsa_system_vgpr_workitem_id 0
		.amdhsa_next_free_vgpr 1
		.amdhsa_next_free_sgpr 0
		.amdhsa_accum_offset 4
		.amdhsa_reserve_vcc 0
		.amdhsa_reserve_flat_scratch 0
		.amdhsa_float_round_mode_32 0
		.amdhsa_float_round_mode_16_64 0
		.amdhsa_float_denorm_mode_32 3
		.amdhsa_float_denorm_mode_16_64 3
		.amdhsa_dx10_clamp 1
		.amdhsa_ieee_mode 1
		.amdhsa_fp16_overflow 0
		.amdhsa_tg_split 0
		.amdhsa_exception_fp_ieee_invalid_op 0
		.amdhsa_exception_fp_denorm_src 0
		.amdhsa_exception_fp_ieee_div_zero 0
		.amdhsa_exception_fp_ieee_overflow 0
		.amdhsa_exception_fp_ieee_underflow 0
		.amdhsa_exception_fp_ieee_inexact 0
		.amdhsa_exception_int_div_zero 0
	.end_amdhsa_kernel
	.section	.text._ZN7rocprim17ROCPRIM_400000_NS6detail17trampoline_kernelINS0_14default_configENS1_25transform_config_selectorIN6thrust23THRUST_200600_302600_NS5tupleIffNS6_9null_typeES8_S8_S8_S8_S8_S8_S8_EELb0EEEZNS1_14transform_implILb0ES3_SA_NS6_6detail15normal_iteratorINS6_10device_ptrIS9_EEEEPS9_NS0_8identityIS9_EEEE10hipError_tT2_T3_mT4_P12ihipStream_tbEUlT_E_NS1_11comp_targetILNS1_3genE10ELNS1_11target_archE1200ELNS1_3gpuE4ELNS1_3repE0EEENS1_30default_config_static_selectorELNS0_4arch9wavefront6targetE1EEEvT1_,"axG",@progbits,_ZN7rocprim17ROCPRIM_400000_NS6detail17trampoline_kernelINS0_14default_configENS1_25transform_config_selectorIN6thrust23THRUST_200600_302600_NS5tupleIffNS6_9null_typeES8_S8_S8_S8_S8_S8_S8_EELb0EEEZNS1_14transform_implILb0ES3_SA_NS6_6detail15normal_iteratorINS6_10device_ptrIS9_EEEEPS9_NS0_8identityIS9_EEEE10hipError_tT2_T3_mT4_P12ihipStream_tbEUlT_E_NS1_11comp_targetILNS1_3genE10ELNS1_11target_archE1200ELNS1_3gpuE4ELNS1_3repE0EEENS1_30default_config_static_selectorELNS0_4arch9wavefront6targetE1EEEvT1_,comdat
.Lfunc_end172:
	.size	_ZN7rocprim17ROCPRIM_400000_NS6detail17trampoline_kernelINS0_14default_configENS1_25transform_config_selectorIN6thrust23THRUST_200600_302600_NS5tupleIffNS6_9null_typeES8_S8_S8_S8_S8_S8_S8_EELb0EEEZNS1_14transform_implILb0ES3_SA_NS6_6detail15normal_iteratorINS6_10device_ptrIS9_EEEEPS9_NS0_8identityIS9_EEEE10hipError_tT2_T3_mT4_P12ihipStream_tbEUlT_E_NS1_11comp_targetILNS1_3genE10ELNS1_11target_archE1200ELNS1_3gpuE4ELNS1_3repE0EEENS1_30default_config_static_selectorELNS0_4arch9wavefront6targetE1EEEvT1_, .Lfunc_end172-_ZN7rocprim17ROCPRIM_400000_NS6detail17trampoline_kernelINS0_14default_configENS1_25transform_config_selectorIN6thrust23THRUST_200600_302600_NS5tupleIffNS6_9null_typeES8_S8_S8_S8_S8_S8_S8_EELb0EEEZNS1_14transform_implILb0ES3_SA_NS6_6detail15normal_iteratorINS6_10device_ptrIS9_EEEEPS9_NS0_8identityIS9_EEEE10hipError_tT2_T3_mT4_P12ihipStream_tbEUlT_E_NS1_11comp_targetILNS1_3genE10ELNS1_11target_archE1200ELNS1_3gpuE4ELNS1_3repE0EEENS1_30default_config_static_selectorELNS0_4arch9wavefront6targetE1EEEvT1_
                                        ; -- End function
	.section	.AMDGPU.csdata,"",@progbits
; Kernel info:
; codeLenInByte = 0
; NumSgprs: 4
; NumVgprs: 0
; NumAgprs: 0
; TotalNumVgprs: 0
; ScratchSize: 0
; MemoryBound: 0
; FloatMode: 240
; IeeeMode: 1
; LDSByteSize: 0 bytes/workgroup (compile time only)
; SGPRBlocks: 0
; VGPRBlocks: 0
; NumSGPRsForWavesPerEU: 4
; NumVGPRsForWavesPerEU: 1
; AccumOffset: 4
; Occupancy: 8
; WaveLimiterHint : 0
; COMPUTE_PGM_RSRC2:SCRATCH_EN: 0
; COMPUTE_PGM_RSRC2:USER_SGPR: 6
; COMPUTE_PGM_RSRC2:TRAP_HANDLER: 0
; COMPUTE_PGM_RSRC2:TGID_X_EN: 1
; COMPUTE_PGM_RSRC2:TGID_Y_EN: 0
; COMPUTE_PGM_RSRC2:TGID_Z_EN: 0
; COMPUTE_PGM_RSRC2:TIDIG_COMP_CNT: 0
; COMPUTE_PGM_RSRC3_GFX90A:ACCUM_OFFSET: 0
; COMPUTE_PGM_RSRC3_GFX90A:TG_SPLIT: 0
	.section	.text._ZN7rocprim17ROCPRIM_400000_NS6detail17trampoline_kernelINS0_14default_configENS1_25transform_config_selectorIN6thrust23THRUST_200600_302600_NS5tupleIffNS6_9null_typeES8_S8_S8_S8_S8_S8_S8_EELb0EEEZNS1_14transform_implILb0ES3_SA_NS6_6detail15normal_iteratorINS6_10device_ptrIS9_EEEEPS9_NS0_8identityIS9_EEEE10hipError_tT2_T3_mT4_P12ihipStream_tbEUlT_E_NS1_11comp_targetILNS1_3genE9ELNS1_11target_archE1100ELNS1_3gpuE3ELNS1_3repE0EEENS1_30default_config_static_selectorELNS0_4arch9wavefront6targetE1EEEvT1_,"axG",@progbits,_ZN7rocprim17ROCPRIM_400000_NS6detail17trampoline_kernelINS0_14default_configENS1_25transform_config_selectorIN6thrust23THRUST_200600_302600_NS5tupleIffNS6_9null_typeES8_S8_S8_S8_S8_S8_S8_EELb0EEEZNS1_14transform_implILb0ES3_SA_NS6_6detail15normal_iteratorINS6_10device_ptrIS9_EEEEPS9_NS0_8identityIS9_EEEE10hipError_tT2_T3_mT4_P12ihipStream_tbEUlT_E_NS1_11comp_targetILNS1_3genE9ELNS1_11target_archE1100ELNS1_3gpuE3ELNS1_3repE0EEENS1_30default_config_static_selectorELNS0_4arch9wavefront6targetE1EEEvT1_,comdat
	.protected	_ZN7rocprim17ROCPRIM_400000_NS6detail17trampoline_kernelINS0_14default_configENS1_25transform_config_selectorIN6thrust23THRUST_200600_302600_NS5tupleIffNS6_9null_typeES8_S8_S8_S8_S8_S8_S8_EELb0EEEZNS1_14transform_implILb0ES3_SA_NS6_6detail15normal_iteratorINS6_10device_ptrIS9_EEEEPS9_NS0_8identityIS9_EEEE10hipError_tT2_T3_mT4_P12ihipStream_tbEUlT_E_NS1_11comp_targetILNS1_3genE9ELNS1_11target_archE1100ELNS1_3gpuE3ELNS1_3repE0EEENS1_30default_config_static_selectorELNS0_4arch9wavefront6targetE1EEEvT1_ ; -- Begin function _ZN7rocprim17ROCPRIM_400000_NS6detail17trampoline_kernelINS0_14default_configENS1_25transform_config_selectorIN6thrust23THRUST_200600_302600_NS5tupleIffNS6_9null_typeES8_S8_S8_S8_S8_S8_S8_EELb0EEEZNS1_14transform_implILb0ES3_SA_NS6_6detail15normal_iteratorINS6_10device_ptrIS9_EEEEPS9_NS0_8identityIS9_EEEE10hipError_tT2_T3_mT4_P12ihipStream_tbEUlT_E_NS1_11comp_targetILNS1_3genE9ELNS1_11target_archE1100ELNS1_3gpuE3ELNS1_3repE0EEENS1_30default_config_static_selectorELNS0_4arch9wavefront6targetE1EEEvT1_
	.globl	_ZN7rocprim17ROCPRIM_400000_NS6detail17trampoline_kernelINS0_14default_configENS1_25transform_config_selectorIN6thrust23THRUST_200600_302600_NS5tupleIffNS6_9null_typeES8_S8_S8_S8_S8_S8_S8_EELb0EEEZNS1_14transform_implILb0ES3_SA_NS6_6detail15normal_iteratorINS6_10device_ptrIS9_EEEEPS9_NS0_8identityIS9_EEEE10hipError_tT2_T3_mT4_P12ihipStream_tbEUlT_E_NS1_11comp_targetILNS1_3genE9ELNS1_11target_archE1100ELNS1_3gpuE3ELNS1_3repE0EEENS1_30default_config_static_selectorELNS0_4arch9wavefront6targetE1EEEvT1_
	.p2align	8
	.type	_ZN7rocprim17ROCPRIM_400000_NS6detail17trampoline_kernelINS0_14default_configENS1_25transform_config_selectorIN6thrust23THRUST_200600_302600_NS5tupleIffNS6_9null_typeES8_S8_S8_S8_S8_S8_S8_EELb0EEEZNS1_14transform_implILb0ES3_SA_NS6_6detail15normal_iteratorINS6_10device_ptrIS9_EEEEPS9_NS0_8identityIS9_EEEE10hipError_tT2_T3_mT4_P12ihipStream_tbEUlT_E_NS1_11comp_targetILNS1_3genE9ELNS1_11target_archE1100ELNS1_3gpuE3ELNS1_3repE0EEENS1_30default_config_static_selectorELNS0_4arch9wavefront6targetE1EEEvT1_,@function
_ZN7rocprim17ROCPRIM_400000_NS6detail17trampoline_kernelINS0_14default_configENS1_25transform_config_selectorIN6thrust23THRUST_200600_302600_NS5tupleIffNS6_9null_typeES8_S8_S8_S8_S8_S8_S8_EELb0EEEZNS1_14transform_implILb0ES3_SA_NS6_6detail15normal_iteratorINS6_10device_ptrIS9_EEEEPS9_NS0_8identityIS9_EEEE10hipError_tT2_T3_mT4_P12ihipStream_tbEUlT_E_NS1_11comp_targetILNS1_3genE9ELNS1_11target_archE1100ELNS1_3gpuE3ELNS1_3repE0EEENS1_30default_config_static_selectorELNS0_4arch9wavefront6targetE1EEEvT1_: ; @_ZN7rocprim17ROCPRIM_400000_NS6detail17trampoline_kernelINS0_14default_configENS1_25transform_config_selectorIN6thrust23THRUST_200600_302600_NS5tupleIffNS6_9null_typeES8_S8_S8_S8_S8_S8_S8_EELb0EEEZNS1_14transform_implILb0ES3_SA_NS6_6detail15normal_iteratorINS6_10device_ptrIS9_EEEEPS9_NS0_8identityIS9_EEEE10hipError_tT2_T3_mT4_P12ihipStream_tbEUlT_E_NS1_11comp_targetILNS1_3genE9ELNS1_11target_archE1100ELNS1_3gpuE3ELNS1_3repE0EEENS1_30default_config_static_selectorELNS0_4arch9wavefront6targetE1EEEvT1_
; %bb.0:
	.section	.rodata,"a",@progbits
	.p2align	6, 0x0
	.amdhsa_kernel _ZN7rocprim17ROCPRIM_400000_NS6detail17trampoline_kernelINS0_14default_configENS1_25transform_config_selectorIN6thrust23THRUST_200600_302600_NS5tupleIffNS6_9null_typeES8_S8_S8_S8_S8_S8_S8_EELb0EEEZNS1_14transform_implILb0ES3_SA_NS6_6detail15normal_iteratorINS6_10device_ptrIS9_EEEEPS9_NS0_8identityIS9_EEEE10hipError_tT2_T3_mT4_P12ihipStream_tbEUlT_E_NS1_11comp_targetILNS1_3genE9ELNS1_11target_archE1100ELNS1_3gpuE3ELNS1_3repE0EEENS1_30default_config_static_selectorELNS0_4arch9wavefront6targetE1EEEvT1_
		.amdhsa_group_segment_fixed_size 0
		.amdhsa_private_segment_fixed_size 0
		.amdhsa_kernarg_size 40
		.amdhsa_user_sgpr_count 6
		.amdhsa_user_sgpr_private_segment_buffer 1
		.amdhsa_user_sgpr_dispatch_ptr 0
		.amdhsa_user_sgpr_queue_ptr 0
		.amdhsa_user_sgpr_kernarg_segment_ptr 1
		.amdhsa_user_sgpr_dispatch_id 0
		.amdhsa_user_sgpr_flat_scratch_init 0
		.amdhsa_user_sgpr_kernarg_preload_length 0
		.amdhsa_user_sgpr_kernarg_preload_offset 0
		.amdhsa_user_sgpr_private_segment_size 0
		.amdhsa_uses_dynamic_stack 0
		.amdhsa_system_sgpr_private_segment_wavefront_offset 0
		.amdhsa_system_sgpr_workgroup_id_x 1
		.amdhsa_system_sgpr_workgroup_id_y 0
		.amdhsa_system_sgpr_workgroup_id_z 0
		.amdhsa_system_sgpr_workgroup_info 0
		.amdhsa_system_vgpr_workitem_id 0
		.amdhsa_next_free_vgpr 1
		.amdhsa_next_free_sgpr 0
		.amdhsa_accum_offset 4
		.amdhsa_reserve_vcc 0
		.amdhsa_reserve_flat_scratch 0
		.amdhsa_float_round_mode_32 0
		.amdhsa_float_round_mode_16_64 0
		.amdhsa_float_denorm_mode_32 3
		.amdhsa_float_denorm_mode_16_64 3
		.amdhsa_dx10_clamp 1
		.amdhsa_ieee_mode 1
		.amdhsa_fp16_overflow 0
		.amdhsa_tg_split 0
		.amdhsa_exception_fp_ieee_invalid_op 0
		.amdhsa_exception_fp_denorm_src 0
		.amdhsa_exception_fp_ieee_div_zero 0
		.amdhsa_exception_fp_ieee_overflow 0
		.amdhsa_exception_fp_ieee_underflow 0
		.amdhsa_exception_fp_ieee_inexact 0
		.amdhsa_exception_int_div_zero 0
	.end_amdhsa_kernel
	.section	.text._ZN7rocprim17ROCPRIM_400000_NS6detail17trampoline_kernelINS0_14default_configENS1_25transform_config_selectorIN6thrust23THRUST_200600_302600_NS5tupleIffNS6_9null_typeES8_S8_S8_S8_S8_S8_S8_EELb0EEEZNS1_14transform_implILb0ES3_SA_NS6_6detail15normal_iteratorINS6_10device_ptrIS9_EEEEPS9_NS0_8identityIS9_EEEE10hipError_tT2_T3_mT4_P12ihipStream_tbEUlT_E_NS1_11comp_targetILNS1_3genE9ELNS1_11target_archE1100ELNS1_3gpuE3ELNS1_3repE0EEENS1_30default_config_static_selectorELNS0_4arch9wavefront6targetE1EEEvT1_,"axG",@progbits,_ZN7rocprim17ROCPRIM_400000_NS6detail17trampoline_kernelINS0_14default_configENS1_25transform_config_selectorIN6thrust23THRUST_200600_302600_NS5tupleIffNS6_9null_typeES8_S8_S8_S8_S8_S8_S8_EELb0EEEZNS1_14transform_implILb0ES3_SA_NS6_6detail15normal_iteratorINS6_10device_ptrIS9_EEEEPS9_NS0_8identityIS9_EEEE10hipError_tT2_T3_mT4_P12ihipStream_tbEUlT_E_NS1_11comp_targetILNS1_3genE9ELNS1_11target_archE1100ELNS1_3gpuE3ELNS1_3repE0EEENS1_30default_config_static_selectorELNS0_4arch9wavefront6targetE1EEEvT1_,comdat
.Lfunc_end173:
	.size	_ZN7rocprim17ROCPRIM_400000_NS6detail17trampoline_kernelINS0_14default_configENS1_25transform_config_selectorIN6thrust23THRUST_200600_302600_NS5tupleIffNS6_9null_typeES8_S8_S8_S8_S8_S8_S8_EELb0EEEZNS1_14transform_implILb0ES3_SA_NS6_6detail15normal_iteratorINS6_10device_ptrIS9_EEEEPS9_NS0_8identityIS9_EEEE10hipError_tT2_T3_mT4_P12ihipStream_tbEUlT_E_NS1_11comp_targetILNS1_3genE9ELNS1_11target_archE1100ELNS1_3gpuE3ELNS1_3repE0EEENS1_30default_config_static_selectorELNS0_4arch9wavefront6targetE1EEEvT1_, .Lfunc_end173-_ZN7rocprim17ROCPRIM_400000_NS6detail17trampoline_kernelINS0_14default_configENS1_25transform_config_selectorIN6thrust23THRUST_200600_302600_NS5tupleIffNS6_9null_typeES8_S8_S8_S8_S8_S8_S8_EELb0EEEZNS1_14transform_implILb0ES3_SA_NS6_6detail15normal_iteratorINS6_10device_ptrIS9_EEEEPS9_NS0_8identityIS9_EEEE10hipError_tT2_T3_mT4_P12ihipStream_tbEUlT_E_NS1_11comp_targetILNS1_3genE9ELNS1_11target_archE1100ELNS1_3gpuE3ELNS1_3repE0EEENS1_30default_config_static_selectorELNS0_4arch9wavefront6targetE1EEEvT1_
                                        ; -- End function
	.section	.AMDGPU.csdata,"",@progbits
; Kernel info:
; codeLenInByte = 0
; NumSgprs: 4
; NumVgprs: 0
; NumAgprs: 0
; TotalNumVgprs: 0
; ScratchSize: 0
; MemoryBound: 0
; FloatMode: 240
; IeeeMode: 1
; LDSByteSize: 0 bytes/workgroup (compile time only)
; SGPRBlocks: 0
; VGPRBlocks: 0
; NumSGPRsForWavesPerEU: 4
; NumVGPRsForWavesPerEU: 1
; AccumOffset: 4
; Occupancy: 8
; WaveLimiterHint : 0
; COMPUTE_PGM_RSRC2:SCRATCH_EN: 0
; COMPUTE_PGM_RSRC2:USER_SGPR: 6
; COMPUTE_PGM_RSRC2:TRAP_HANDLER: 0
; COMPUTE_PGM_RSRC2:TGID_X_EN: 1
; COMPUTE_PGM_RSRC2:TGID_Y_EN: 0
; COMPUTE_PGM_RSRC2:TGID_Z_EN: 0
; COMPUTE_PGM_RSRC2:TIDIG_COMP_CNT: 0
; COMPUTE_PGM_RSRC3_GFX90A:ACCUM_OFFSET: 0
; COMPUTE_PGM_RSRC3_GFX90A:TG_SPLIT: 0
	.section	.text._ZN7rocprim17ROCPRIM_400000_NS6detail17trampoline_kernelINS0_14default_configENS1_25transform_config_selectorIN6thrust23THRUST_200600_302600_NS5tupleIffNS6_9null_typeES8_S8_S8_S8_S8_S8_S8_EELb0EEEZNS1_14transform_implILb0ES3_SA_NS6_6detail15normal_iteratorINS6_10device_ptrIS9_EEEEPS9_NS0_8identityIS9_EEEE10hipError_tT2_T3_mT4_P12ihipStream_tbEUlT_E_NS1_11comp_targetILNS1_3genE8ELNS1_11target_archE1030ELNS1_3gpuE2ELNS1_3repE0EEENS1_30default_config_static_selectorELNS0_4arch9wavefront6targetE1EEEvT1_,"axG",@progbits,_ZN7rocprim17ROCPRIM_400000_NS6detail17trampoline_kernelINS0_14default_configENS1_25transform_config_selectorIN6thrust23THRUST_200600_302600_NS5tupleIffNS6_9null_typeES8_S8_S8_S8_S8_S8_S8_EELb0EEEZNS1_14transform_implILb0ES3_SA_NS6_6detail15normal_iteratorINS6_10device_ptrIS9_EEEEPS9_NS0_8identityIS9_EEEE10hipError_tT2_T3_mT4_P12ihipStream_tbEUlT_E_NS1_11comp_targetILNS1_3genE8ELNS1_11target_archE1030ELNS1_3gpuE2ELNS1_3repE0EEENS1_30default_config_static_selectorELNS0_4arch9wavefront6targetE1EEEvT1_,comdat
	.protected	_ZN7rocprim17ROCPRIM_400000_NS6detail17trampoline_kernelINS0_14default_configENS1_25transform_config_selectorIN6thrust23THRUST_200600_302600_NS5tupleIffNS6_9null_typeES8_S8_S8_S8_S8_S8_S8_EELb0EEEZNS1_14transform_implILb0ES3_SA_NS6_6detail15normal_iteratorINS6_10device_ptrIS9_EEEEPS9_NS0_8identityIS9_EEEE10hipError_tT2_T3_mT4_P12ihipStream_tbEUlT_E_NS1_11comp_targetILNS1_3genE8ELNS1_11target_archE1030ELNS1_3gpuE2ELNS1_3repE0EEENS1_30default_config_static_selectorELNS0_4arch9wavefront6targetE1EEEvT1_ ; -- Begin function _ZN7rocprim17ROCPRIM_400000_NS6detail17trampoline_kernelINS0_14default_configENS1_25transform_config_selectorIN6thrust23THRUST_200600_302600_NS5tupleIffNS6_9null_typeES8_S8_S8_S8_S8_S8_S8_EELb0EEEZNS1_14transform_implILb0ES3_SA_NS6_6detail15normal_iteratorINS6_10device_ptrIS9_EEEEPS9_NS0_8identityIS9_EEEE10hipError_tT2_T3_mT4_P12ihipStream_tbEUlT_E_NS1_11comp_targetILNS1_3genE8ELNS1_11target_archE1030ELNS1_3gpuE2ELNS1_3repE0EEENS1_30default_config_static_selectorELNS0_4arch9wavefront6targetE1EEEvT1_
	.globl	_ZN7rocprim17ROCPRIM_400000_NS6detail17trampoline_kernelINS0_14default_configENS1_25transform_config_selectorIN6thrust23THRUST_200600_302600_NS5tupleIffNS6_9null_typeES8_S8_S8_S8_S8_S8_S8_EELb0EEEZNS1_14transform_implILb0ES3_SA_NS6_6detail15normal_iteratorINS6_10device_ptrIS9_EEEEPS9_NS0_8identityIS9_EEEE10hipError_tT2_T3_mT4_P12ihipStream_tbEUlT_E_NS1_11comp_targetILNS1_3genE8ELNS1_11target_archE1030ELNS1_3gpuE2ELNS1_3repE0EEENS1_30default_config_static_selectorELNS0_4arch9wavefront6targetE1EEEvT1_
	.p2align	8
	.type	_ZN7rocprim17ROCPRIM_400000_NS6detail17trampoline_kernelINS0_14default_configENS1_25transform_config_selectorIN6thrust23THRUST_200600_302600_NS5tupleIffNS6_9null_typeES8_S8_S8_S8_S8_S8_S8_EELb0EEEZNS1_14transform_implILb0ES3_SA_NS6_6detail15normal_iteratorINS6_10device_ptrIS9_EEEEPS9_NS0_8identityIS9_EEEE10hipError_tT2_T3_mT4_P12ihipStream_tbEUlT_E_NS1_11comp_targetILNS1_3genE8ELNS1_11target_archE1030ELNS1_3gpuE2ELNS1_3repE0EEENS1_30default_config_static_selectorELNS0_4arch9wavefront6targetE1EEEvT1_,@function
_ZN7rocprim17ROCPRIM_400000_NS6detail17trampoline_kernelINS0_14default_configENS1_25transform_config_selectorIN6thrust23THRUST_200600_302600_NS5tupleIffNS6_9null_typeES8_S8_S8_S8_S8_S8_S8_EELb0EEEZNS1_14transform_implILb0ES3_SA_NS6_6detail15normal_iteratorINS6_10device_ptrIS9_EEEEPS9_NS0_8identityIS9_EEEE10hipError_tT2_T3_mT4_P12ihipStream_tbEUlT_E_NS1_11comp_targetILNS1_3genE8ELNS1_11target_archE1030ELNS1_3gpuE2ELNS1_3repE0EEENS1_30default_config_static_selectorELNS0_4arch9wavefront6targetE1EEEvT1_: ; @_ZN7rocprim17ROCPRIM_400000_NS6detail17trampoline_kernelINS0_14default_configENS1_25transform_config_selectorIN6thrust23THRUST_200600_302600_NS5tupleIffNS6_9null_typeES8_S8_S8_S8_S8_S8_S8_EELb0EEEZNS1_14transform_implILb0ES3_SA_NS6_6detail15normal_iteratorINS6_10device_ptrIS9_EEEEPS9_NS0_8identityIS9_EEEE10hipError_tT2_T3_mT4_P12ihipStream_tbEUlT_E_NS1_11comp_targetILNS1_3genE8ELNS1_11target_archE1030ELNS1_3gpuE2ELNS1_3repE0EEENS1_30default_config_static_selectorELNS0_4arch9wavefront6targetE1EEEvT1_
; %bb.0:
	.section	.rodata,"a",@progbits
	.p2align	6, 0x0
	.amdhsa_kernel _ZN7rocprim17ROCPRIM_400000_NS6detail17trampoline_kernelINS0_14default_configENS1_25transform_config_selectorIN6thrust23THRUST_200600_302600_NS5tupleIffNS6_9null_typeES8_S8_S8_S8_S8_S8_S8_EELb0EEEZNS1_14transform_implILb0ES3_SA_NS6_6detail15normal_iteratorINS6_10device_ptrIS9_EEEEPS9_NS0_8identityIS9_EEEE10hipError_tT2_T3_mT4_P12ihipStream_tbEUlT_E_NS1_11comp_targetILNS1_3genE8ELNS1_11target_archE1030ELNS1_3gpuE2ELNS1_3repE0EEENS1_30default_config_static_selectorELNS0_4arch9wavefront6targetE1EEEvT1_
		.amdhsa_group_segment_fixed_size 0
		.amdhsa_private_segment_fixed_size 0
		.amdhsa_kernarg_size 40
		.amdhsa_user_sgpr_count 6
		.amdhsa_user_sgpr_private_segment_buffer 1
		.amdhsa_user_sgpr_dispatch_ptr 0
		.amdhsa_user_sgpr_queue_ptr 0
		.amdhsa_user_sgpr_kernarg_segment_ptr 1
		.amdhsa_user_sgpr_dispatch_id 0
		.amdhsa_user_sgpr_flat_scratch_init 0
		.amdhsa_user_sgpr_kernarg_preload_length 0
		.amdhsa_user_sgpr_kernarg_preload_offset 0
		.amdhsa_user_sgpr_private_segment_size 0
		.amdhsa_uses_dynamic_stack 0
		.amdhsa_system_sgpr_private_segment_wavefront_offset 0
		.amdhsa_system_sgpr_workgroup_id_x 1
		.amdhsa_system_sgpr_workgroup_id_y 0
		.amdhsa_system_sgpr_workgroup_id_z 0
		.amdhsa_system_sgpr_workgroup_info 0
		.amdhsa_system_vgpr_workitem_id 0
		.amdhsa_next_free_vgpr 1
		.amdhsa_next_free_sgpr 0
		.amdhsa_accum_offset 4
		.amdhsa_reserve_vcc 0
		.amdhsa_reserve_flat_scratch 0
		.amdhsa_float_round_mode_32 0
		.amdhsa_float_round_mode_16_64 0
		.amdhsa_float_denorm_mode_32 3
		.amdhsa_float_denorm_mode_16_64 3
		.amdhsa_dx10_clamp 1
		.amdhsa_ieee_mode 1
		.amdhsa_fp16_overflow 0
		.amdhsa_tg_split 0
		.amdhsa_exception_fp_ieee_invalid_op 0
		.amdhsa_exception_fp_denorm_src 0
		.amdhsa_exception_fp_ieee_div_zero 0
		.amdhsa_exception_fp_ieee_overflow 0
		.amdhsa_exception_fp_ieee_underflow 0
		.amdhsa_exception_fp_ieee_inexact 0
		.amdhsa_exception_int_div_zero 0
	.end_amdhsa_kernel
	.section	.text._ZN7rocprim17ROCPRIM_400000_NS6detail17trampoline_kernelINS0_14default_configENS1_25transform_config_selectorIN6thrust23THRUST_200600_302600_NS5tupleIffNS6_9null_typeES8_S8_S8_S8_S8_S8_S8_EELb0EEEZNS1_14transform_implILb0ES3_SA_NS6_6detail15normal_iteratorINS6_10device_ptrIS9_EEEEPS9_NS0_8identityIS9_EEEE10hipError_tT2_T3_mT4_P12ihipStream_tbEUlT_E_NS1_11comp_targetILNS1_3genE8ELNS1_11target_archE1030ELNS1_3gpuE2ELNS1_3repE0EEENS1_30default_config_static_selectorELNS0_4arch9wavefront6targetE1EEEvT1_,"axG",@progbits,_ZN7rocprim17ROCPRIM_400000_NS6detail17trampoline_kernelINS0_14default_configENS1_25transform_config_selectorIN6thrust23THRUST_200600_302600_NS5tupleIffNS6_9null_typeES8_S8_S8_S8_S8_S8_S8_EELb0EEEZNS1_14transform_implILb0ES3_SA_NS6_6detail15normal_iteratorINS6_10device_ptrIS9_EEEEPS9_NS0_8identityIS9_EEEE10hipError_tT2_T3_mT4_P12ihipStream_tbEUlT_E_NS1_11comp_targetILNS1_3genE8ELNS1_11target_archE1030ELNS1_3gpuE2ELNS1_3repE0EEENS1_30default_config_static_selectorELNS0_4arch9wavefront6targetE1EEEvT1_,comdat
.Lfunc_end174:
	.size	_ZN7rocprim17ROCPRIM_400000_NS6detail17trampoline_kernelINS0_14default_configENS1_25transform_config_selectorIN6thrust23THRUST_200600_302600_NS5tupleIffNS6_9null_typeES8_S8_S8_S8_S8_S8_S8_EELb0EEEZNS1_14transform_implILb0ES3_SA_NS6_6detail15normal_iteratorINS6_10device_ptrIS9_EEEEPS9_NS0_8identityIS9_EEEE10hipError_tT2_T3_mT4_P12ihipStream_tbEUlT_E_NS1_11comp_targetILNS1_3genE8ELNS1_11target_archE1030ELNS1_3gpuE2ELNS1_3repE0EEENS1_30default_config_static_selectorELNS0_4arch9wavefront6targetE1EEEvT1_, .Lfunc_end174-_ZN7rocprim17ROCPRIM_400000_NS6detail17trampoline_kernelINS0_14default_configENS1_25transform_config_selectorIN6thrust23THRUST_200600_302600_NS5tupleIffNS6_9null_typeES8_S8_S8_S8_S8_S8_S8_EELb0EEEZNS1_14transform_implILb0ES3_SA_NS6_6detail15normal_iteratorINS6_10device_ptrIS9_EEEEPS9_NS0_8identityIS9_EEEE10hipError_tT2_T3_mT4_P12ihipStream_tbEUlT_E_NS1_11comp_targetILNS1_3genE8ELNS1_11target_archE1030ELNS1_3gpuE2ELNS1_3repE0EEENS1_30default_config_static_selectorELNS0_4arch9wavefront6targetE1EEEvT1_
                                        ; -- End function
	.section	.AMDGPU.csdata,"",@progbits
; Kernel info:
; codeLenInByte = 0
; NumSgprs: 4
; NumVgprs: 0
; NumAgprs: 0
; TotalNumVgprs: 0
; ScratchSize: 0
; MemoryBound: 0
; FloatMode: 240
; IeeeMode: 1
; LDSByteSize: 0 bytes/workgroup (compile time only)
; SGPRBlocks: 0
; VGPRBlocks: 0
; NumSGPRsForWavesPerEU: 4
; NumVGPRsForWavesPerEU: 1
; AccumOffset: 4
; Occupancy: 8
; WaveLimiterHint : 0
; COMPUTE_PGM_RSRC2:SCRATCH_EN: 0
; COMPUTE_PGM_RSRC2:USER_SGPR: 6
; COMPUTE_PGM_RSRC2:TRAP_HANDLER: 0
; COMPUTE_PGM_RSRC2:TGID_X_EN: 1
; COMPUTE_PGM_RSRC2:TGID_Y_EN: 0
; COMPUTE_PGM_RSRC2:TGID_Z_EN: 0
; COMPUTE_PGM_RSRC2:TIDIG_COMP_CNT: 0
; COMPUTE_PGM_RSRC3_GFX90A:ACCUM_OFFSET: 0
; COMPUTE_PGM_RSRC3_GFX90A:TG_SPLIT: 0
	.section	.text._ZN7rocprim17ROCPRIM_400000_NS6detail17trampoline_kernelINS0_14default_configENS1_35radix_sort_onesweep_config_selectorIjN6thrust23THRUST_200600_302600_NS5tupleIffNS6_9null_typeES8_S8_S8_S8_S8_S8_S8_EEEEZZNS1_29radix_sort_onesweep_iterationIS3_Lb0ENS6_6detail15normal_iteratorINS6_10device_ptrIjEEEESG_NSD_INSE_IS9_EEEESI_jNS0_19identity_decomposerENS1_16block_id_wrapperIjLb1EEEEE10hipError_tT1_PNSt15iterator_traitsISN_E10value_typeET2_T3_PNSO_IST_E10value_typeET4_T5_PSY_SZ_PNS1_23onesweep_lookback_stateEbbT6_jjT7_P12ihipStream_tbENKUlT_T0_SN_SS_E_clISG_SG_SI_SI_EEDaS16_S17_SN_SS_EUlS16_E_NS1_11comp_targetILNS1_3genE0ELNS1_11target_archE4294967295ELNS1_3gpuE0ELNS1_3repE0EEENS1_47radix_sort_onesweep_sort_config_static_selectorELNS0_4arch9wavefront6targetE1EEEvSN_,"axG",@progbits,_ZN7rocprim17ROCPRIM_400000_NS6detail17trampoline_kernelINS0_14default_configENS1_35radix_sort_onesweep_config_selectorIjN6thrust23THRUST_200600_302600_NS5tupleIffNS6_9null_typeES8_S8_S8_S8_S8_S8_S8_EEEEZZNS1_29radix_sort_onesweep_iterationIS3_Lb0ENS6_6detail15normal_iteratorINS6_10device_ptrIjEEEESG_NSD_INSE_IS9_EEEESI_jNS0_19identity_decomposerENS1_16block_id_wrapperIjLb1EEEEE10hipError_tT1_PNSt15iterator_traitsISN_E10value_typeET2_T3_PNSO_IST_E10value_typeET4_T5_PSY_SZ_PNS1_23onesweep_lookback_stateEbbT6_jjT7_P12ihipStream_tbENKUlT_T0_SN_SS_E_clISG_SG_SI_SI_EEDaS16_S17_SN_SS_EUlS16_E_NS1_11comp_targetILNS1_3genE0ELNS1_11target_archE4294967295ELNS1_3gpuE0ELNS1_3repE0EEENS1_47radix_sort_onesweep_sort_config_static_selectorELNS0_4arch9wavefront6targetE1EEEvSN_,comdat
	.protected	_ZN7rocprim17ROCPRIM_400000_NS6detail17trampoline_kernelINS0_14default_configENS1_35radix_sort_onesweep_config_selectorIjN6thrust23THRUST_200600_302600_NS5tupleIffNS6_9null_typeES8_S8_S8_S8_S8_S8_S8_EEEEZZNS1_29radix_sort_onesweep_iterationIS3_Lb0ENS6_6detail15normal_iteratorINS6_10device_ptrIjEEEESG_NSD_INSE_IS9_EEEESI_jNS0_19identity_decomposerENS1_16block_id_wrapperIjLb1EEEEE10hipError_tT1_PNSt15iterator_traitsISN_E10value_typeET2_T3_PNSO_IST_E10value_typeET4_T5_PSY_SZ_PNS1_23onesweep_lookback_stateEbbT6_jjT7_P12ihipStream_tbENKUlT_T0_SN_SS_E_clISG_SG_SI_SI_EEDaS16_S17_SN_SS_EUlS16_E_NS1_11comp_targetILNS1_3genE0ELNS1_11target_archE4294967295ELNS1_3gpuE0ELNS1_3repE0EEENS1_47radix_sort_onesweep_sort_config_static_selectorELNS0_4arch9wavefront6targetE1EEEvSN_ ; -- Begin function _ZN7rocprim17ROCPRIM_400000_NS6detail17trampoline_kernelINS0_14default_configENS1_35radix_sort_onesweep_config_selectorIjN6thrust23THRUST_200600_302600_NS5tupleIffNS6_9null_typeES8_S8_S8_S8_S8_S8_S8_EEEEZZNS1_29radix_sort_onesweep_iterationIS3_Lb0ENS6_6detail15normal_iteratorINS6_10device_ptrIjEEEESG_NSD_INSE_IS9_EEEESI_jNS0_19identity_decomposerENS1_16block_id_wrapperIjLb1EEEEE10hipError_tT1_PNSt15iterator_traitsISN_E10value_typeET2_T3_PNSO_IST_E10value_typeET4_T5_PSY_SZ_PNS1_23onesweep_lookback_stateEbbT6_jjT7_P12ihipStream_tbENKUlT_T0_SN_SS_E_clISG_SG_SI_SI_EEDaS16_S17_SN_SS_EUlS16_E_NS1_11comp_targetILNS1_3genE0ELNS1_11target_archE4294967295ELNS1_3gpuE0ELNS1_3repE0EEENS1_47radix_sort_onesweep_sort_config_static_selectorELNS0_4arch9wavefront6targetE1EEEvSN_
	.globl	_ZN7rocprim17ROCPRIM_400000_NS6detail17trampoline_kernelINS0_14default_configENS1_35radix_sort_onesweep_config_selectorIjN6thrust23THRUST_200600_302600_NS5tupleIffNS6_9null_typeES8_S8_S8_S8_S8_S8_S8_EEEEZZNS1_29radix_sort_onesweep_iterationIS3_Lb0ENS6_6detail15normal_iteratorINS6_10device_ptrIjEEEESG_NSD_INSE_IS9_EEEESI_jNS0_19identity_decomposerENS1_16block_id_wrapperIjLb1EEEEE10hipError_tT1_PNSt15iterator_traitsISN_E10value_typeET2_T3_PNSO_IST_E10value_typeET4_T5_PSY_SZ_PNS1_23onesweep_lookback_stateEbbT6_jjT7_P12ihipStream_tbENKUlT_T0_SN_SS_E_clISG_SG_SI_SI_EEDaS16_S17_SN_SS_EUlS16_E_NS1_11comp_targetILNS1_3genE0ELNS1_11target_archE4294967295ELNS1_3gpuE0ELNS1_3repE0EEENS1_47radix_sort_onesweep_sort_config_static_selectorELNS0_4arch9wavefront6targetE1EEEvSN_
	.p2align	8
	.type	_ZN7rocprim17ROCPRIM_400000_NS6detail17trampoline_kernelINS0_14default_configENS1_35radix_sort_onesweep_config_selectorIjN6thrust23THRUST_200600_302600_NS5tupleIffNS6_9null_typeES8_S8_S8_S8_S8_S8_S8_EEEEZZNS1_29radix_sort_onesweep_iterationIS3_Lb0ENS6_6detail15normal_iteratorINS6_10device_ptrIjEEEESG_NSD_INSE_IS9_EEEESI_jNS0_19identity_decomposerENS1_16block_id_wrapperIjLb1EEEEE10hipError_tT1_PNSt15iterator_traitsISN_E10value_typeET2_T3_PNSO_IST_E10value_typeET4_T5_PSY_SZ_PNS1_23onesweep_lookback_stateEbbT6_jjT7_P12ihipStream_tbENKUlT_T0_SN_SS_E_clISG_SG_SI_SI_EEDaS16_S17_SN_SS_EUlS16_E_NS1_11comp_targetILNS1_3genE0ELNS1_11target_archE4294967295ELNS1_3gpuE0ELNS1_3repE0EEENS1_47radix_sort_onesweep_sort_config_static_selectorELNS0_4arch9wavefront6targetE1EEEvSN_,@function
_ZN7rocprim17ROCPRIM_400000_NS6detail17trampoline_kernelINS0_14default_configENS1_35radix_sort_onesweep_config_selectorIjN6thrust23THRUST_200600_302600_NS5tupleIffNS6_9null_typeES8_S8_S8_S8_S8_S8_S8_EEEEZZNS1_29radix_sort_onesweep_iterationIS3_Lb0ENS6_6detail15normal_iteratorINS6_10device_ptrIjEEEESG_NSD_INSE_IS9_EEEESI_jNS0_19identity_decomposerENS1_16block_id_wrapperIjLb1EEEEE10hipError_tT1_PNSt15iterator_traitsISN_E10value_typeET2_T3_PNSO_IST_E10value_typeET4_T5_PSY_SZ_PNS1_23onesweep_lookback_stateEbbT6_jjT7_P12ihipStream_tbENKUlT_T0_SN_SS_E_clISG_SG_SI_SI_EEDaS16_S17_SN_SS_EUlS16_E_NS1_11comp_targetILNS1_3genE0ELNS1_11target_archE4294967295ELNS1_3gpuE0ELNS1_3repE0EEENS1_47radix_sort_onesweep_sort_config_static_selectorELNS0_4arch9wavefront6targetE1EEEvSN_: ; @_ZN7rocprim17ROCPRIM_400000_NS6detail17trampoline_kernelINS0_14default_configENS1_35radix_sort_onesweep_config_selectorIjN6thrust23THRUST_200600_302600_NS5tupleIffNS6_9null_typeES8_S8_S8_S8_S8_S8_S8_EEEEZZNS1_29radix_sort_onesweep_iterationIS3_Lb0ENS6_6detail15normal_iteratorINS6_10device_ptrIjEEEESG_NSD_INSE_IS9_EEEESI_jNS0_19identity_decomposerENS1_16block_id_wrapperIjLb1EEEEE10hipError_tT1_PNSt15iterator_traitsISN_E10value_typeET2_T3_PNSO_IST_E10value_typeET4_T5_PSY_SZ_PNS1_23onesweep_lookback_stateEbbT6_jjT7_P12ihipStream_tbENKUlT_T0_SN_SS_E_clISG_SG_SI_SI_EEDaS16_S17_SN_SS_EUlS16_E_NS1_11comp_targetILNS1_3genE0ELNS1_11target_archE4294967295ELNS1_3gpuE0ELNS1_3repE0EEENS1_47radix_sort_onesweep_sort_config_static_selectorELNS0_4arch9wavefront6targetE1EEEvSN_
; %bb.0:
	.section	.rodata,"a",@progbits
	.p2align	6, 0x0
	.amdhsa_kernel _ZN7rocprim17ROCPRIM_400000_NS6detail17trampoline_kernelINS0_14default_configENS1_35radix_sort_onesweep_config_selectorIjN6thrust23THRUST_200600_302600_NS5tupleIffNS6_9null_typeES8_S8_S8_S8_S8_S8_S8_EEEEZZNS1_29radix_sort_onesweep_iterationIS3_Lb0ENS6_6detail15normal_iteratorINS6_10device_ptrIjEEEESG_NSD_INSE_IS9_EEEESI_jNS0_19identity_decomposerENS1_16block_id_wrapperIjLb1EEEEE10hipError_tT1_PNSt15iterator_traitsISN_E10value_typeET2_T3_PNSO_IST_E10value_typeET4_T5_PSY_SZ_PNS1_23onesweep_lookback_stateEbbT6_jjT7_P12ihipStream_tbENKUlT_T0_SN_SS_E_clISG_SG_SI_SI_EEDaS16_S17_SN_SS_EUlS16_E_NS1_11comp_targetILNS1_3genE0ELNS1_11target_archE4294967295ELNS1_3gpuE0ELNS1_3repE0EEENS1_47radix_sort_onesweep_sort_config_static_selectorELNS0_4arch9wavefront6targetE1EEEvSN_
		.amdhsa_group_segment_fixed_size 0
		.amdhsa_private_segment_fixed_size 0
		.amdhsa_kernarg_size 88
		.amdhsa_user_sgpr_count 6
		.amdhsa_user_sgpr_private_segment_buffer 1
		.amdhsa_user_sgpr_dispatch_ptr 0
		.amdhsa_user_sgpr_queue_ptr 0
		.amdhsa_user_sgpr_kernarg_segment_ptr 1
		.amdhsa_user_sgpr_dispatch_id 0
		.amdhsa_user_sgpr_flat_scratch_init 0
		.amdhsa_user_sgpr_kernarg_preload_length 0
		.amdhsa_user_sgpr_kernarg_preload_offset 0
		.amdhsa_user_sgpr_private_segment_size 0
		.amdhsa_uses_dynamic_stack 0
		.amdhsa_system_sgpr_private_segment_wavefront_offset 0
		.amdhsa_system_sgpr_workgroup_id_x 1
		.amdhsa_system_sgpr_workgroup_id_y 0
		.amdhsa_system_sgpr_workgroup_id_z 0
		.amdhsa_system_sgpr_workgroup_info 0
		.amdhsa_system_vgpr_workitem_id 0
		.amdhsa_next_free_vgpr 1
		.amdhsa_next_free_sgpr 0
		.amdhsa_accum_offset 4
		.amdhsa_reserve_vcc 0
		.amdhsa_reserve_flat_scratch 0
		.amdhsa_float_round_mode_32 0
		.amdhsa_float_round_mode_16_64 0
		.amdhsa_float_denorm_mode_32 3
		.amdhsa_float_denorm_mode_16_64 3
		.amdhsa_dx10_clamp 1
		.amdhsa_ieee_mode 1
		.amdhsa_fp16_overflow 0
		.amdhsa_tg_split 0
		.amdhsa_exception_fp_ieee_invalid_op 0
		.amdhsa_exception_fp_denorm_src 0
		.amdhsa_exception_fp_ieee_div_zero 0
		.amdhsa_exception_fp_ieee_overflow 0
		.amdhsa_exception_fp_ieee_underflow 0
		.amdhsa_exception_fp_ieee_inexact 0
		.amdhsa_exception_int_div_zero 0
	.end_amdhsa_kernel
	.section	.text._ZN7rocprim17ROCPRIM_400000_NS6detail17trampoline_kernelINS0_14default_configENS1_35radix_sort_onesweep_config_selectorIjN6thrust23THRUST_200600_302600_NS5tupleIffNS6_9null_typeES8_S8_S8_S8_S8_S8_S8_EEEEZZNS1_29radix_sort_onesweep_iterationIS3_Lb0ENS6_6detail15normal_iteratorINS6_10device_ptrIjEEEESG_NSD_INSE_IS9_EEEESI_jNS0_19identity_decomposerENS1_16block_id_wrapperIjLb1EEEEE10hipError_tT1_PNSt15iterator_traitsISN_E10value_typeET2_T3_PNSO_IST_E10value_typeET4_T5_PSY_SZ_PNS1_23onesweep_lookback_stateEbbT6_jjT7_P12ihipStream_tbENKUlT_T0_SN_SS_E_clISG_SG_SI_SI_EEDaS16_S17_SN_SS_EUlS16_E_NS1_11comp_targetILNS1_3genE0ELNS1_11target_archE4294967295ELNS1_3gpuE0ELNS1_3repE0EEENS1_47radix_sort_onesweep_sort_config_static_selectorELNS0_4arch9wavefront6targetE1EEEvSN_,"axG",@progbits,_ZN7rocprim17ROCPRIM_400000_NS6detail17trampoline_kernelINS0_14default_configENS1_35radix_sort_onesweep_config_selectorIjN6thrust23THRUST_200600_302600_NS5tupleIffNS6_9null_typeES8_S8_S8_S8_S8_S8_S8_EEEEZZNS1_29radix_sort_onesweep_iterationIS3_Lb0ENS6_6detail15normal_iteratorINS6_10device_ptrIjEEEESG_NSD_INSE_IS9_EEEESI_jNS0_19identity_decomposerENS1_16block_id_wrapperIjLb1EEEEE10hipError_tT1_PNSt15iterator_traitsISN_E10value_typeET2_T3_PNSO_IST_E10value_typeET4_T5_PSY_SZ_PNS1_23onesweep_lookback_stateEbbT6_jjT7_P12ihipStream_tbENKUlT_T0_SN_SS_E_clISG_SG_SI_SI_EEDaS16_S17_SN_SS_EUlS16_E_NS1_11comp_targetILNS1_3genE0ELNS1_11target_archE4294967295ELNS1_3gpuE0ELNS1_3repE0EEENS1_47radix_sort_onesweep_sort_config_static_selectorELNS0_4arch9wavefront6targetE1EEEvSN_,comdat
.Lfunc_end175:
	.size	_ZN7rocprim17ROCPRIM_400000_NS6detail17trampoline_kernelINS0_14default_configENS1_35radix_sort_onesweep_config_selectorIjN6thrust23THRUST_200600_302600_NS5tupleIffNS6_9null_typeES8_S8_S8_S8_S8_S8_S8_EEEEZZNS1_29radix_sort_onesweep_iterationIS3_Lb0ENS6_6detail15normal_iteratorINS6_10device_ptrIjEEEESG_NSD_INSE_IS9_EEEESI_jNS0_19identity_decomposerENS1_16block_id_wrapperIjLb1EEEEE10hipError_tT1_PNSt15iterator_traitsISN_E10value_typeET2_T3_PNSO_IST_E10value_typeET4_T5_PSY_SZ_PNS1_23onesweep_lookback_stateEbbT6_jjT7_P12ihipStream_tbENKUlT_T0_SN_SS_E_clISG_SG_SI_SI_EEDaS16_S17_SN_SS_EUlS16_E_NS1_11comp_targetILNS1_3genE0ELNS1_11target_archE4294967295ELNS1_3gpuE0ELNS1_3repE0EEENS1_47radix_sort_onesweep_sort_config_static_selectorELNS0_4arch9wavefront6targetE1EEEvSN_, .Lfunc_end175-_ZN7rocprim17ROCPRIM_400000_NS6detail17trampoline_kernelINS0_14default_configENS1_35radix_sort_onesweep_config_selectorIjN6thrust23THRUST_200600_302600_NS5tupleIffNS6_9null_typeES8_S8_S8_S8_S8_S8_S8_EEEEZZNS1_29radix_sort_onesweep_iterationIS3_Lb0ENS6_6detail15normal_iteratorINS6_10device_ptrIjEEEESG_NSD_INSE_IS9_EEEESI_jNS0_19identity_decomposerENS1_16block_id_wrapperIjLb1EEEEE10hipError_tT1_PNSt15iterator_traitsISN_E10value_typeET2_T3_PNSO_IST_E10value_typeET4_T5_PSY_SZ_PNS1_23onesweep_lookback_stateEbbT6_jjT7_P12ihipStream_tbENKUlT_T0_SN_SS_E_clISG_SG_SI_SI_EEDaS16_S17_SN_SS_EUlS16_E_NS1_11comp_targetILNS1_3genE0ELNS1_11target_archE4294967295ELNS1_3gpuE0ELNS1_3repE0EEENS1_47radix_sort_onesweep_sort_config_static_selectorELNS0_4arch9wavefront6targetE1EEEvSN_
                                        ; -- End function
	.section	.AMDGPU.csdata,"",@progbits
; Kernel info:
; codeLenInByte = 0
; NumSgprs: 4
; NumVgprs: 0
; NumAgprs: 0
; TotalNumVgprs: 0
; ScratchSize: 0
; MemoryBound: 0
; FloatMode: 240
; IeeeMode: 1
; LDSByteSize: 0 bytes/workgroup (compile time only)
; SGPRBlocks: 0
; VGPRBlocks: 0
; NumSGPRsForWavesPerEU: 4
; NumVGPRsForWavesPerEU: 1
; AccumOffset: 4
; Occupancy: 8
; WaveLimiterHint : 0
; COMPUTE_PGM_RSRC2:SCRATCH_EN: 0
; COMPUTE_PGM_RSRC2:USER_SGPR: 6
; COMPUTE_PGM_RSRC2:TRAP_HANDLER: 0
; COMPUTE_PGM_RSRC2:TGID_X_EN: 1
; COMPUTE_PGM_RSRC2:TGID_Y_EN: 0
; COMPUTE_PGM_RSRC2:TGID_Z_EN: 0
; COMPUTE_PGM_RSRC2:TIDIG_COMP_CNT: 0
; COMPUTE_PGM_RSRC3_GFX90A:ACCUM_OFFSET: 0
; COMPUTE_PGM_RSRC3_GFX90A:TG_SPLIT: 0
	.section	.text._ZN7rocprim17ROCPRIM_400000_NS6detail17trampoline_kernelINS0_14default_configENS1_35radix_sort_onesweep_config_selectorIjN6thrust23THRUST_200600_302600_NS5tupleIffNS6_9null_typeES8_S8_S8_S8_S8_S8_S8_EEEEZZNS1_29radix_sort_onesweep_iterationIS3_Lb0ENS6_6detail15normal_iteratorINS6_10device_ptrIjEEEESG_NSD_INSE_IS9_EEEESI_jNS0_19identity_decomposerENS1_16block_id_wrapperIjLb1EEEEE10hipError_tT1_PNSt15iterator_traitsISN_E10value_typeET2_T3_PNSO_IST_E10value_typeET4_T5_PSY_SZ_PNS1_23onesweep_lookback_stateEbbT6_jjT7_P12ihipStream_tbENKUlT_T0_SN_SS_E_clISG_SG_SI_SI_EEDaS16_S17_SN_SS_EUlS16_E_NS1_11comp_targetILNS1_3genE6ELNS1_11target_archE950ELNS1_3gpuE13ELNS1_3repE0EEENS1_47radix_sort_onesweep_sort_config_static_selectorELNS0_4arch9wavefront6targetE1EEEvSN_,"axG",@progbits,_ZN7rocprim17ROCPRIM_400000_NS6detail17trampoline_kernelINS0_14default_configENS1_35radix_sort_onesweep_config_selectorIjN6thrust23THRUST_200600_302600_NS5tupleIffNS6_9null_typeES8_S8_S8_S8_S8_S8_S8_EEEEZZNS1_29radix_sort_onesweep_iterationIS3_Lb0ENS6_6detail15normal_iteratorINS6_10device_ptrIjEEEESG_NSD_INSE_IS9_EEEESI_jNS0_19identity_decomposerENS1_16block_id_wrapperIjLb1EEEEE10hipError_tT1_PNSt15iterator_traitsISN_E10value_typeET2_T3_PNSO_IST_E10value_typeET4_T5_PSY_SZ_PNS1_23onesweep_lookback_stateEbbT6_jjT7_P12ihipStream_tbENKUlT_T0_SN_SS_E_clISG_SG_SI_SI_EEDaS16_S17_SN_SS_EUlS16_E_NS1_11comp_targetILNS1_3genE6ELNS1_11target_archE950ELNS1_3gpuE13ELNS1_3repE0EEENS1_47radix_sort_onesweep_sort_config_static_selectorELNS0_4arch9wavefront6targetE1EEEvSN_,comdat
	.protected	_ZN7rocprim17ROCPRIM_400000_NS6detail17trampoline_kernelINS0_14default_configENS1_35radix_sort_onesweep_config_selectorIjN6thrust23THRUST_200600_302600_NS5tupleIffNS6_9null_typeES8_S8_S8_S8_S8_S8_S8_EEEEZZNS1_29radix_sort_onesweep_iterationIS3_Lb0ENS6_6detail15normal_iteratorINS6_10device_ptrIjEEEESG_NSD_INSE_IS9_EEEESI_jNS0_19identity_decomposerENS1_16block_id_wrapperIjLb1EEEEE10hipError_tT1_PNSt15iterator_traitsISN_E10value_typeET2_T3_PNSO_IST_E10value_typeET4_T5_PSY_SZ_PNS1_23onesweep_lookback_stateEbbT6_jjT7_P12ihipStream_tbENKUlT_T0_SN_SS_E_clISG_SG_SI_SI_EEDaS16_S17_SN_SS_EUlS16_E_NS1_11comp_targetILNS1_3genE6ELNS1_11target_archE950ELNS1_3gpuE13ELNS1_3repE0EEENS1_47radix_sort_onesweep_sort_config_static_selectorELNS0_4arch9wavefront6targetE1EEEvSN_ ; -- Begin function _ZN7rocprim17ROCPRIM_400000_NS6detail17trampoline_kernelINS0_14default_configENS1_35radix_sort_onesweep_config_selectorIjN6thrust23THRUST_200600_302600_NS5tupleIffNS6_9null_typeES8_S8_S8_S8_S8_S8_S8_EEEEZZNS1_29radix_sort_onesweep_iterationIS3_Lb0ENS6_6detail15normal_iteratorINS6_10device_ptrIjEEEESG_NSD_INSE_IS9_EEEESI_jNS0_19identity_decomposerENS1_16block_id_wrapperIjLb1EEEEE10hipError_tT1_PNSt15iterator_traitsISN_E10value_typeET2_T3_PNSO_IST_E10value_typeET4_T5_PSY_SZ_PNS1_23onesweep_lookback_stateEbbT6_jjT7_P12ihipStream_tbENKUlT_T0_SN_SS_E_clISG_SG_SI_SI_EEDaS16_S17_SN_SS_EUlS16_E_NS1_11comp_targetILNS1_3genE6ELNS1_11target_archE950ELNS1_3gpuE13ELNS1_3repE0EEENS1_47radix_sort_onesweep_sort_config_static_selectorELNS0_4arch9wavefront6targetE1EEEvSN_
	.globl	_ZN7rocprim17ROCPRIM_400000_NS6detail17trampoline_kernelINS0_14default_configENS1_35radix_sort_onesweep_config_selectorIjN6thrust23THRUST_200600_302600_NS5tupleIffNS6_9null_typeES8_S8_S8_S8_S8_S8_S8_EEEEZZNS1_29radix_sort_onesweep_iterationIS3_Lb0ENS6_6detail15normal_iteratorINS6_10device_ptrIjEEEESG_NSD_INSE_IS9_EEEESI_jNS0_19identity_decomposerENS1_16block_id_wrapperIjLb1EEEEE10hipError_tT1_PNSt15iterator_traitsISN_E10value_typeET2_T3_PNSO_IST_E10value_typeET4_T5_PSY_SZ_PNS1_23onesweep_lookback_stateEbbT6_jjT7_P12ihipStream_tbENKUlT_T0_SN_SS_E_clISG_SG_SI_SI_EEDaS16_S17_SN_SS_EUlS16_E_NS1_11comp_targetILNS1_3genE6ELNS1_11target_archE950ELNS1_3gpuE13ELNS1_3repE0EEENS1_47radix_sort_onesweep_sort_config_static_selectorELNS0_4arch9wavefront6targetE1EEEvSN_
	.p2align	8
	.type	_ZN7rocprim17ROCPRIM_400000_NS6detail17trampoline_kernelINS0_14default_configENS1_35radix_sort_onesweep_config_selectorIjN6thrust23THRUST_200600_302600_NS5tupleIffNS6_9null_typeES8_S8_S8_S8_S8_S8_S8_EEEEZZNS1_29radix_sort_onesweep_iterationIS3_Lb0ENS6_6detail15normal_iteratorINS6_10device_ptrIjEEEESG_NSD_INSE_IS9_EEEESI_jNS0_19identity_decomposerENS1_16block_id_wrapperIjLb1EEEEE10hipError_tT1_PNSt15iterator_traitsISN_E10value_typeET2_T3_PNSO_IST_E10value_typeET4_T5_PSY_SZ_PNS1_23onesweep_lookback_stateEbbT6_jjT7_P12ihipStream_tbENKUlT_T0_SN_SS_E_clISG_SG_SI_SI_EEDaS16_S17_SN_SS_EUlS16_E_NS1_11comp_targetILNS1_3genE6ELNS1_11target_archE950ELNS1_3gpuE13ELNS1_3repE0EEENS1_47radix_sort_onesweep_sort_config_static_selectorELNS0_4arch9wavefront6targetE1EEEvSN_,@function
_ZN7rocprim17ROCPRIM_400000_NS6detail17trampoline_kernelINS0_14default_configENS1_35radix_sort_onesweep_config_selectorIjN6thrust23THRUST_200600_302600_NS5tupleIffNS6_9null_typeES8_S8_S8_S8_S8_S8_S8_EEEEZZNS1_29radix_sort_onesweep_iterationIS3_Lb0ENS6_6detail15normal_iteratorINS6_10device_ptrIjEEEESG_NSD_INSE_IS9_EEEESI_jNS0_19identity_decomposerENS1_16block_id_wrapperIjLb1EEEEE10hipError_tT1_PNSt15iterator_traitsISN_E10value_typeET2_T3_PNSO_IST_E10value_typeET4_T5_PSY_SZ_PNS1_23onesweep_lookback_stateEbbT6_jjT7_P12ihipStream_tbENKUlT_T0_SN_SS_E_clISG_SG_SI_SI_EEDaS16_S17_SN_SS_EUlS16_E_NS1_11comp_targetILNS1_3genE6ELNS1_11target_archE950ELNS1_3gpuE13ELNS1_3repE0EEENS1_47radix_sort_onesweep_sort_config_static_selectorELNS0_4arch9wavefront6targetE1EEEvSN_: ; @_ZN7rocprim17ROCPRIM_400000_NS6detail17trampoline_kernelINS0_14default_configENS1_35radix_sort_onesweep_config_selectorIjN6thrust23THRUST_200600_302600_NS5tupleIffNS6_9null_typeES8_S8_S8_S8_S8_S8_S8_EEEEZZNS1_29radix_sort_onesweep_iterationIS3_Lb0ENS6_6detail15normal_iteratorINS6_10device_ptrIjEEEESG_NSD_INSE_IS9_EEEESI_jNS0_19identity_decomposerENS1_16block_id_wrapperIjLb1EEEEE10hipError_tT1_PNSt15iterator_traitsISN_E10value_typeET2_T3_PNSO_IST_E10value_typeET4_T5_PSY_SZ_PNS1_23onesweep_lookback_stateEbbT6_jjT7_P12ihipStream_tbENKUlT_T0_SN_SS_E_clISG_SG_SI_SI_EEDaS16_S17_SN_SS_EUlS16_E_NS1_11comp_targetILNS1_3genE6ELNS1_11target_archE950ELNS1_3gpuE13ELNS1_3repE0EEENS1_47radix_sort_onesweep_sort_config_static_selectorELNS0_4arch9wavefront6targetE1EEEvSN_
; %bb.0:
	.section	.rodata,"a",@progbits
	.p2align	6, 0x0
	.amdhsa_kernel _ZN7rocprim17ROCPRIM_400000_NS6detail17trampoline_kernelINS0_14default_configENS1_35radix_sort_onesweep_config_selectorIjN6thrust23THRUST_200600_302600_NS5tupleIffNS6_9null_typeES8_S8_S8_S8_S8_S8_S8_EEEEZZNS1_29radix_sort_onesweep_iterationIS3_Lb0ENS6_6detail15normal_iteratorINS6_10device_ptrIjEEEESG_NSD_INSE_IS9_EEEESI_jNS0_19identity_decomposerENS1_16block_id_wrapperIjLb1EEEEE10hipError_tT1_PNSt15iterator_traitsISN_E10value_typeET2_T3_PNSO_IST_E10value_typeET4_T5_PSY_SZ_PNS1_23onesweep_lookback_stateEbbT6_jjT7_P12ihipStream_tbENKUlT_T0_SN_SS_E_clISG_SG_SI_SI_EEDaS16_S17_SN_SS_EUlS16_E_NS1_11comp_targetILNS1_3genE6ELNS1_11target_archE950ELNS1_3gpuE13ELNS1_3repE0EEENS1_47radix_sort_onesweep_sort_config_static_selectorELNS0_4arch9wavefront6targetE1EEEvSN_
		.amdhsa_group_segment_fixed_size 0
		.amdhsa_private_segment_fixed_size 0
		.amdhsa_kernarg_size 88
		.amdhsa_user_sgpr_count 6
		.amdhsa_user_sgpr_private_segment_buffer 1
		.amdhsa_user_sgpr_dispatch_ptr 0
		.amdhsa_user_sgpr_queue_ptr 0
		.amdhsa_user_sgpr_kernarg_segment_ptr 1
		.amdhsa_user_sgpr_dispatch_id 0
		.amdhsa_user_sgpr_flat_scratch_init 0
		.amdhsa_user_sgpr_kernarg_preload_length 0
		.amdhsa_user_sgpr_kernarg_preload_offset 0
		.amdhsa_user_sgpr_private_segment_size 0
		.amdhsa_uses_dynamic_stack 0
		.amdhsa_system_sgpr_private_segment_wavefront_offset 0
		.amdhsa_system_sgpr_workgroup_id_x 1
		.amdhsa_system_sgpr_workgroup_id_y 0
		.amdhsa_system_sgpr_workgroup_id_z 0
		.amdhsa_system_sgpr_workgroup_info 0
		.amdhsa_system_vgpr_workitem_id 0
		.amdhsa_next_free_vgpr 1
		.amdhsa_next_free_sgpr 0
		.amdhsa_accum_offset 4
		.amdhsa_reserve_vcc 0
		.amdhsa_reserve_flat_scratch 0
		.amdhsa_float_round_mode_32 0
		.amdhsa_float_round_mode_16_64 0
		.amdhsa_float_denorm_mode_32 3
		.amdhsa_float_denorm_mode_16_64 3
		.amdhsa_dx10_clamp 1
		.amdhsa_ieee_mode 1
		.amdhsa_fp16_overflow 0
		.amdhsa_tg_split 0
		.amdhsa_exception_fp_ieee_invalid_op 0
		.amdhsa_exception_fp_denorm_src 0
		.amdhsa_exception_fp_ieee_div_zero 0
		.amdhsa_exception_fp_ieee_overflow 0
		.amdhsa_exception_fp_ieee_underflow 0
		.amdhsa_exception_fp_ieee_inexact 0
		.amdhsa_exception_int_div_zero 0
	.end_amdhsa_kernel
	.section	.text._ZN7rocprim17ROCPRIM_400000_NS6detail17trampoline_kernelINS0_14default_configENS1_35radix_sort_onesweep_config_selectorIjN6thrust23THRUST_200600_302600_NS5tupleIffNS6_9null_typeES8_S8_S8_S8_S8_S8_S8_EEEEZZNS1_29radix_sort_onesweep_iterationIS3_Lb0ENS6_6detail15normal_iteratorINS6_10device_ptrIjEEEESG_NSD_INSE_IS9_EEEESI_jNS0_19identity_decomposerENS1_16block_id_wrapperIjLb1EEEEE10hipError_tT1_PNSt15iterator_traitsISN_E10value_typeET2_T3_PNSO_IST_E10value_typeET4_T5_PSY_SZ_PNS1_23onesweep_lookback_stateEbbT6_jjT7_P12ihipStream_tbENKUlT_T0_SN_SS_E_clISG_SG_SI_SI_EEDaS16_S17_SN_SS_EUlS16_E_NS1_11comp_targetILNS1_3genE6ELNS1_11target_archE950ELNS1_3gpuE13ELNS1_3repE0EEENS1_47radix_sort_onesweep_sort_config_static_selectorELNS0_4arch9wavefront6targetE1EEEvSN_,"axG",@progbits,_ZN7rocprim17ROCPRIM_400000_NS6detail17trampoline_kernelINS0_14default_configENS1_35radix_sort_onesweep_config_selectorIjN6thrust23THRUST_200600_302600_NS5tupleIffNS6_9null_typeES8_S8_S8_S8_S8_S8_S8_EEEEZZNS1_29radix_sort_onesweep_iterationIS3_Lb0ENS6_6detail15normal_iteratorINS6_10device_ptrIjEEEESG_NSD_INSE_IS9_EEEESI_jNS0_19identity_decomposerENS1_16block_id_wrapperIjLb1EEEEE10hipError_tT1_PNSt15iterator_traitsISN_E10value_typeET2_T3_PNSO_IST_E10value_typeET4_T5_PSY_SZ_PNS1_23onesweep_lookback_stateEbbT6_jjT7_P12ihipStream_tbENKUlT_T0_SN_SS_E_clISG_SG_SI_SI_EEDaS16_S17_SN_SS_EUlS16_E_NS1_11comp_targetILNS1_3genE6ELNS1_11target_archE950ELNS1_3gpuE13ELNS1_3repE0EEENS1_47radix_sort_onesweep_sort_config_static_selectorELNS0_4arch9wavefront6targetE1EEEvSN_,comdat
.Lfunc_end176:
	.size	_ZN7rocprim17ROCPRIM_400000_NS6detail17trampoline_kernelINS0_14default_configENS1_35radix_sort_onesweep_config_selectorIjN6thrust23THRUST_200600_302600_NS5tupleIffNS6_9null_typeES8_S8_S8_S8_S8_S8_S8_EEEEZZNS1_29radix_sort_onesweep_iterationIS3_Lb0ENS6_6detail15normal_iteratorINS6_10device_ptrIjEEEESG_NSD_INSE_IS9_EEEESI_jNS0_19identity_decomposerENS1_16block_id_wrapperIjLb1EEEEE10hipError_tT1_PNSt15iterator_traitsISN_E10value_typeET2_T3_PNSO_IST_E10value_typeET4_T5_PSY_SZ_PNS1_23onesweep_lookback_stateEbbT6_jjT7_P12ihipStream_tbENKUlT_T0_SN_SS_E_clISG_SG_SI_SI_EEDaS16_S17_SN_SS_EUlS16_E_NS1_11comp_targetILNS1_3genE6ELNS1_11target_archE950ELNS1_3gpuE13ELNS1_3repE0EEENS1_47radix_sort_onesweep_sort_config_static_selectorELNS0_4arch9wavefront6targetE1EEEvSN_, .Lfunc_end176-_ZN7rocprim17ROCPRIM_400000_NS6detail17trampoline_kernelINS0_14default_configENS1_35radix_sort_onesweep_config_selectorIjN6thrust23THRUST_200600_302600_NS5tupleIffNS6_9null_typeES8_S8_S8_S8_S8_S8_S8_EEEEZZNS1_29radix_sort_onesweep_iterationIS3_Lb0ENS6_6detail15normal_iteratorINS6_10device_ptrIjEEEESG_NSD_INSE_IS9_EEEESI_jNS0_19identity_decomposerENS1_16block_id_wrapperIjLb1EEEEE10hipError_tT1_PNSt15iterator_traitsISN_E10value_typeET2_T3_PNSO_IST_E10value_typeET4_T5_PSY_SZ_PNS1_23onesweep_lookback_stateEbbT6_jjT7_P12ihipStream_tbENKUlT_T0_SN_SS_E_clISG_SG_SI_SI_EEDaS16_S17_SN_SS_EUlS16_E_NS1_11comp_targetILNS1_3genE6ELNS1_11target_archE950ELNS1_3gpuE13ELNS1_3repE0EEENS1_47radix_sort_onesweep_sort_config_static_selectorELNS0_4arch9wavefront6targetE1EEEvSN_
                                        ; -- End function
	.section	.AMDGPU.csdata,"",@progbits
; Kernel info:
; codeLenInByte = 0
; NumSgprs: 4
; NumVgprs: 0
; NumAgprs: 0
; TotalNumVgprs: 0
; ScratchSize: 0
; MemoryBound: 0
; FloatMode: 240
; IeeeMode: 1
; LDSByteSize: 0 bytes/workgroup (compile time only)
; SGPRBlocks: 0
; VGPRBlocks: 0
; NumSGPRsForWavesPerEU: 4
; NumVGPRsForWavesPerEU: 1
; AccumOffset: 4
; Occupancy: 8
; WaveLimiterHint : 0
; COMPUTE_PGM_RSRC2:SCRATCH_EN: 0
; COMPUTE_PGM_RSRC2:USER_SGPR: 6
; COMPUTE_PGM_RSRC2:TRAP_HANDLER: 0
; COMPUTE_PGM_RSRC2:TGID_X_EN: 1
; COMPUTE_PGM_RSRC2:TGID_Y_EN: 0
; COMPUTE_PGM_RSRC2:TGID_Z_EN: 0
; COMPUTE_PGM_RSRC2:TIDIG_COMP_CNT: 0
; COMPUTE_PGM_RSRC3_GFX90A:ACCUM_OFFSET: 0
; COMPUTE_PGM_RSRC3_GFX90A:TG_SPLIT: 0
	.section	.text._ZN7rocprim17ROCPRIM_400000_NS6detail17trampoline_kernelINS0_14default_configENS1_35radix_sort_onesweep_config_selectorIjN6thrust23THRUST_200600_302600_NS5tupleIffNS6_9null_typeES8_S8_S8_S8_S8_S8_S8_EEEEZZNS1_29radix_sort_onesweep_iterationIS3_Lb0ENS6_6detail15normal_iteratorINS6_10device_ptrIjEEEESG_NSD_INSE_IS9_EEEESI_jNS0_19identity_decomposerENS1_16block_id_wrapperIjLb1EEEEE10hipError_tT1_PNSt15iterator_traitsISN_E10value_typeET2_T3_PNSO_IST_E10value_typeET4_T5_PSY_SZ_PNS1_23onesweep_lookback_stateEbbT6_jjT7_P12ihipStream_tbENKUlT_T0_SN_SS_E_clISG_SG_SI_SI_EEDaS16_S17_SN_SS_EUlS16_E_NS1_11comp_targetILNS1_3genE5ELNS1_11target_archE942ELNS1_3gpuE9ELNS1_3repE0EEENS1_47radix_sort_onesweep_sort_config_static_selectorELNS0_4arch9wavefront6targetE1EEEvSN_,"axG",@progbits,_ZN7rocprim17ROCPRIM_400000_NS6detail17trampoline_kernelINS0_14default_configENS1_35radix_sort_onesweep_config_selectorIjN6thrust23THRUST_200600_302600_NS5tupleIffNS6_9null_typeES8_S8_S8_S8_S8_S8_S8_EEEEZZNS1_29radix_sort_onesweep_iterationIS3_Lb0ENS6_6detail15normal_iteratorINS6_10device_ptrIjEEEESG_NSD_INSE_IS9_EEEESI_jNS0_19identity_decomposerENS1_16block_id_wrapperIjLb1EEEEE10hipError_tT1_PNSt15iterator_traitsISN_E10value_typeET2_T3_PNSO_IST_E10value_typeET4_T5_PSY_SZ_PNS1_23onesweep_lookback_stateEbbT6_jjT7_P12ihipStream_tbENKUlT_T0_SN_SS_E_clISG_SG_SI_SI_EEDaS16_S17_SN_SS_EUlS16_E_NS1_11comp_targetILNS1_3genE5ELNS1_11target_archE942ELNS1_3gpuE9ELNS1_3repE0EEENS1_47radix_sort_onesweep_sort_config_static_selectorELNS0_4arch9wavefront6targetE1EEEvSN_,comdat
	.protected	_ZN7rocprim17ROCPRIM_400000_NS6detail17trampoline_kernelINS0_14default_configENS1_35radix_sort_onesweep_config_selectorIjN6thrust23THRUST_200600_302600_NS5tupleIffNS6_9null_typeES8_S8_S8_S8_S8_S8_S8_EEEEZZNS1_29radix_sort_onesweep_iterationIS3_Lb0ENS6_6detail15normal_iteratorINS6_10device_ptrIjEEEESG_NSD_INSE_IS9_EEEESI_jNS0_19identity_decomposerENS1_16block_id_wrapperIjLb1EEEEE10hipError_tT1_PNSt15iterator_traitsISN_E10value_typeET2_T3_PNSO_IST_E10value_typeET4_T5_PSY_SZ_PNS1_23onesweep_lookback_stateEbbT6_jjT7_P12ihipStream_tbENKUlT_T0_SN_SS_E_clISG_SG_SI_SI_EEDaS16_S17_SN_SS_EUlS16_E_NS1_11comp_targetILNS1_3genE5ELNS1_11target_archE942ELNS1_3gpuE9ELNS1_3repE0EEENS1_47radix_sort_onesweep_sort_config_static_selectorELNS0_4arch9wavefront6targetE1EEEvSN_ ; -- Begin function _ZN7rocprim17ROCPRIM_400000_NS6detail17trampoline_kernelINS0_14default_configENS1_35radix_sort_onesweep_config_selectorIjN6thrust23THRUST_200600_302600_NS5tupleIffNS6_9null_typeES8_S8_S8_S8_S8_S8_S8_EEEEZZNS1_29radix_sort_onesweep_iterationIS3_Lb0ENS6_6detail15normal_iteratorINS6_10device_ptrIjEEEESG_NSD_INSE_IS9_EEEESI_jNS0_19identity_decomposerENS1_16block_id_wrapperIjLb1EEEEE10hipError_tT1_PNSt15iterator_traitsISN_E10value_typeET2_T3_PNSO_IST_E10value_typeET4_T5_PSY_SZ_PNS1_23onesweep_lookback_stateEbbT6_jjT7_P12ihipStream_tbENKUlT_T0_SN_SS_E_clISG_SG_SI_SI_EEDaS16_S17_SN_SS_EUlS16_E_NS1_11comp_targetILNS1_3genE5ELNS1_11target_archE942ELNS1_3gpuE9ELNS1_3repE0EEENS1_47radix_sort_onesweep_sort_config_static_selectorELNS0_4arch9wavefront6targetE1EEEvSN_
	.globl	_ZN7rocprim17ROCPRIM_400000_NS6detail17trampoline_kernelINS0_14default_configENS1_35radix_sort_onesweep_config_selectorIjN6thrust23THRUST_200600_302600_NS5tupleIffNS6_9null_typeES8_S8_S8_S8_S8_S8_S8_EEEEZZNS1_29radix_sort_onesweep_iterationIS3_Lb0ENS6_6detail15normal_iteratorINS6_10device_ptrIjEEEESG_NSD_INSE_IS9_EEEESI_jNS0_19identity_decomposerENS1_16block_id_wrapperIjLb1EEEEE10hipError_tT1_PNSt15iterator_traitsISN_E10value_typeET2_T3_PNSO_IST_E10value_typeET4_T5_PSY_SZ_PNS1_23onesweep_lookback_stateEbbT6_jjT7_P12ihipStream_tbENKUlT_T0_SN_SS_E_clISG_SG_SI_SI_EEDaS16_S17_SN_SS_EUlS16_E_NS1_11comp_targetILNS1_3genE5ELNS1_11target_archE942ELNS1_3gpuE9ELNS1_3repE0EEENS1_47radix_sort_onesweep_sort_config_static_selectorELNS0_4arch9wavefront6targetE1EEEvSN_
	.p2align	8
	.type	_ZN7rocprim17ROCPRIM_400000_NS6detail17trampoline_kernelINS0_14default_configENS1_35radix_sort_onesweep_config_selectorIjN6thrust23THRUST_200600_302600_NS5tupleIffNS6_9null_typeES8_S8_S8_S8_S8_S8_S8_EEEEZZNS1_29radix_sort_onesweep_iterationIS3_Lb0ENS6_6detail15normal_iteratorINS6_10device_ptrIjEEEESG_NSD_INSE_IS9_EEEESI_jNS0_19identity_decomposerENS1_16block_id_wrapperIjLb1EEEEE10hipError_tT1_PNSt15iterator_traitsISN_E10value_typeET2_T3_PNSO_IST_E10value_typeET4_T5_PSY_SZ_PNS1_23onesweep_lookback_stateEbbT6_jjT7_P12ihipStream_tbENKUlT_T0_SN_SS_E_clISG_SG_SI_SI_EEDaS16_S17_SN_SS_EUlS16_E_NS1_11comp_targetILNS1_3genE5ELNS1_11target_archE942ELNS1_3gpuE9ELNS1_3repE0EEENS1_47radix_sort_onesweep_sort_config_static_selectorELNS0_4arch9wavefront6targetE1EEEvSN_,@function
_ZN7rocprim17ROCPRIM_400000_NS6detail17trampoline_kernelINS0_14default_configENS1_35radix_sort_onesweep_config_selectorIjN6thrust23THRUST_200600_302600_NS5tupleIffNS6_9null_typeES8_S8_S8_S8_S8_S8_S8_EEEEZZNS1_29radix_sort_onesweep_iterationIS3_Lb0ENS6_6detail15normal_iteratorINS6_10device_ptrIjEEEESG_NSD_INSE_IS9_EEEESI_jNS0_19identity_decomposerENS1_16block_id_wrapperIjLb1EEEEE10hipError_tT1_PNSt15iterator_traitsISN_E10value_typeET2_T3_PNSO_IST_E10value_typeET4_T5_PSY_SZ_PNS1_23onesweep_lookback_stateEbbT6_jjT7_P12ihipStream_tbENKUlT_T0_SN_SS_E_clISG_SG_SI_SI_EEDaS16_S17_SN_SS_EUlS16_E_NS1_11comp_targetILNS1_3genE5ELNS1_11target_archE942ELNS1_3gpuE9ELNS1_3repE0EEENS1_47radix_sort_onesweep_sort_config_static_selectorELNS0_4arch9wavefront6targetE1EEEvSN_: ; @_ZN7rocprim17ROCPRIM_400000_NS6detail17trampoline_kernelINS0_14default_configENS1_35radix_sort_onesweep_config_selectorIjN6thrust23THRUST_200600_302600_NS5tupleIffNS6_9null_typeES8_S8_S8_S8_S8_S8_S8_EEEEZZNS1_29radix_sort_onesweep_iterationIS3_Lb0ENS6_6detail15normal_iteratorINS6_10device_ptrIjEEEESG_NSD_INSE_IS9_EEEESI_jNS0_19identity_decomposerENS1_16block_id_wrapperIjLb1EEEEE10hipError_tT1_PNSt15iterator_traitsISN_E10value_typeET2_T3_PNSO_IST_E10value_typeET4_T5_PSY_SZ_PNS1_23onesweep_lookback_stateEbbT6_jjT7_P12ihipStream_tbENKUlT_T0_SN_SS_E_clISG_SG_SI_SI_EEDaS16_S17_SN_SS_EUlS16_E_NS1_11comp_targetILNS1_3genE5ELNS1_11target_archE942ELNS1_3gpuE9ELNS1_3repE0EEENS1_47radix_sort_onesweep_sort_config_static_selectorELNS0_4arch9wavefront6targetE1EEEvSN_
; %bb.0:
	.section	.rodata,"a",@progbits
	.p2align	6, 0x0
	.amdhsa_kernel _ZN7rocprim17ROCPRIM_400000_NS6detail17trampoline_kernelINS0_14default_configENS1_35radix_sort_onesweep_config_selectorIjN6thrust23THRUST_200600_302600_NS5tupleIffNS6_9null_typeES8_S8_S8_S8_S8_S8_S8_EEEEZZNS1_29radix_sort_onesweep_iterationIS3_Lb0ENS6_6detail15normal_iteratorINS6_10device_ptrIjEEEESG_NSD_INSE_IS9_EEEESI_jNS0_19identity_decomposerENS1_16block_id_wrapperIjLb1EEEEE10hipError_tT1_PNSt15iterator_traitsISN_E10value_typeET2_T3_PNSO_IST_E10value_typeET4_T5_PSY_SZ_PNS1_23onesweep_lookback_stateEbbT6_jjT7_P12ihipStream_tbENKUlT_T0_SN_SS_E_clISG_SG_SI_SI_EEDaS16_S17_SN_SS_EUlS16_E_NS1_11comp_targetILNS1_3genE5ELNS1_11target_archE942ELNS1_3gpuE9ELNS1_3repE0EEENS1_47radix_sort_onesweep_sort_config_static_selectorELNS0_4arch9wavefront6targetE1EEEvSN_
		.amdhsa_group_segment_fixed_size 0
		.amdhsa_private_segment_fixed_size 0
		.amdhsa_kernarg_size 88
		.amdhsa_user_sgpr_count 6
		.amdhsa_user_sgpr_private_segment_buffer 1
		.amdhsa_user_sgpr_dispatch_ptr 0
		.amdhsa_user_sgpr_queue_ptr 0
		.amdhsa_user_sgpr_kernarg_segment_ptr 1
		.amdhsa_user_sgpr_dispatch_id 0
		.amdhsa_user_sgpr_flat_scratch_init 0
		.amdhsa_user_sgpr_kernarg_preload_length 0
		.amdhsa_user_sgpr_kernarg_preload_offset 0
		.amdhsa_user_sgpr_private_segment_size 0
		.amdhsa_uses_dynamic_stack 0
		.amdhsa_system_sgpr_private_segment_wavefront_offset 0
		.amdhsa_system_sgpr_workgroup_id_x 1
		.amdhsa_system_sgpr_workgroup_id_y 0
		.amdhsa_system_sgpr_workgroup_id_z 0
		.amdhsa_system_sgpr_workgroup_info 0
		.amdhsa_system_vgpr_workitem_id 0
		.amdhsa_next_free_vgpr 1
		.amdhsa_next_free_sgpr 0
		.amdhsa_accum_offset 4
		.amdhsa_reserve_vcc 0
		.amdhsa_reserve_flat_scratch 0
		.amdhsa_float_round_mode_32 0
		.amdhsa_float_round_mode_16_64 0
		.amdhsa_float_denorm_mode_32 3
		.amdhsa_float_denorm_mode_16_64 3
		.amdhsa_dx10_clamp 1
		.amdhsa_ieee_mode 1
		.amdhsa_fp16_overflow 0
		.amdhsa_tg_split 0
		.amdhsa_exception_fp_ieee_invalid_op 0
		.amdhsa_exception_fp_denorm_src 0
		.amdhsa_exception_fp_ieee_div_zero 0
		.amdhsa_exception_fp_ieee_overflow 0
		.amdhsa_exception_fp_ieee_underflow 0
		.amdhsa_exception_fp_ieee_inexact 0
		.amdhsa_exception_int_div_zero 0
	.end_amdhsa_kernel
	.section	.text._ZN7rocprim17ROCPRIM_400000_NS6detail17trampoline_kernelINS0_14default_configENS1_35radix_sort_onesweep_config_selectorIjN6thrust23THRUST_200600_302600_NS5tupleIffNS6_9null_typeES8_S8_S8_S8_S8_S8_S8_EEEEZZNS1_29radix_sort_onesweep_iterationIS3_Lb0ENS6_6detail15normal_iteratorINS6_10device_ptrIjEEEESG_NSD_INSE_IS9_EEEESI_jNS0_19identity_decomposerENS1_16block_id_wrapperIjLb1EEEEE10hipError_tT1_PNSt15iterator_traitsISN_E10value_typeET2_T3_PNSO_IST_E10value_typeET4_T5_PSY_SZ_PNS1_23onesweep_lookback_stateEbbT6_jjT7_P12ihipStream_tbENKUlT_T0_SN_SS_E_clISG_SG_SI_SI_EEDaS16_S17_SN_SS_EUlS16_E_NS1_11comp_targetILNS1_3genE5ELNS1_11target_archE942ELNS1_3gpuE9ELNS1_3repE0EEENS1_47radix_sort_onesweep_sort_config_static_selectorELNS0_4arch9wavefront6targetE1EEEvSN_,"axG",@progbits,_ZN7rocprim17ROCPRIM_400000_NS6detail17trampoline_kernelINS0_14default_configENS1_35radix_sort_onesweep_config_selectorIjN6thrust23THRUST_200600_302600_NS5tupleIffNS6_9null_typeES8_S8_S8_S8_S8_S8_S8_EEEEZZNS1_29radix_sort_onesweep_iterationIS3_Lb0ENS6_6detail15normal_iteratorINS6_10device_ptrIjEEEESG_NSD_INSE_IS9_EEEESI_jNS0_19identity_decomposerENS1_16block_id_wrapperIjLb1EEEEE10hipError_tT1_PNSt15iterator_traitsISN_E10value_typeET2_T3_PNSO_IST_E10value_typeET4_T5_PSY_SZ_PNS1_23onesweep_lookback_stateEbbT6_jjT7_P12ihipStream_tbENKUlT_T0_SN_SS_E_clISG_SG_SI_SI_EEDaS16_S17_SN_SS_EUlS16_E_NS1_11comp_targetILNS1_3genE5ELNS1_11target_archE942ELNS1_3gpuE9ELNS1_3repE0EEENS1_47radix_sort_onesweep_sort_config_static_selectorELNS0_4arch9wavefront6targetE1EEEvSN_,comdat
.Lfunc_end177:
	.size	_ZN7rocprim17ROCPRIM_400000_NS6detail17trampoline_kernelINS0_14default_configENS1_35radix_sort_onesweep_config_selectorIjN6thrust23THRUST_200600_302600_NS5tupleIffNS6_9null_typeES8_S8_S8_S8_S8_S8_S8_EEEEZZNS1_29radix_sort_onesweep_iterationIS3_Lb0ENS6_6detail15normal_iteratorINS6_10device_ptrIjEEEESG_NSD_INSE_IS9_EEEESI_jNS0_19identity_decomposerENS1_16block_id_wrapperIjLb1EEEEE10hipError_tT1_PNSt15iterator_traitsISN_E10value_typeET2_T3_PNSO_IST_E10value_typeET4_T5_PSY_SZ_PNS1_23onesweep_lookback_stateEbbT6_jjT7_P12ihipStream_tbENKUlT_T0_SN_SS_E_clISG_SG_SI_SI_EEDaS16_S17_SN_SS_EUlS16_E_NS1_11comp_targetILNS1_3genE5ELNS1_11target_archE942ELNS1_3gpuE9ELNS1_3repE0EEENS1_47radix_sort_onesweep_sort_config_static_selectorELNS0_4arch9wavefront6targetE1EEEvSN_, .Lfunc_end177-_ZN7rocprim17ROCPRIM_400000_NS6detail17trampoline_kernelINS0_14default_configENS1_35radix_sort_onesweep_config_selectorIjN6thrust23THRUST_200600_302600_NS5tupleIffNS6_9null_typeES8_S8_S8_S8_S8_S8_S8_EEEEZZNS1_29radix_sort_onesweep_iterationIS3_Lb0ENS6_6detail15normal_iteratorINS6_10device_ptrIjEEEESG_NSD_INSE_IS9_EEEESI_jNS0_19identity_decomposerENS1_16block_id_wrapperIjLb1EEEEE10hipError_tT1_PNSt15iterator_traitsISN_E10value_typeET2_T3_PNSO_IST_E10value_typeET4_T5_PSY_SZ_PNS1_23onesweep_lookback_stateEbbT6_jjT7_P12ihipStream_tbENKUlT_T0_SN_SS_E_clISG_SG_SI_SI_EEDaS16_S17_SN_SS_EUlS16_E_NS1_11comp_targetILNS1_3genE5ELNS1_11target_archE942ELNS1_3gpuE9ELNS1_3repE0EEENS1_47radix_sort_onesweep_sort_config_static_selectorELNS0_4arch9wavefront6targetE1EEEvSN_
                                        ; -- End function
	.section	.AMDGPU.csdata,"",@progbits
; Kernel info:
; codeLenInByte = 0
; NumSgprs: 4
; NumVgprs: 0
; NumAgprs: 0
; TotalNumVgprs: 0
; ScratchSize: 0
; MemoryBound: 0
; FloatMode: 240
; IeeeMode: 1
; LDSByteSize: 0 bytes/workgroup (compile time only)
; SGPRBlocks: 0
; VGPRBlocks: 0
; NumSGPRsForWavesPerEU: 4
; NumVGPRsForWavesPerEU: 1
; AccumOffset: 4
; Occupancy: 8
; WaveLimiterHint : 0
; COMPUTE_PGM_RSRC2:SCRATCH_EN: 0
; COMPUTE_PGM_RSRC2:USER_SGPR: 6
; COMPUTE_PGM_RSRC2:TRAP_HANDLER: 0
; COMPUTE_PGM_RSRC2:TGID_X_EN: 1
; COMPUTE_PGM_RSRC2:TGID_Y_EN: 0
; COMPUTE_PGM_RSRC2:TGID_Z_EN: 0
; COMPUTE_PGM_RSRC2:TIDIG_COMP_CNT: 0
; COMPUTE_PGM_RSRC3_GFX90A:ACCUM_OFFSET: 0
; COMPUTE_PGM_RSRC3_GFX90A:TG_SPLIT: 0
	.section	.text._ZN7rocprim17ROCPRIM_400000_NS6detail17trampoline_kernelINS0_14default_configENS1_35radix_sort_onesweep_config_selectorIjN6thrust23THRUST_200600_302600_NS5tupleIffNS6_9null_typeES8_S8_S8_S8_S8_S8_S8_EEEEZZNS1_29radix_sort_onesweep_iterationIS3_Lb0ENS6_6detail15normal_iteratorINS6_10device_ptrIjEEEESG_NSD_INSE_IS9_EEEESI_jNS0_19identity_decomposerENS1_16block_id_wrapperIjLb1EEEEE10hipError_tT1_PNSt15iterator_traitsISN_E10value_typeET2_T3_PNSO_IST_E10value_typeET4_T5_PSY_SZ_PNS1_23onesweep_lookback_stateEbbT6_jjT7_P12ihipStream_tbENKUlT_T0_SN_SS_E_clISG_SG_SI_SI_EEDaS16_S17_SN_SS_EUlS16_E_NS1_11comp_targetILNS1_3genE2ELNS1_11target_archE906ELNS1_3gpuE6ELNS1_3repE0EEENS1_47radix_sort_onesweep_sort_config_static_selectorELNS0_4arch9wavefront6targetE1EEEvSN_,"axG",@progbits,_ZN7rocprim17ROCPRIM_400000_NS6detail17trampoline_kernelINS0_14default_configENS1_35radix_sort_onesweep_config_selectorIjN6thrust23THRUST_200600_302600_NS5tupleIffNS6_9null_typeES8_S8_S8_S8_S8_S8_S8_EEEEZZNS1_29radix_sort_onesweep_iterationIS3_Lb0ENS6_6detail15normal_iteratorINS6_10device_ptrIjEEEESG_NSD_INSE_IS9_EEEESI_jNS0_19identity_decomposerENS1_16block_id_wrapperIjLb1EEEEE10hipError_tT1_PNSt15iterator_traitsISN_E10value_typeET2_T3_PNSO_IST_E10value_typeET4_T5_PSY_SZ_PNS1_23onesweep_lookback_stateEbbT6_jjT7_P12ihipStream_tbENKUlT_T0_SN_SS_E_clISG_SG_SI_SI_EEDaS16_S17_SN_SS_EUlS16_E_NS1_11comp_targetILNS1_3genE2ELNS1_11target_archE906ELNS1_3gpuE6ELNS1_3repE0EEENS1_47radix_sort_onesweep_sort_config_static_selectorELNS0_4arch9wavefront6targetE1EEEvSN_,comdat
	.protected	_ZN7rocprim17ROCPRIM_400000_NS6detail17trampoline_kernelINS0_14default_configENS1_35radix_sort_onesweep_config_selectorIjN6thrust23THRUST_200600_302600_NS5tupleIffNS6_9null_typeES8_S8_S8_S8_S8_S8_S8_EEEEZZNS1_29radix_sort_onesweep_iterationIS3_Lb0ENS6_6detail15normal_iteratorINS6_10device_ptrIjEEEESG_NSD_INSE_IS9_EEEESI_jNS0_19identity_decomposerENS1_16block_id_wrapperIjLb1EEEEE10hipError_tT1_PNSt15iterator_traitsISN_E10value_typeET2_T3_PNSO_IST_E10value_typeET4_T5_PSY_SZ_PNS1_23onesweep_lookback_stateEbbT6_jjT7_P12ihipStream_tbENKUlT_T0_SN_SS_E_clISG_SG_SI_SI_EEDaS16_S17_SN_SS_EUlS16_E_NS1_11comp_targetILNS1_3genE2ELNS1_11target_archE906ELNS1_3gpuE6ELNS1_3repE0EEENS1_47radix_sort_onesweep_sort_config_static_selectorELNS0_4arch9wavefront6targetE1EEEvSN_ ; -- Begin function _ZN7rocprim17ROCPRIM_400000_NS6detail17trampoline_kernelINS0_14default_configENS1_35radix_sort_onesweep_config_selectorIjN6thrust23THRUST_200600_302600_NS5tupleIffNS6_9null_typeES8_S8_S8_S8_S8_S8_S8_EEEEZZNS1_29radix_sort_onesweep_iterationIS3_Lb0ENS6_6detail15normal_iteratorINS6_10device_ptrIjEEEESG_NSD_INSE_IS9_EEEESI_jNS0_19identity_decomposerENS1_16block_id_wrapperIjLb1EEEEE10hipError_tT1_PNSt15iterator_traitsISN_E10value_typeET2_T3_PNSO_IST_E10value_typeET4_T5_PSY_SZ_PNS1_23onesweep_lookback_stateEbbT6_jjT7_P12ihipStream_tbENKUlT_T0_SN_SS_E_clISG_SG_SI_SI_EEDaS16_S17_SN_SS_EUlS16_E_NS1_11comp_targetILNS1_3genE2ELNS1_11target_archE906ELNS1_3gpuE6ELNS1_3repE0EEENS1_47radix_sort_onesweep_sort_config_static_selectorELNS0_4arch9wavefront6targetE1EEEvSN_
	.globl	_ZN7rocprim17ROCPRIM_400000_NS6detail17trampoline_kernelINS0_14default_configENS1_35radix_sort_onesweep_config_selectorIjN6thrust23THRUST_200600_302600_NS5tupleIffNS6_9null_typeES8_S8_S8_S8_S8_S8_S8_EEEEZZNS1_29radix_sort_onesweep_iterationIS3_Lb0ENS6_6detail15normal_iteratorINS6_10device_ptrIjEEEESG_NSD_INSE_IS9_EEEESI_jNS0_19identity_decomposerENS1_16block_id_wrapperIjLb1EEEEE10hipError_tT1_PNSt15iterator_traitsISN_E10value_typeET2_T3_PNSO_IST_E10value_typeET4_T5_PSY_SZ_PNS1_23onesweep_lookback_stateEbbT6_jjT7_P12ihipStream_tbENKUlT_T0_SN_SS_E_clISG_SG_SI_SI_EEDaS16_S17_SN_SS_EUlS16_E_NS1_11comp_targetILNS1_3genE2ELNS1_11target_archE906ELNS1_3gpuE6ELNS1_3repE0EEENS1_47radix_sort_onesweep_sort_config_static_selectorELNS0_4arch9wavefront6targetE1EEEvSN_
	.p2align	8
	.type	_ZN7rocprim17ROCPRIM_400000_NS6detail17trampoline_kernelINS0_14default_configENS1_35radix_sort_onesweep_config_selectorIjN6thrust23THRUST_200600_302600_NS5tupleIffNS6_9null_typeES8_S8_S8_S8_S8_S8_S8_EEEEZZNS1_29radix_sort_onesweep_iterationIS3_Lb0ENS6_6detail15normal_iteratorINS6_10device_ptrIjEEEESG_NSD_INSE_IS9_EEEESI_jNS0_19identity_decomposerENS1_16block_id_wrapperIjLb1EEEEE10hipError_tT1_PNSt15iterator_traitsISN_E10value_typeET2_T3_PNSO_IST_E10value_typeET4_T5_PSY_SZ_PNS1_23onesweep_lookback_stateEbbT6_jjT7_P12ihipStream_tbENKUlT_T0_SN_SS_E_clISG_SG_SI_SI_EEDaS16_S17_SN_SS_EUlS16_E_NS1_11comp_targetILNS1_3genE2ELNS1_11target_archE906ELNS1_3gpuE6ELNS1_3repE0EEENS1_47radix_sort_onesweep_sort_config_static_selectorELNS0_4arch9wavefront6targetE1EEEvSN_,@function
_ZN7rocprim17ROCPRIM_400000_NS6detail17trampoline_kernelINS0_14default_configENS1_35radix_sort_onesweep_config_selectorIjN6thrust23THRUST_200600_302600_NS5tupleIffNS6_9null_typeES8_S8_S8_S8_S8_S8_S8_EEEEZZNS1_29radix_sort_onesweep_iterationIS3_Lb0ENS6_6detail15normal_iteratorINS6_10device_ptrIjEEEESG_NSD_INSE_IS9_EEEESI_jNS0_19identity_decomposerENS1_16block_id_wrapperIjLb1EEEEE10hipError_tT1_PNSt15iterator_traitsISN_E10value_typeET2_T3_PNSO_IST_E10value_typeET4_T5_PSY_SZ_PNS1_23onesweep_lookback_stateEbbT6_jjT7_P12ihipStream_tbENKUlT_T0_SN_SS_E_clISG_SG_SI_SI_EEDaS16_S17_SN_SS_EUlS16_E_NS1_11comp_targetILNS1_3genE2ELNS1_11target_archE906ELNS1_3gpuE6ELNS1_3repE0EEENS1_47radix_sort_onesweep_sort_config_static_selectorELNS0_4arch9wavefront6targetE1EEEvSN_: ; @_ZN7rocprim17ROCPRIM_400000_NS6detail17trampoline_kernelINS0_14default_configENS1_35radix_sort_onesweep_config_selectorIjN6thrust23THRUST_200600_302600_NS5tupleIffNS6_9null_typeES8_S8_S8_S8_S8_S8_S8_EEEEZZNS1_29radix_sort_onesweep_iterationIS3_Lb0ENS6_6detail15normal_iteratorINS6_10device_ptrIjEEEESG_NSD_INSE_IS9_EEEESI_jNS0_19identity_decomposerENS1_16block_id_wrapperIjLb1EEEEE10hipError_tT1_PNSt15iterator_traitsISN_E10value_typeET2_T3_PNSO_IST_E10value_typeET4_T5_PSY_SZ_PNS1_23onesweep_lookback_stateEbbT6_jjT7_P12ihipStream_tbENKUlT_T0_SN_SS_E_clISG_SG_SI_SI_EEDaS16_S17_SN_SS_EUlS16_E_NS1_11comp_targetILNS1_3genE2ELNS1_11target_archE906ELNS1_3gpuE6ELNS1_3repE0EEENS1_47radix_sort_onesweep_sort_config_static_selectorELNS0_4arch9wavefront6targetE1EEEvSN_
; %bb.0:
	.section	.rodata,"a",@progbits
	.p2align	6, 0x0
	.amdhsa_kernel _ZN7rocprim17ROCPRIM_400000_NS6detail17trampoline_kernelINS0_14default_configENS1_35radix_sort_onesweep_config_selectorIjN6thrust23THRUST_200600_302600_NS5tupleIffNS6_9null_typeES8_S8_S8_S8_S8_S8_S8_EEEEZZNS1_29radix_sort_onesweep_iterationIS3_Lb0ENS6_6detail15normal_iteratorINS6_10device_ptrIjEEEESG_NSD_INSE_IS9_EEEESI_jNS0_19identity_decomposerENS1_16block_id_wrapperIjLb1EEEEE10hipError_tT1_PNSt15iterator_traitsISN_E10value_typeET2_T3_PNSO_IST_E10value_typeET4_T5_PSY_SZ_PNS1_23onesweep_lookback_stateEbbT6_jjT7_P12ihipStream_tbENKUlT_T0_SN_SS_E_clISG_SG_SI_SI_EEDaS16_S17_SN_SS_EUlS16_E_NS1_11comp_targetILNS1_3genE2ELNS1_11target_archE906ELNS1_3gpuE6ELNS1_3repE0EEENS1_47radix_sort_onesweep_sort_config_static_selectorELNS0_4arch9wavefront6targetE1EEEvSN_
		.amdhsa_group_segment_fixed_size 0
		.amdhsa_private_segment_fixed_size 0
		.amdhsa_kernarg_size 88
		.amdhsa_user_sgpr_count 6
		.amdhsa_user_sgpr_private_segment_buffer 1
		.amdhsa_user_sgpr_dispatch_ptr 0
		.amdhsa_user_sgpr_queue_ptr 0
		.amdhsa_user_sgpr_kernarg_segment_ptr 1
		.amdhsa_user_sgpr_dispatch_id 0
		.amdhsa_user_sgpr_flat_scratch_init 0
		.amdhsa_user_sgpr_kernarg_preload_length 0
		.amdhsa_user_sgpr_kernarg_preload_offset 0
		.amdhsa_user_sgpr_private_segment_size 0
		.amdhsa_uses_dynamic_stack 0
		.amdhsa_system_sgpr_private_segment_wavefront_offset 0
		.amdhsa_system_sgpr_workgroup_id_x 1
		.amdhsa_system_sgpr_workgroup_id_y 0
		.amdhsa_system_sgpr_workgroup_id_z 0
		.amdhsa_system_sgpr_workgroup_info 0
		.amdhsa_system_vgpr_workitem_id 0
		.amdhsa_next_free_vgpr 1
		.amdhsa_next_free_sgpr 0
		.amdhsa_accum_offset 4
		.amdhsa_reserve_vcc 0
		.amdhsa_reserve_flat_scratch 0
		.amdhsa_float_round_mode_32 0
		.amdhsa_float_round_mode_16_64 0
		.amdhsa_float_denorm_mode_32 3
		.amdhsa_float_denorm_mode_16_64 3
		.amdhsa_dx10_clamp 1
		.amdhsa_ieee_mode 1
		.amdhsa_fp16_overflow 0
		.amdhsa_tg_split 0
		.amdhsa_exception_fp_ieee_invalid_op 0
		.amdhsa_exception_fp_denorm_src 0
		.amdhsa_exception_fp_ieee_div_zero 0
		.amdhsa_exception_fp_ieee_overflow 0
		.amdhsa_exception_fp_ieee_underflow 0
		.amdhsa_exception_fp_ieee_inexact 0
		.amdhsa_exception_int_div_zero 0
	.end_amdhsa_kernel
	.section	.text._ZN7rocprim17ROCPRIM_400000_NS6detail17trampoline_kernelINS0_14default_configENS1_35radix_sort_onesweep_config_selectorIjN6thrust23THRUST_200600_302600_NS5tupleIffNS6_9null_typeES8_S8_S8_S8_S8_S8_S8_EEEEZZNS1_29radix_sort_onesweep_iterationIS3_Lb0ENS6_6detail15normal_iteratorINS6_10device_ptrIjEEEESG_NSD_INSE_IS9_EEEESI_jNS0_19identity_decomposerENS1_16block_id_wrapperIjLb1EEEEE10hipError_tT1_PNSt15iterator_traitsISN_E10value_typeET2_T3_PNSO_IST_E10value_typeET4_T5_PSY_SZ_PNS1_23onesweep_lookback_stateEbbT6_jjT7_P12ihipStream_tbENKUlT_T0_SN_SS_E_clISG_SG_SI_SI_EEDaS16_S17_SN_SS_EUlS16_E_NS1_11comp_targetILNS1_3genE2ELNS1_11target_archE906ELNS1_3gpuE6ELNS1_3repE0EEENS1_47radix_sort_onesweep_sort_config_static_selectorELNS0_4arch9wavefront6targetE1EEEvSN_,"axG",@progbits,_ZN7rocprim17ROCPRIM_400000_NS6detail17trampoline_kernelINS0_14default_configENS1_35radix_sort_onesweep_config_selectorIjN6thrust23THRUST_200600_302600_NS5tupleIffNS6_9null_typeES8_S8_S8_S8_S8_S8_S8_EEEEZZNS1_29radix_sort_onesweep_iterationIS3_Lb0ENS6_6detail15normal_iteratorINS6_10device_ptrIjEEEESG_NSD_INSE_IS9_EEEESI_jNS0_19identity_decomposerENS1_16block_id_wrapperIjLb1EEEEE10hipError_tT1_PNSt15iterator_traitsISN_E10value_typeET2_T3_PNSO_IST_E10value_typeET4_T5_PSY_SZ_PNS1_23onesweep_lookback_stateEbbT6_jjT7_P12ihipStream_tbENKUlT_T0_SN_SS_E_clISG_SG_SI_SI_EEDaS16_S17_SN_SS_EUlS16_E_NS1_11comp_targetILNS1_3genE2ELNS1_11target_archE906ELNS1_3gpuE6ELNS1_3repE0EEENS1_47radix_sort_onesweep_sort_config_static_selectorELNS0_4arch9wavefront6targetE1EEEvSN_,comdat
.Lfunc_end178:
	.size	_ZN7rocprim17ROCPRIM_400000_NS6detail17trampoline_kernelINS0_14default_configENS1_35radix_sort_onesweep_config_selectorIjN6thrust23THRUST_200600_302600_NS5tupleIffNS6_9null_typeES8_S8_S8_S8_S8_S8_S8_EEEEZZNS1_29radix_sort_onesweep_iterationIS3_Lb0ENS6_6detail15normal_iteratorINS6_10device_ptrIjEEEESG_NSD_INSE_IS9_EEEESI_jNS0_19identity_decomposerENS1_16block_id_wrapperIjLb1EEEEE10hipError_tT1_PNSt15iterator_traitsISN_E10value_typeET2_T3_PNSO_IST_E10value_typeET4_T5_PSY_SZ_PNS1_23onesweep_lookback_stateEbbT6_jjT7_P12ihipStream_tbENKUlT_T0_SN_SS_E_clISG_SG_SI_SI_EEDaS16_S17_SN_SS_EUlS16_E_NS1_11comp_targetILNS1_3genE2ELNS1_11target_archE906ELNS1_3gpuE6ELNS1_3repE0EEENS1_47radix_sort_onesweep_sort_config_static_selectorELNS0_4arch9wavefront6targetE1EEEvSN_, .Lfunc_end178-_ZN7rocprim17ROCPRIM_400000_NS6detail17trampoline_kernelINS0_14default_configENS1_35radix_sort_onesweep_config_selectorIjN6thrust23THRUST_200600_302600_NS5tupleIffNS6_9null_typeES8_S8_S8_S8_S8_S8_S8_EEEEZZNS1_29radix_sort_onesweep_iterationIS3_Lb0ENS6_6detail15normal_iteratorINS6_10device_ptrIjEEEESG_NSD_INSE_IS9_EEEESI_jNS0_19identity_decomposerENS1_16block_id_wrapperIjLb1EEEEE10hipError_tT1_PNSt15iterator_traitsISN_E10value_typeET2_T3_PNSO_IST_E10value_typeET4_T5_PSY_SZ_PNS1_23onesweep_lookback_stateEbbT6_jjT7_P12ihipStream_tbENKUlT_T0_SN_SS_E_clISG_SG_SI_SI_EEDaS16_S17_SN_SS_EUlS16_E_NS1_11comp_targetILNS1_3genE2ELNS1_11target_archE906ELNS1_3gpuE6ELNS1_3repE0EEENS1_47radix_sort_onesweep_sort_config_static_selectorELNS0_4arch9wavefront6targetE1EEEvSN_
                                        ; -- End function
	.section	.AMDGPU.csdata,"",@progbits
; Kernel info:
; codeLenInByte = 0
; NumSgprs: 4
; NumVgprs: 0
; NumAgprs: 0
; TotalNumVgprs: 0
; ScratchSize: 0
; MemoryBound: 0
; FloatMode: 240
; IeeeMode: 1
; LDSByteSize: 0 bytes/workgroup (compile time only)
; SGPRBlocks: 0
; VGPRBlocks: 0
; NumSGPRsForWavesPerEU: 4
; NumVGPRsForWavesPerEU: 1
; AccumOffset: 4
; Occupancy: 8
; WaveLimiterHint : 0
; COMPUTE_PGM_RSRC2:SCRATCH_EN: 0
; COMPUTE_PGM_RSRC2:USER_SGPR: 6
; COMPUTE_PGM_RSRC2:TRAP_HANDLER: 0
; COMPUTE_PGM_RSRC2:TGID_X_EN: 1
; COMPUTE_PGM_RSRC2:TGID_Y_EN: 0
; COMPUTE_PGM_RSRC2:TGID_Z_EN: 0
; COMPUTE_PGM_RSRC2:TIDIG_COMP_CNT: 0
; COMPUTE_PGM_RSRC3_GFX90A:ACCUM_OFFSET: 0
; COMPUTE_PGM_RSRC3_GFX90A:TG_SPLIT: 0
	.section	.text._ZN7rocprim17ROCPRIM_400000_NS6detail17trampoline_kernelINS0_14default_configENS1_35radix_sort_onesweep_config_selectorIjN6thrust23THRUST_200600_302600_NS5tupleIffNS6_9null_typeES8_S8_S8_S8_S8_S8_S8_EEEEZZNS1_29radix_sort_onesweep_iterationIS3_Lb0ENS6_6detail15normal_iteratorINS6_10device_ptrIjEEEESG_NSD_INSE_IS9_EEEESI_jNS0_19identity_decomposerENS1_16block_id_wrapperIjLb1EEEEE10hipError_tT1_PNSt15iterator_traitsISN_E10value_typeET2_T3_PNSO_IST_E10value_typeET4_T5_PSY_SZ_PNS1_23onesweep_lookback_stateEbbT6_jjT7_P12ihipStream_tbENKUlT_T0_SN_SS_E_clISG_SG_SI_SI_EEDaS16_S17_SN_SS_EUlS16_E_NS1_11comp_targetILNS1_3genE4ELNS1_11target_archE910ELNS1_3gpuE8ELNS1_3repE0EEENS1_47radix_sort_onesweep_sort_config_static_selectorELNS0_4arch9wavefront6targetE1EEEvSN_,"axG",@progbits,_ZN7rocprim17ROCPRIM_400000_NS6detail17trampoline_kernelINS0_14default_configENS1_35radix_sort_onesweep_config_selectorIjN6thrust23THRUST_200600_302600_NS5tupleIffNS6_9null_typeES8_S8_S8_S8_S8_S8_S8_EEEEZZNS1_29radix_sort_onesweep_iterationIS3_Lb0ENS6_6detail15normal_iteratorINS6_10device_ptrIjEEEESG_NSD_INSE_IS9_EEEESI_jNS0_19identity_decomposerENS1_16block_id_wrapperIjLb1EEEEE10hipError_tT1_PNSt15iterator_traitsISN_E10value_typeET2_T3_PNSO_IST_E10value_typeET4_T5_PSY_SZ_PNS1_23onesweep_lookback_stateEbbT6_jjT7_P12ihipStream_tbENKUlT_T0_SN_SS_E_clISG_SG_SI_SI_EEDaS16_S17_SN_SS_EUlS16_E_NS1_11comp_targetILNS1_3genE4ELNS1_11target_archE910ELNS1_3gpuE8ELNS1_3repE0EEENS1_47radix_sort_onesweep_sort_config_static_selectorELNS0_4arch9wavefront6targetE1EEEvSN_,comdat
	.protected	_ZN7rocprim17ROCPRIM_400000_NS6detail17trampoline_kernelINS0_14default_configENS1_35radix_sort_onesweep_config_selectorIjN6thrust23THRUST_200600_302600_NS5tupleIffNS6_9null_typeES8_S8_S8_S8_S8_S8_S8_EEEEZZNS1_29radix_sort_onesweep_iterationIS3_Lb0ENS6_6detail15normal_iteratorINS6_10device_ptrIjEEEESG_NSD_INSE_IS9_EEEESI_jNS0_19identity_decomposerENS1_16block_id_wrapperIjLb1EEEEE10hipError_tT1_PNSt15iterator_traitsISN_E10value_typeET2_T3_PNSO_IST_E10value_typeET4_T5_PSY_SZ_PNS1_23onesweep_lookback_stateEbbT6_jjT7_P12ihipStream_tbENKUlT_T0_SN_SS_E_clISG_SG_SI_SI_EEDaS16_S17_SN_SS_EUlS16_E_NS1_11comp_targetILNS1_3genE4ELNS1_11target_archE910ELNS1_3gpuE8ELNS1_3repE0EEENS1_47radix_sort_onesweep_sort_config_static_selectorELNS0_4arch9wavefront6targetE1EEEvSN_ ; -- Begin function _ZN7rocprim17ROCPRIM_400000_NS6detail17trampoline_kernelINS0_14default_configENS1_35radix_sort_onesweep_config_selectorIjN6thrust23THRUST_200600_302600_NS5tupleIffNS6_9null_typeES8_S8_S8_S8_S8_S8_S8_EEEEZZNS1_29radix_sort_onesweep_iterationIS3_Lb0ENS6_6detail15normal_iteratorINS6_10device_ptrIjEEEESG_NSD_INSE_IS9_EEEESI_jNS0_19identity_decomposerENS1_16block_id_wrapperIjLb1EEEEE10hipError_tT1_PNSt15iterator_traitsISN_E10value_typeET2_T3_PNSO_IST_E10value_typeET4_T5_PSY_SZ_PNS1_23onesweep_lookback_stateEbbT6_jjT7_P12ihipStream_tbENKUlT_T0_SN_SS_E_clISG_SG_SI_SI_EEDaS16_S17_SN_SS_EUlS16_E_NS1_11comp_targetILNS1_3genE4ELNS1_11target_archE910ELNS1_3gpuE8ELNS1_3repE0EEENS1_47radix_sort_onesweep_sort_config_static_selectorELNS0_4arch9wavefront6targetE1EEEvSN_
	.globl	_ZN7rocprim17ROCPRIM_400000_NS6detail17trampoline_kernelINS0_14default_configENS1_35radix_sort_onesweep_config_selectorIjN6thrust23THRUST_200600_302600_NS5tupleIffNS6_9null_typeES8_S8_S8_S8_S8_S8_S8_EEEEZZNS1_29radix_sort_onesweep_iterationIS3_Lb0ENS6_6detail15normal_iteratorINS6_10device_ptrIjEEEESG_NSD_INSE_IS9_EEEESI_jNS0_19identity_decomposerENS1_16block_id_wrapperIjLb1EEEEE10hipError_tT1_PNSt15iterator_traitsISN_E10value_typeET2_T3_PNSO_IST_E10value_typeET4_T5_PSY_SZ_PNS1_23onesweep_lookback_stateEbbT6_jjT7_P12ihipStream_tbENKUlT_T0_SN_SS_E_clISG_SG_SI_SI_EEDaS16_S17_SN_SS_EUlS16_E_NS1_11comp_targetILNS1_3genE4ELNS1_11target_archE910ELNS1_3gpuE8ELNS1_3repE0EEENS1_47radix_sort_onesweep_sort_config_static_selectorELNS0_4arch9wavefront6targetE1EEEvSN_
	.p2align	8
	.type	_ZN7rocprim17ROCPRIM_400000_NS6detail17trampoline_kernelINS0_14default_configENS1_35radix_sort_onesweep_config_selectorIjN6thrust23THRUST_200600_302600_NS5tupleIffNS6_9null_typeES8_S8_S8_S8_S8_S8_S8_EEEEZZNS1_29radix_sort_onesweep_iterationIS3_Lb0ENS6_6detail15normal_iteratorINS6_10device_ptrIjEEEESG_NSD_INSE_IS9_EEEESI_jNS0_19identity_decomposerENS1_16block_id_wrapperIjLb1EEEEE10hipError_tT1_PNSt15iterator_traitsISN_E10value_typeET2_T3_PNSO_IST_E10value_typeET4_T5_PSY_SZ_PNS1_23onesweep_lookback_stateEbbT6_jjT7_P12ihipStream_tbENKUlT_T0_SN_SS_E_clISG_SG_SI_SI_EEDaS16_S17_SN_SS_EUlS16_E_NS1_11comp_targetILNS1_3genE4ELNS1_11target_archE910ELNS1_3gpuE8ELNS1_3repE0EEENS1_47radix_sort_onesweep_sort_config_static_selectorELNS0_4arch9wavefront6targetE1EEEvSN_,@function
_ZN7rocprim17ROCPRIM_400000_NS6detail17trampoline_kernelINS0_14default_configENS1_35radix_sort_onesweep_config_selectorIjN6thrust23THRUST_200600_302600_NS5tupleIffNS6_9null_typeES8_S8_S8_S8_S8_S8_S8_EEEEZZNS1_29radix_sort_onesweep_iterationIS3_Lb0ENS6_6detail15normal_iteratorINS6_10device_ptrIjEEEESG_NSD_INSE_IS9_EEEESI_jNS0_19identity_decomposerENS1_16block_id_wrapperIjLb1EEEEE10hipError_tT1_PNSt15iterator_traitsISN_E10value_typeET2_T3_PNSO_IST_E10value_typeET4_T5_PSY_SZ_PNS1_23onesweep_lookback_stateEbbT6_jjT7_P12ihipStream_tbENKUlT_T0_SN_SS_E_clISG_SG_SI_SI_EEDaS16_S17_SN_SS_EUlS16_E_NS1_11comp_targetILNS1_3genE4ELNS1_11target_archE910ELNS1_3gpuE8ELNS1_3repE0EEENS1_47radix_sort_onesweep_sort_config_static_selectorELNS0_4arch9wavefront6targetE1EEEvSN_: ; @_ZN7rocprim17ROCPRIM_400000_NS6detail17trampoline_kernelINS0_14default_configENS1_35radix_sort_onesweep_config_selectorIjN6thrust23THRUST_200600_302600_NS5tupleIffNS6_9null_typeES8_S8_S8_S8_S8_S8_S8_EEEEZZNS1_29radix_sort_onesweep_iterationIS3_Lb0ENS6_6detail15normal_iteratorINS6_10device_ptrIjEEEESG_NSD_INSE_IS9_EEEESI_jNS0_19identity_decomposerENS1_16block_id_wrapperIjLb1EEEEE10hipError_tT1_PNSt15iterator_traitsISN_E10value_typeET2_T3_PNSO_IST_E10value_typeET4_T5_PSY_SZ_PNS1_23onesweep_lookback_stateEbbT6_jjT7_P12ihipStream_tbENKUlT_T0_SN_SS_E_clISG_SG_SI_SI_EEDaS16_S17_SN_SS_EUlS16_E_NS1_11comp_targetILNS1_3genE4ELNS1_11target_archE910ELNS1_3gpuE8ELNS1_3repE0EEENS1_47radix_sort_onesweep_sort_config_static_selectorELNS0_4arch9wavefront6targetE1EEEvSN_
; %bb.0:
	s_load_dwordx4 s[52:55], s[4:5], 0x28
	s_load_dwordx2 s[42:43], s[4:5], 0x38
	s_load_dwordx4 s[56:59], s[4:5], 0x44
	v_and_b32_e32 v18, 0x3ff, v0
	v_cmp_eq_u32_e64 s[0:1], 0, v18
	s_and_saveexec_b64 s[2:3], s[0:1]
	s_cbranch_execz .LBB179_4
; %bb.1:
	s_mov_b64 s[10:11], exec
	v_mbcnt_lo_u32_b32 v1, s10, 0
	v_mbcnt_hi_u32_b32 v1, s11, v1
	v_cmp_eq_u32_e32 vcc, 0, v1
                                        ; implicit-def: $vgpr2
	s_and_saveexec_b64 s[8:9], vcc
	s_cbranch_execz .LBB179_3
; %bb.2:
	s_load_dwordx2 s[12:13], s[4:5], 0x50
	s_bcnt1_i32_b64 s7, s[10:11]
	v_mov_b32_e32 v2, 0
	v_mov_b32_e32 v3, s7
	s_waitcnt lgkmcnt(0)
	global_atomic_add v2, v2, v3, s[12:13] glc
.LBB179_3:
	s_or_b64 exec, exec, s[8:9]
	s_waitcnt vmcnt(0)
	v_readfirstlane_b32 s7, v2
	v_add_u32_e32 v1, s7, v1
	v_mov_b32_e32 v2, 0
	ds_write_b32 v2, v1 offset:10272
.LBB179_4:
	s_or_b64 exec, exec, s[2:3]
	v_mov_b32_e32 v1, 0
	s_load_dwordx8 s[44:51], s[4:5], 0x0
	s_load_dword s2, s[4:5], 0x20
	s_waitcnt lgkmcnt(0)
	s_barrier
	ds_read_b32 v1, v1 offset:10272
	v_mbcnt_lo_u32_b32 v19, -1, 0
	s_waitcnt lgkmcnt(0)
	s_barrier
	v_cmp_le_u32_e32 vcc, s58, v1
	v_readfirstlane_b32 s33, v1
	v_lshlrev_b32_e32 v1, 4, v18
	s_cbranch_vccz .LBB179_99
; %bb.5:
	s_lshl_b32 s3, s58, 13
	s_lshl_b32 s58, s33, 13
	s_mov_b32 s59, 0
	s_sub_i32 s7, s2, s3
	s_lshl_b64 s[2:3], s[58:59], 2
	v_mbcnt_hi_u32_b32 v6, -1, v19
	s_add_u32 s2, s44, s2
	v_and_b32_e32 v23, 63, v6
	s_addc_u32 s3, s45, s3
	v_lshlrev_b32_e32 v2, 2, v23
	v_and_b32_e32 v22, 0x3c00, v1
	v_mov_b32_e32 v3, s3
	v_add_co_u32_e32 v2, vcc, s2, v2
	v_addc_co_u32_e32 v3, vcc, 0, v3, vcc
	v_lshlrev_b32_e32 v4, 2, v22
	v_add_co_u32_e32 v2, vcc, v2, v4
	v_or_b32_e32 v4, v23, v22
	v_addc_co_u32_e32 v3, vcc, 0, v3, vcc
	v_cmp_gt_u32_e64 s[34:35], s7, v4
	v_mov_b32_e32 v24, -1
	v_mov_b32_e32 v25, -1
	s_and_saveexec_b64 s[2:3], s[34:35]
	s_cbranch_execz .LBB179_7
; %bb.6:
	global_load_dword v25, v[2:3], off
.LBB179_7:
	s_or_b64 exec, exec, s[2:3]
	v_or_b32_e32 v5, 64, v4
	v_cmp_gt_u32_e64 s[30:31], s7, v5
	v_mov_b32_e32 v26, -1
	s_and_saveexec_b64 s[2:3], s[30:31]
	s_cbranch_execz .LBB179_9
; %bb.8:
	global_load_dword v26, v[2:3], off offset:256
.LBB179_9:
	s_or_b64 exec, exec, s[2:3]
	v_or_b32_e32 v5, 0x80, v4
	v_cmp_gt_u32_e64 s[28:29], s7, v5
	s_and_saveexec_b64 s[2:3], s[28:29]
	s_cbranch_execz .LBB179_11
; %bb.10:
	global_load_dword v24, v[2:3], off offset:512
.LBB179_11:
	s_or_b64 exec, exec, s[2:3]
	v_or_b32_e32 v5, 0xc0, v4
	v_cmp_gt_u32_e64 s[26:27], s7, v5
	v_mov_b32_e32 v27, -1
	v_mov_b32_e32 v28, -1
	s_and_saveexec_b64 s[2:3], s[26:27]
	s_cbranch_execz .LBB179_13
; %bb.12:
	global_load_dword v28, v[2:3], off offset:768
.LBB179_13:
	s_or_b64 exec, exec, s[2:3]
	v_or_b32_e32 v5, 0x100, v4
	v_cmp_gt_u32_e64 s[24:25], s7, v5
	s_and_saveexec_b64 s[2:3], s[24:25]
	s_cbranch_execz .LBB179_15
; %bb.14:
	global_load_dword v27, v[2:3], off offset:1024
.LBB179_15:
	s_or_b64 exec, exec, s[2:3]
	v_or_b32_e32 v5, 0x140, v4
	v_cmp_gt_u32_e64 s[22:23], s7, v5
	v_mov_b32_e32 v29, -1
	;; [unrolled: 18-line block ×3, first 2 shown]
	v_mov_b32_e32 v32, -1
	s_and_saveexec_b64 s[2:3], s[18:19]
	s_cbranch_execz .LBB179_21
; %bb.20:
	global_load_dword v32, v[2:3], off offset:1792
.LBB179_21:
	s_or_b64 exec, exec, s[2:3]
	v_or_b32_e32 v5, 0x200, v4
	v_cmp_gt_u32_e32 vcc, s7, v5
	s_and_saveexec_b64 s[2:3], vcc
	s_cbranch_execz .LBB179_23
; %bb.22:
	global_load_dword v31, v[2:3], off offset:2048
.LBB179_23:
	s_or_b64 exec, exec, s[2:3]
	v_or_b32_e32 v5, 0x240, v4
	v_cmp_gt_u32_e64 s[16:17], s7, v5
	v_mov_b32_e32 v33, -1
	v_mov_b32_e32 v34, -1
	s_and_saveexec_b64 s[2:3], s[16:17]
	s_cbranch_execz .LBB179_25
; %bb.24:
	global_load_dword v34, v[2:3], off offset:2304
.LBB179_25:
	s_or_b64 exec, exec, s[2:3]
	v_or_b32_e32 v5, 0x280, v4
	v_cmp_gt_u32_e64 s[14:15], s7, v5
	s_and_saveexec_b64 s[2:3], s[14:15]
	s_cbranch_execz .LBB179_27
; %bb.26:
	global_load_dword v33, v[2:3], off offset:2560
.LBB179_27:
	s_or_b64 exec, exec, s[2:3]
	v_or_b32_e32 v5, 0x2c0, v4
	v_cmp_gt_u32_e64 s[12:13], s7, v5
	v_mov_b32_e32 v35, -1
	v_mov_b32_e32 v36, -1
	s_and_saveexec_b64 s[2:3], s[12:13]
	s_cbranch_execz .LBB179_29
; %bb.28:
	global_load_dword v36, v[2:3], off offset:2816
.LBB179_29:
	s_or_b64 exec, exec, s[2:3]
	v_or_b32_e32 v5, 0x300, v4
	v_cmp_gt_u32_e64 s[10:11], s7, v5
	s_and_saveexec_b64 s[2:3], s[10:11]
	;; [unrolled: 18-line block ×3, first 2 shown]
	s_cbranch_execz .LBB179_35
; %bb.34:
	global_load_dword v37, v[2:3], off offset:3584
.LBB179_35:
	s_or_b64 exec, exec, s[2:3]
	v_or_b32_e32 v4, 0x3c0, v4
	v_cmp_gt_u32_e64 s[2:3], s7, v4
	v_mov_b32_e32 v39, -1
	s_and_saveexec_b64 s[36:37], s[2:3]
	s_cbranch_execz .LBB179_37
; %bb.36:
	global_load_dword v39, v[2:3], off offset:3840
.LBB179_37:
	s_or_b64 exec, exec, s[36:37]
	s_load_dword s36, s[4:5], 0x64
	s_load_dword s68, s[4:5], 0x58
	s_add_u32 s37, s4, 0x58
	s_addc_u32 s40, s5, 0
	v_mov_b32_e32 v2, 0
	s_waitcnt lgkmcnt(0)
	s_lshr_b32 s41, s36, 16
	s_cmp_lt_u32 s6, s68
	s_cselect_b32 s36, 12, 18
	s_add_u32 s36, s37, s36
	s_addc_u32 s37, s40, 0
	global_load_ushort v4, v2, s[36:37]
	s_lshl_b32 s36, -1, s57
	s_waitcnt vmcnt(1)
	v_lshrrev_b32_e32 v8, s56, v25
	s_not_b32 s69, s36
	v_and_b32_e32 v8, s69, v8
	v_and_b32_e32 v10, 1, v8
	v_bfe_u32 v3, v0, 10, 10
	v_bfe_u32 v5, v0, 20, 10
	v_add_co_u32_e64 v11, s[36:37], -1, v10
	v_mad_u32_u24 v5, v5, s41, v3
	v_lshlrev_b32_e32 v3, 30, v8
	v_addc_co_u32_e64 v12, s[36:37], 0, -1, s[36:37]
	v_cmp_ne_u32_e64 s[36:37], 0, v10
	v_cmp_gt_i64_e64 s[40:41], 0, v[2:3]
	v_not_b32_e32 v10, v3
	v_lshlrev_b32_e32 v3, 29, v8
	v_xor_b32_e32 v12, s37, v12
	v_xor_b32_e32 v11, s36, v11
	v_ashrrev_i32_e32 v10, 31, v10
	v_cmp_gt_i64_e64 s[36:37], 0, v[2:3]
	v_not_b32_e32 v13, v3
	v_lshlrev_b32_e32 v3, 28, v8
	v_and_b32_e32 v12, exec_hi, v12
	v_and_b32_e32 v11, exec_lo, v11
	v_xor_b32_e32 v14, s41, v10
	v_xor_b32_e32 v10, s40, v10
	v_ashrrev_i32_e32 v13, 31, v13
	v_cmp_gt_i64_e64 s[40:41], 0, v[2:3]
	v_not_b32_e32 v15, v3
	v_lshlrev_b32_e32 v3, 27, v8
	v_and_b32_e32 v12, v12, v14
	v_and_b32_e32 v10, v11, v10
	v_xor_b32_e32 v11, s37, v13
	v_xor_b32_e32 v13, s36, v13
	v_ashrrev_i32_e32 v14, 31, v15
	v_cmp_gt_i64_e64 s[36:37], 0, v[2:3]
	v_not_b32_e32 v15, v3
	v_lshlrev_b32_e32 v3, 26, v8
	v_and_b32_e32 v11, v12, v11
	v_and_b32_e32 v10, v10, v13
	;; [unrolled: 8-line block ×3, first 2 shown]
	v_xor_b32_e32 v12, s37, v14
	v_xor_b32_e32 v13, s36, v14
	v_ashrrev_i32_e32 v14, 31, v15
	v_cmp_gt_i64_e64 s[36:37], 0, v[2:3]
	v_not_b32_e32 v15, v3
	v_lshlrev_b32_e32 v3, 24, v8
	v_lshl_add_u32 v9, v8, 3, v8
	v_and_b32_e32 v8, v11, v12
	v_and_b32_e32 v10, v10, v13
	v_xor_b32_e32 v11, s41, v14
	v_xor_b32_e32 v12, s40, v14
	v_ashrrev_i32_e32 v13, 31, v15
	v_cmp_gt_i64_e64 s[40:41], 0, v[2:3]
	v_not_b32_e32 v3, v3
	v_and_b32_e32 v8, v8, v11
	v_and_b32_e32 v10, v10, v12
	v_xor_b32_e32 v11, s37, v13
	v_xor_b32_e32 v12, s36, v13
	v_ashrrev_i32_e32 v3, 31, v3
	v_and_b32_e32 v8, v8, v11
	v_and_b32_e32 v10, v10, v12
	v_mul_u32_u24_e32 v7, 5, v18
	v_lshlrev_b32_e32 v7, 2, v7
	ds_write2_b32 v7, v2, v2 offset0:8 offset1:9
	ds_write2_b32 v7, v2, v2 offset0:10 offset1:11
	ds_write_b32 v7, v2 offset:48
	s_waitcnt lgkmcnt(0)
	s_barrier
	s_waitcnt lgkmcnt(0)
	; wave barrier
	s_waitcnt vmcnt(0)
	v_mad_u64_u32 v[4:5], s[36:37], v5, v4, v[18:19]
	v_lshrrev_b32_e32 v21, 6, v4
	v_xor_b32_e32 v4, s41, v3
	v_xor_b32_e32 v3, s40, v3
	v_and_b32_e32 v5, v8, v4
	v_and_b32_e32 v4, v10, v3
	v_mbcnt_lo_u32_b32 v3, v4, 0
	v_mbcnt_hi_u32_b32 v8, v5, v3
	v_cmp_eq_u32_e64 s[36:37], 0, v8
	v_cmp_ne_u64_e64 s[40:41], 0, v[4:5]
	v_add_lshl_u32 v12, v21, v9, 2
	s_and_b64 s[40:41], s[40:41], s[36:37]
	s_and_saveexec_b64 s[36:37], s[40:41]
	s_cbranch_execz .LBB179_39
; %bb.38:
	v_bcnt_u32_b32 v3, v4, 0
	v_bcnt_u32_b32 v3, v5, v3
	ds_write_b32 v12, v3 offset:32
.LBB179_39:
	s_or_b64 exec, exec, s[36:37]
	v_lshrrev_b32_e32 v3, s56, v26
	v_and_b32_e32 v4, s69, v3
	v_lshl_add_u32 v3, v4, 3, v4
	v_add_lshl_u32 v13, v21, v3, 2
	v_and_b32_e32 v3, 1, v4
	v_add_co_u32_e64 v5, s[36:37], -1, v3
	v_addc_co_u32_e64 v10, s[36:37], 0, -1, s[36:37]
	v_cmp_ne_u32_e64 s[36:37], 0, v3
	v_xor_b32_e32 v3, s37, v10
	v_and_b32_e32 v10, exec_hi, v3
	v_lshlrev_b32_e32 v3, 30, v4
	v_xor_b32_e32 v5, s36, v5
	v_cmp_gt_i64_e64 s[36:37], 0, v[2:3]
	v_not_b32_e32 v3, v3
	v_ashrrev_i32_e32 v3, 31, v3
	v_and_b32_e32 v5, exec_lo, v5
	v_xor_b32_e32 v11, s37, v3
	v_xor_b32_e32 v3, s36, v3
	v_and_b32_e32 v5, v5, v3
	v_lshlrev_b32_e32 v3, 29, v4
	v_cmp_gt_i64_e64 s[36:37], 0, v[2:3]
	v_not_b32_e32 v3, v3
	v_ashrrev_i32_e32 v3, 31, v3
	v_and_b32_e32 v10, v10, v11
	v_xor_b32_e32 v11, s37, v3
	v_xor_b32_e32 v3, s36, v3
	v_and_b32_e32 v5, v5, v3
	v_lshlrev_b32_e32 v3, 28, v4
	v_cmp_gt_i64_e64 s[36:37], 0, v[2:3]
	v_not_b32_e32 v3, v3
	v_ashrrev_i32_e32 v3, 31, v3
	v_and_b32_e32 v10, v10, v11
	;; [unrolled: 8-line block ×5, first 2 shown]
	v_xor_b32_e32 v11, s37, v3
	v_xor_b32_e32 v3, s36, v3
	v_and_b32_e32 v5, v5, v3
	v_lshlrev_b32_e32 v3, 24, v4
	v_cmp_gt_i64_e64 s[36:37], 0, v[2:3]
	v_not_b32_e32 v2, v3
	v_ashrrev_i32_e32 v2, 31, v2
	v_xor_b32_e32 v3, s37, v2
	v_xor_b32_e32 v2, s36, v2
	; wave barrier
	ds_read_b32 v9, v13 offset:32
	v_and_b32_e32 v10, v10, v11
	v_and_b32_e32 v2, v5, v2
	;; [unrolled: 1-line block ×3, first 2 shown]
	v_mbcnt_lo_u32_b32 v4, v2, 0
	v_mbcnt_hi_u32_b32 v10, v3, v4
	v_cmp_eq_u32_e64 s[36:37], 0, v10
	v_cmp_ne_u64_e64 s[40:41], 0, v[2:3]
	s_and_b64 s[40:41], s[40:41], s[36:37]
	; wave barrier
	s_and_saveexec_b64 s[36:37], s[40:41]
	s_cbranch_execz .LBB179_41
; %bb.40:
	v_bcnt_u32_b32 v2, v2, 0
	v_bcnt_u32_b32 v2, v3, v2
	s_waitcnt lgkmcnt(0)
	v_add_u32_e32 v2, v9, v2
	ds_write_b32 v13, v2 offset:32
.LBB179_41:
	s_or_b64 exec, exec, s[36:37]
	v_lshrrev_b32_e32 v2, s56, v24
	v_and_b32_e32 v4, s69, v2
	v_and_b32_e32 v3, 1, v4
	v_add_co_u32_e64 v5, s[36:37], -1, v3
	v_addc_co_u32_e64 v14, s[36:37], 0, -1, s[36:37]
	v_cmp_ne_u32_e64 s[36:37], 0, v3
	v_lshl_add_u32 v2, v4, 3, v4
	v_xor_b32_e32 v3, s37, v14
	v_add_lshl_u32 v16, v21, v2, 2
	v_mov_b32_e32 v2, 0
	v_and_b32_e32 v14, exec_hi, v3
	v_lshlrev_b32_e32 v3, 30, v4
	v_xor_b32_e32 v5, s36, v5
	v_cmp_gt_i64_e64 s[36:37], 0, v[2:3]
	v_not_b32_e32 v3, v3
	v_ashrrev_i32_e32 v3, 31, v3
	v_and_b32_e32 v5, exec_lo, v5
	v_xor_b32_e32 v15, s37, v3
	v_xor_b32_e32 v3, s36, v3
	v_and_b32_e32 v5, v5, v3
	v_lshlrev_b32_e32 v3, 29, v4
	v_cmp_gt_i64_e64 s[36:37], 0, v[2:3]
	v_not_b32_e32 v3, v3
	v_ashrrev_i32_e32 v3, 31, v3
	v_and_b32_e32 v14, v14, v15
	v_xor_b32_e32 v15, s37, v3
	v_xor_b32_e32 v3, s36, v3
	v_and_b32_e32 v5, v5, v3
	v_lshlrev_b32_e32 v3, 28, v4
	v_cmp_gt_i64_e64 s[36:37], 0, v[2:3]
	v_not_b32_e32 v3, v3
	v_ashrrev_i32_e32 v3, 31, v3
	v_and_b32_e32 v14, v14, v15
	;; [unrolled: 8-line block ×5, first 2 shown]
	v_xor_b32_e32 v15, s37, v3
	v_xor_b32_e32 v3, s36, v3
	v_and_b32_e32 v14, v14, v15
	v_and_b32_e32 v15, v5, v3
	v_lshlrev_b32_e32 v3, 24, v4
	v_cmp_gt_i64_e64 s[36:37], 0, v[2:3]
	v_not_b32_e32 v3, v3
	v_ashrrev_i32_e32 v3, 31, v3
	v_xor_b32_e32 v4, s37, v3
	v_xor_b32_e32 v3, s36, v3
	; wave barrier
	ds_read_b32 v11, v16 offset:32
	v_and_b32_e32 v5, v14, v4
	v_and_b32_e32 v4, v15, v3
	v_mbcnt_lo_u32_b32 v3, v4, 0
	v_mbcnt_hi_u32_b32 v14, v5, v3
	v_cmp_eq_u32_e64 s[36:37], 0, v14
	v_cmp_ne_u64_e64 s[40:41], 0, v[4:5]
	s_and_b64 s[40:41], s[40:41], s[36:37]
	; wave barrier
	s_and_saveexec_b64 s[36:37], s[40:41]
	s_cbranch_execz .LBB179_43
; %bb.42:
	v_bcnt_u32_b32 v3, v4, 0
	v_bcnt_u32_b32 v3, v5, v3
	s_waitcnt lgkmcnt(0)
	v_add_u32_e32 v3, v11, v3
	ds_write_b32 v16, v3 offset:32
.LBB179_43:
	s_or_b64 exec, exec, s[36:37]
	v_lshrrev_b32_e32 v3, s56, v28
	v_and_b32_e32 v4, s69, v3
	v_lshl_add_u32 v3, v4, 3, v4
	v_add_lshl_u32 v40, v21, v3, 2
	v_and_b32_e32 v3, 1, v4
	v_add_co_u32_e64 v5, s[36:37], -1, v3
	v_addc_co_u32_e64 v17, s[36:37], 0, -1, s[36:37]
	v_cmp_ne_u32_e64 s[36:37], 0, v3
	v_xor_b32_e32 v3, s37, v17
	v_and_b32_e32 v17, exec_hi, v3
	v_lshlrev_b32_e32 v3, 30, v4
	v_xor_b32_e32 v5, s36, v5
	v_cmp_gt_i64_e64 s[36:37], 0, v[2:3]
	v_not_b32_e32 v3, v3
	v_ashrrev_i32_e32 v3, 31, v3
	v_and_b32_e32 v5, exec_lo, v5
	v_xor_b32_e32 v20, s37, v3
	v_xor_b32_e32 v3, s36, v3
	v_and_b32_e32 v5, v5, v3
	v_lshlrev_b32_e32 v3, 29, v4
	v_cmp_gt_i64_e64 s[36:37], 0, v[2:3]
	v_not_b32_e32 v3, v3
	v_ashrrev_i32_e32 v3, 31, v3
	v_and_b32_e32 v17, v17, v20
	v_xor_b32_e32 v20, s37, v3
	v_xor_b32_e32 v3, s36, v3
	v_and_b32_e32 v5, v5, v3
	v_lshlrev_b32_e32 v3, 28, v4
	v_cmp_gt_i64_e64 s[36:37], 0, v[2:3]
	v_not_b32_e32 v3, v3
	v_ashrrev_i32_e32 v3, 31, v3
	v_and_b32_e32 v17, v17, v20
	;; [unrolled: 8-line block ×5, first 2 shown]
	v_xor_b32_e32 v20, s37, v3
	v_xor_b32_e32 v3, s36, v3
	v_and_b32_e32 v5, v5, v3
	v_lshlrev_b32_e32 v3, 24, v4
	v_cmp_gt_i64_e64 s[36:37], 0, v[2:3]
	v_not_b32_e32 v2, v3
	v_ashrrev_i32_e32 v2, 31, v2
	v_xor_b32_e32 v3, s37, v2
	v_xor_b32_e32 v2, s36, v2
	; wave barrier
	ds_read_b32 v15, v40 offset:32
	v_and_b32_e32 v17, v17, v20
	v_and_b32_e32 v2, v5, v2
	;; [unrolled: 1-line block ×3, first 2 shown]
	v_mbcnt_lo_u32_b32 v4, v2, 0
	v_mbcnt_hi_u32_b32 v17, v3, v4
	v_cmp_eq_u32_e64 s[36:37], 0, v17
	v_cmp_ne_u64_e64 s[40:41], 0, v[2:3]
	s_and_b64 s[40:41], s[40:41], s[36:37]
	; wave barrier
	s_and_saveexec_b64 s[36:37], s[40:41]
	s_cbranch_execz .LBB179_45
; %bb.44:
	v_bcnt_u32_b32 v2, v2, 0
	v_bcnt_u32_b32 v2, v3, v2
	s_waitcnt lgkmcnt(0)
	v_add_u32_e32 v2, v15, v2
	ds_write_b32 v40, v2 offset:32
.LBB179_45:
	s_or_b64 exec, exec, s[36:37]
	v_lshrrev_b32_e32 v2, s56, v27
	v_and_b32_e32 v4, s69, v2
	v_and_b32_e32 v3, 1, v4
	v_add_co_u32_e64 v5, s[36:37], -1, v3
	v_addc_co_u32_e64 v41, s[36:37], 0, -1, s[36:37]
	v_cmp_ne_u32_e64 s[36:37], 0, v3
	v_lshl_add_u32 v2, v4, 3, v4
	v_xor_b32_e32 v3, s37, v41
	v_add_lshl_u32 v43, v21, v2, 2
	v_mov_b32_e32 v2, 0
	v_and_b32_e32 v41, exec_hi, v3
	v_lshlrev_b32_e32 v3, 30, v4
	v_xor_b32_e32 v5, s36, v5
	v_cmp_gt_i64_e64 s[36:37], 0, v[2:3]
	v_not_b32_e32 v3, v3
	v_ashrrev_i32_e32 v3, 31, v3
	v_and_b32_e32 v5, exec_lo, v5
	v_xor_b32_e32 v42, s37, v3
	v_xor_b32_e32 v3, s36, v3
	v_and_b32_e32 v5, v5, v3
	v_lshlrev_b32_e32 v3, 29, v4
	v_cmp_gt_i64_e64 s[36:37], 0, v[2:3]
	v_not_b32_e32 v3, v3
	v_ashrrev_i32_e32 v3, 31, v3
	v_and_b32_e32 v41, v41, v42
	v_xor_b32_e32 v42, s37, v3
	v_xor_b32_e32 v3, s36, v3
	v_and_b32_e32 v5, v5, v3
	v_lshlrev_b32_e32 v3, 28, v4
	v_cmp_gt_i64_e64 s[36:37], 0, v[2:3]
	v_not_b32_e32 v3, v3
	v_ashrrev_i32_e32 v3, 31, v3
	v_and_b32_e32 v41, v41, v42
	;; [unrolled: 8-line block ×5, first 2 shown]
	v_xor_b32_e32 v42, s37, v3
	v_xor_b32_e32 v3, s36, v3
	v_and_b32_e32 v41, v41, v42
	v_and_b32_e32 v42, v5, v3
	v_lshlrev_b32_e32 v3, 24, v4
	v_cmp_gt_i64_e64 s[36:37], 0, v[2:3]
	v_not_b32_e32 v3, v3
	v_ashrrev_i32_e32 v3, 31, v3
	v_xor_b32_e32 v4, s37, v3
	v_xor_b32_e32 v3, s36, v3
	; wave barrier
	ds_read_b32 v20, v43 offset:32
	v_and_b32_e32 v5, v41, v4
	v_and_b32_e32 v4, v42, v3
	v_mbcnt_lo_u32_b32 v3, v4, 0
	v_mbcnt_hi_u32_b32 v41, v5, v3
	v_cmp_eq_u32_e64 s[36:37], 0, v41
	v_cmp_ne_u64_e64 s[40:41], 0, v[4:5]
	s_and_b64 s[40:41], s[40:41], s[36:37]
	; wave barrier
	s_and_saveexec_b64 s[36:37], s[40:41]
	s_cbranch_execz .LBB179_47
; %bb.46:
	v_bcnt_u32_b32 v3, v4, 0
	v_bcnt_u32_b32 v3, v5, v3
	s_waitcnt lgkmcnt(0)
	v_add_u32_e32 v3, v20, v3
	ds_write_b32 v43, v3 offset:32
.LBB179_47:
	s_or_b64 exec, exec, s[36:37]
	v_lshrrev_b32_e32 v3, s56, v30
	v_and_b32_e32 v4, s69, v3
	v_lshl_add_u32 v3, v4, 3, v4
	v_add_lshl_u32 v46, v21, v3, 2
	v_and_b32_e32 v3, 1, v4
	v_add_co_u32_e64 v5, s[36:37], -1, v3
	v_addc_co_u32_e64 v44, s[36:37], 0, -1, s[36:37]
	v_cmp_ne_u32_e64 s[36:37], 0, v3
	v_xor_b32_e32 v3, s37, v44
	v_and_b32_e32 v44, exec_hi, v3
	v_lshlrev_b32_e32 v3, 30, v4
	v_xor_b32_e32 v5, s36, v5
	v_cmp_gt_i64_e64 s[36:37], 0, v[2:3]
	v_not_b32_e32 v3, v3
	v_ashrrev_i32_e32 v3, 31, v3
	v_and_b32_e32 v5, exec_lo, v5
	v_xor_b32_e32 v45, s37, v3
	v_xor_b32_e32 v3, s36, v3
	v_and_b32_e32 v5, v5, v3
	v_lshlrev_b32_e32 v3, 29, v4
	v_cmp_gt_i64_e64 s[36:37], 0, v[2:3]
	v_not_b32_e32 v3, v3
	v_ashrrev_i32_e32 v3, 31, v3
	v_and_b32_e32 v44, v44, v45
	v_xor_b32_e32 v45, s37, v3
	v_xor_b32_e32 v3, s36, v3
	v_and_b32_e32 v5, v5, v3
	v_lshlrev_b32_e32 v3, 28, v4
	v_cmp_gt_i64_e64 s[36:37], 0, v[2:3]
	v_not_b32_e32 v3, v3
	v_ashrrev_i32_e32 v3, 31, v3
	v_and_b32_e32 v44, v44, v45
	;; [unrolled: 8-line block ×5, first 2 shown]
	v_xor_b32_e32 v45, s37, v3
	v_xor_b32_e32 v3, s36, v3
	v_and_b32_e32 v5, v5, v3
	v_lshlrev_b32_e32 v3, 24, v4
	v_cmp_gt_i64_e64 s[36:37], 0, v[2:3]
	v_not_b32_e32 v2, v3
	v_ashrrev_i32_e32 v2, 31, v2
	v_xor_b32_e32 v3, s37, v2
	v_xor_b32_e32 v2, s36, v2
	; wave barrier
	ds_read_b32 v42, v46 offset:32
	v_and_b32_e32 v44, v44, v45
	v_and_b32_e32 v2, v5, v2
	v_and_b32_e32 v3, v44, v3
	v_mbcnt_lo_u32_b32 v4, v2, 0
	v_mbcnt_hi_u32_b32 v44, v3, v4
	v_cmp_eq_u32_e64 s[36:37], 0, v44
	v_cmp_ne_u64_e64 s[40:41], 0, v[2:3]
	s_and_b64 s[40:41], s[40:41], s[36:37]
	; wave barrier
	s_and_saveexec_b64 s[36:37], s[40:41]
	s_cbranch_execz .LBB179_49
; %bb.48:
	v_bcnt_u32_b32 v2, v2, 0
	v_bcnt_u32_b32 v2, v3, v2
	s_waitcnt lgkmcnt(0)
	v_add_u32_e32 v2, v42, v2
	ds_write_b32 v46, v2 offset:32
.LBB179_49:
	s_or_b64 exec, exec, s[36:37]
	v_lshrrev_b32_e32 v2, s56, v29
	v_and_b32_e32 v4, s69, v2
	v_and_b32_e32 v3, 1, v4
	v_add_co_u32_e64 v5, s[36:37], -1, v3
	v_addc_co_u32_e64 v47, s[36:37], 0, -1, s[36:37]
	v_cmp_ne_u32_e64 s[36:37], 0, v3
	v_lshl_add_u32 v2, v4, 3, v4
	v_xor_b32_e32 v3, s37, v47
	v_add_lshl_u32 v49, v21, v2, 2
	v_mov_b32_e32 v2, 0
	v_and_b32_e32 v47, exec_hi, v3
	v_lshlrev_b32_e32 v3, 30, v4
	v_xor_b32_e32 v5, s36, v5
	v_cmp_gt_i64_e64 s[36:37], 0, v[2:3]
	v_not_b32_e32 v3, v3
	v_ashrrev_i32_e32 v3, 31, v3
	v_and_b32_e32 v5, exec_lo, v5
	v_xor_b32_e32 v48, s37, v3
	v_xor_b32_e32 v3, s36, v3
	v_and_b32_e32 v5, v5, v3
	v_lshlrev_b32_e32 v3, 29, v4
	v_cmp_gt_i64_e64 s[36:37], 0, v[2:3]
	v_not_b32_e32 v3, v3
	v_ashrrev_i32_e32 v3, 31, v3
	v_and_b32_e32 v47, v47, v48
	v_xor_b32_e32 v48, s37, v3
	v_xor_b32_e32 v3, s36, v3
	v_and_b32_e32 v5, v5, v3
	v_lshlrev_b32_e32 v3, 28, v4
	v_cmp_gt_i64_e64 s[36:37], 0, v[2:3]
	v_not_b32_e32 v3, v3
	v_ashrrev_i32_e32 v3, 31, v3
	v_and_b32_e32 v47, v47, v48
	;; [unrolled: 8-line block ×5, first 2 shown]
	v_xor_b32_e32 v48, s37, v3
	v_xor_b32_e32 v3, s36, v3
	v_and_b32_e32 v47, v47, v48
	v_and_b32_e32 v48, v5, v3
	v_lshlrev_b32_e32 v3, 24, v4
	v_cmp_gt_i64_e64 s[36:37], 0, v[2:3]
	v_not_b32_e32 v3, v3
	v_ashrrev_i32_e32 v3, 31, v3
	v_xor_b32_e32 v4, s37, v3
	v_xor_b32_e32 v3, s36, v3
	; wave barrier
	ds_read_b32 v45, v49 offset:32
	v_and_b32_e32 v5, v47, v4
	v_and_b32_e32 v4, v48, v3
	v_mbcnt_lo_u32_b32 v3, v4, 0
	v_mbcnt_hi_u32_b32 v47, v5, v3
	v_cmp_eq_u32_e64 s[36:37], 0, v47
	v_cmp_ne_u64_e64 s[40:41], 0, v[4:5]
	s_and_b64 s[40:41], s[40:41], s[36:37]
	; wave barrier
	s_and_saveexec_b64 s[36:37], s[40:41]
	s_cbranch_execz .LBB179_51
; %bb.50:
	v_bcnt_u32_b32 v3, v4, 0
	v_bcnt_u32_b32 v3, v5, v3
	s_waitcnt lgkmcnt(0)
	v_add_u32_e32 v3, v45, v3
	ds_write_b32 v49, v3 offset:32
.LBB179_51:
	s_or_b64 exec, exec, s[36:37]
	v_lshrrev_b32_e32 v3, s56, v32
	v_and_b32_e32 v4, s69, v3
	v_lshl_add_u32 v3, v4, 3, v4
	v_add_lshl_u32 v52, v21, v3, 2
	v_and_b32_e32 v3, 1, v4
	v_add_co_u32_e64 v5, s[36:37], -1, v3
	v_addc_co_u32_e64 v50, s[36:37], 0, -1, s[36:37]
	v_cmp_ne_u32_e64 s[36:37], 0, v3
	v_xor_b32_e32 v3, s37, v50
	v_and_b32_e32 v50, exec_hi, v3
	v_lshlrev_b32_e32 v3, 30, v4
	v_xor_b32_e32 v5, s36, v5
	v_cmp_gt_i64_e64 s[36:37], 0, v[2:3]
	v_not_b32_e32 v3, v3
	v_ashrrev_i32_e32 v3, 31, v3
	v_and_b32_e32 v5, exec_lo, v5
	v_xor_b32_e32 v51, s37, v3
	v_xor_b32_e32 v3, s36, v3
	v_and_b32_e32 v5, v5, v3
	v_lshlrev_b32_e32 v3, 29, v4
	v_cmp_gt_i64_e64 s[36:37], 0, v[2:3]
	v_not_b32_e32 v3, v3
	v_ashrrev_i32_e32 v3, 31, v3
	v_and_b32_e32 v50, v50, v51
	v_xor_b32_e32 v51, s37, v3
	v_xor_b32_e32 v3, s36, v3
	v_and_b32_e32 v5, v5, v3
	v_lshlrev_b32_e32 v3, 28, v4
	v_cmp_gt_i64_e64 s[36:37], 0, v[2:3]
	v_not_b32_e32 v3, v3
	v_ashrrev_i32_e32 v3, 31, v3
	v_and_b32_e32 v50, v50, v51
	;; [unrolled: 8-line block ×5, first 2 shown]
	v_xor_b32_e32 v51, s37, v3
	v_xor_b32_e32 v3, s36, v3
	v_and_b32_e32 v5, v5, v3
	v_lshlrev_b32_e32 v3, 24, v4
	v_cmp_gt_i64_e64 s[36:37], 0, v[2:3]
	v_not_b32_e32 v2, v3
	v_ashrrev_i32_e32 v2, 31, v2
	v_xor_b32_e32 v3, s37, v2
	v_xor_b32_e32 v2, s36, v2
	; wave barrier
	ds_read_b32 v48, v52 offset:32
	v_and_b32_e32 v50, v50, v51
	v_and_b32_e32 v2, v5, v2
	;; [unrolled: 1-line block ×3, first 2 shown]
	v_mbcnt_lo_u32_b32 v4, v2, 0
	v_mbcnt_hi_u32_b32 v50, v3, v4
	v_cmp_eq_u32_e64 s[36:37], 0, v50
	v_cmp_ne_u64_e64 s[40:41], 0, v[2:3]
	s_and_b64 s[40:41], s[40:41], s[36:37]
	; wave barrier
	s_and_saveexec_b64 s[36:37], s[40:41]
	s_cbranch_execz .LBB179_53
; %bb.52:
	v_bcnt_u32_b32 v2, v2, 0
	v_bcnt_u32_b32 v2, v3, v2
	s_waitcnt lgkmcnt(0)
	v_add_u32_e32 v2, v48, v2
	ds_write_b32 v52, v2 offset:32
.LBB179_53:
	s_or_b64 exec, exec, s[36:37]
	v_lshrrev_b32_e32 v2, s56, v31
	v_and_b32_e32 v4, s69, v2
	v_and_b32_e32 v3, 1, v4
	v_add_co_u32_e64 v5, s[36:37], -1, v3
	v_addc_co_u32_e64 v53, s[36:37], 0, -1, s[36:37]
	v_cmp_ne_u32_e64 s[36:37], 0, v3
	v_lshl_add_u32 v2, v4, 3, v4
	v_xor_b32_e32 v3, s37, v53
	v_add_lshl_u32 v55, v21, v2, 2
	v_mov_b32_e32 v2, 0
	v_and_b32_e32 v53, exec_hi, v3
	v_lshlrev_b32_e32 v3, 30, v4
	v_xor_b32_e32 v5, s36, v5
	v_cmp_gt_i64_e64 s[36:37], 0, v[2:3]
	v_not_b32_e32 v3, v3
	v_ashrrev_i32_e32 v3, 31, v3
	v_and_b32_e32 v5, exec_lo, v5
	v_xor_b32_e32 v54, s37, v3
	v_xor_b32_e32 v3, s36, v3
	v_and_b32_e32 v5, v5, v3
	v_lshlrev_b32_e32 v3, 29, v4
	v_cmp_gt_i64_e64 s[36:37], 0, v[2:3]
	v_not_b32_e32 v3, v3
	v_ashrrev_i32_e32 v3, 31, v3
	v_and_b32_e32 v53, v53, v54
	v_xor_b32_e32 v54, s37, v3
	v_xor_b32_e32 v3, s36, v3
	v_and_b32_e32 v5, v5, v3
	v_lshlrev_b32_e32 v3, 28, v4
	v_cmp_gt_i64_e64 s[36:37], 0, v[2:3]
	v_not_b32_e32 v3, v3
	v_ashrrev_i32_e32 v3, 31, v3
	v_and_b32_e32 v53, v53, v54
	;; [unrolled: 8-line block ×5, first 2 shown]
	v_xor_b32_e32 v54, s37, v3
	v_xor_b32_e32 v3, s36, v3
	v_and_b32_e32 v53, v53, v54
	v_and_b32_e32 v54, v5, v3
	v_lshlrev_b32_e32 v3, 24, v4
	v_cmp_gt_i64_e64 s[36:37], 0, v[2:3]
	v_not_b32_e32 v3, v3
	v_ashrrev_i32_e32 v3, 31, v3
	v_xor_b32_e32 v4, s37, v3
	v_xor_b32_e32 v3, s36, v3
	; wave barrier
	ds_read_b32 v51, v55 offset:32
	v_and_b32_e32 v5, v53, v4
	v_and_b32_e32 v4, v54, v3
	v_mbcnt_lo_u32_b32 v3, v4, 0
	v_mbcnt_hi_u32_b32 v53, v5, v3
	v_cmp_eq_u32_e64 s[36:37], 0, v53
	v_cmp_ne_u64_e64 s[40:41], 0, v[4:5]
	s_and_b64 s[40:41], s[40:41], s[36:37]
	; wave barrier
	s_and_saveexec_b64 s[36:37], s[40:41]
	s_cbranch_execz .LBB179_55
; %bb.54:
	v_bcnt_u32_b32 v3, v4, 0
	v_bcnt_u32_b32 v3, v5, v3
	s_waitcnt lgkmcnt(0)
	v_add_u32_e32 v3, v51, v3
	ds_write_b32 v55, v3 offset:32
.LBB179_55:
	s_or_b64 exec, exec, s[36:37]
	v_lshrrev_b32_e32 v3, s56, v34
	v_and_b32_e32 v4, s69, v3
	v_lshl_add_u32 v3, v4, 3, v4
	v_add_lshl_u32 v58, v21, v3, 2
	v_and_b32_e32 v3, 1, v4
	v_add_co_u32_e64 v5, s[36:37], -1, v3
	v_addc_co_u32_e64 v56, s[36:37], 0, -1, s[36:37]
	v_cmp_ne_u32_e64 s[36:37], 0, v3
	v_xor_b32_e32 v3, s37, v56
	v_and_b32_e32 v56, exec_hi, v3
	v_lshlrev_b32_e32 v3, 30, v4
	v_xor_b32_e32 v5, s36, v5
	v_cmp_gt_i64_e64 s[36:37], 0, v[2:3]
	v_not_b32_e32 v3, v3
	v_ashrrev_i32_e32 v3, 31, v3
	v_and_b32_e32 v5, exec_lo, v5
	v_xor_b32_e32 v57, s37, v3
	v_xor_b32_e32 v3, s36, v3
	v_and_b32_e32 v5, v5, v3
	v_lshlrev_b32_e32 v3, 29, v4
	v_cmp_gt_i64_e64 s[36:37], 0, v[2:3]
	v_not_b32_e32 v3, v3
	v_ashrrev_i32_e32 v3, 31, v3
	v_and_b32_e32 v56, v56, v57
	v_xor_b32_e32 v57, s37, v3
	v_xor_b32_e32 v3, s36, v3
	v_and_b32_e32 v5, v5, v3
	v_lshlrev_b32_e32 v3, 28, v4
	v_cmp_gt_i64_e64 s[36:37], 0, v[2:3]
	v_not_b32_e32 v3, v3
	v_ashrrev_i32_e32 v3, 31, v3
	v_and_b32_e32 v56, v56, v57
	;; [unrolled: 8-line block ×5, first 2 shown]
	v_xor_b32_e32 v57, s37, v3
	v_xor_b32_e32 v3, s36, v3
	v_and_b32_e32 v5, v5, v3
	v_lshlrev_b32_e32 v3, 24, v4
	v_cmp_gt_i64_e64 s[36:37], 0, v[2:3]
	v_not_b32_e32 v2, v3
	v_ashrrev_i32_e32 v2, 31, v2
	v_xor_b32_e32 v3, s37, v2
	v_xor_b32_e32 v2, s36, v2
	; wave barrier
	ds_read_b32 v54, v58 offset:32
	v_and_b32_e32 v56, v56, v57
	v_and_b32_e32 v2, v5, v2
	;; [unrolled: 1-line block ×3, first 2 shown]
	v_mbcnt_lo_u32_b32 v4, v2, 0
	v_mbcnt_hi_u32_b32 v56, v3, v4
	v_cmp_eq_u32_e64 s[36:37], 0, v56
	v_cmp_ne_u64_e64 s[40:41], 0, v[2:3]
	s_and_b64 s[40:41], s[40:41], s[36:37]
	; wave barrier
	s_and_saveexec_b64 s[36:37], s[40:41]
	s_cbranch_execz .LBB179_57
; %bb.56:
	v_bcnt_u32_b32 v2, v2, 0
	v_bcnt_u32_b32 v2, v3, v2
	s_waitcnt lgkmcnt(0)
	v_add_u32_e32 v2, v54, v2
	ds_write_b32 v58, v2 offset:32
.LBB179_57:
	s_or_b64 exec, exec, s[36:37]
	v_lshrrev_b32_e32 v2, s56, v33
	v_and_b32_e32 v4, s69, v2
	v_and_b32_e32 v3, 1, v4
	v_add_co_u32_e64 v5, s[36:37], -1, v3
	v_addc_co_u32_e64 v59, s[36:37], 0, -1, s[36:37]
	v_cmp_ne_u32_e64 s[36:37], 0, v3
	v_lshl_add_u32 v2, v4, 3, v4
	v_xor_b32_e32 v3, s37, v59
	v_add_lshl_u32 v61, v21, v2, 2
	v_mov_b32_e32 v2, 0
	v_and_b32_e32 v59, exec_hi, v3
	v_lshlrev_b32_e32 v3, 30, v4
	v_xor_b32_e32 v5, s36, v5
	v_cmp_gt_i64_e64 s[36:37], 0, v[2:3]
	v_not_b32_e32 v3, v3
	v_ashrrev_i32_e32 v3, 31, v3
	v_and_b32_e32 v5, exec_lo, v5
	v_xor_b32_e32 v60, s37, v3
	v_xor_b32_e32 v3, s36, v3
	v_and_b32_e32 v5, v5, v3
	v_lshlrev_b32_e32 v3, 29, v4
	v_cmp_gt_i64_e64 s[36:37], 0, v[2:3]
	v_not_b32_e32 v3, v3
	v_ashrrev_i32_e32 v3, 31, v3
	v_and_b32_e32 v59, v59, v60
	v_xor_b32_e32 v60, s37, v3
	v_xor_b32_e32 v3, s36, v3
	v_and_b32_e32 v5, v5, v3
	v_lshlrev_b32_e32 v3, 28, v4
	v_cmp_gt_i64_e64 s[36:37], 0, v[2:3]
	v_not_b32_e32 v3, v3
	v_ashrrev_i32_e32 v3, 31, v3
	v_and_b32_e32 v59, v59, v60
	;; [unrolled: 8-line block ×5, first 2 shown]
	v_xor_b32_e32 v60, s37, v3
	v_xor_b32_e32 v3, s36, v3
	v_and_b32_e32 v59, v59, v60
	v_and_b32_e32 v60, v5, v3
	v_lshlrev_b32_e32 v3, 24, v4
	v_cmp_gt_i64_e64 s[36:37], 0, v[2:3]
	v_not_b32_e32 v3, v3
	v_ashrrev_i32_e32 v3, 31, v3
	v_xor_b32_e32 v4, s37, v3
	v_xor_b32_e32 v3, s36, v3
	; wave barrier
	ds_read_b32 v57, v61 offset:32
	v_and_b32_e32 v5, v59, v4
	v_and_b32_e32 v4, v60, v3
	v_mbcnt_lo_u32_b32 v3, v4, 0
	v_mbcnt_hi_u32_b32 v59, v5, v3
	v_cmp_eq_u32_e64 s[36:37], 0, v59
	v_cmp_ne_u64_e64 s[40:41], 0, v[4:5]
	s_and_b64 s[40:41], s[40:41], s[36:37]
	; wave barrier
	s_and_saveexec_b64 s[36:37], s[40:41]
	s_cbranch_execz .LBB179_59
; %bb.58:
	v_bcnt_u32_b32 v3, v4, 0
	v_bcnt_u32_b32 v3, v5, v3
	s_waitcnt lgkmcnt(0)
	v_add_u32_e32 v3, v57, v3
	ds_write_b32 v61, v3 offset:32
.LBB179_59:
	s_or_b64 exec, exec, s[36:37]
	v_lshrrev_b32_e32 v3, s56, v36
	v_and_b32_e32 v4, s69, v3
	v_lshl_add_u32 v3, v4, 3, v4
	v_add_lshl_u32 v62, v21, v3, 2
	v_and_b32_e32 v3, 1, v4
	v_add_co_u32_e64 v5, s[36:37], -1, v3
	v_addc_co_u32_e64 v63, s[36:37], 0, -1, s[36:37]
	v_cmp_ne_u32_e64 s[36:37], 0, v3
	v_xor_b32_e32 v3, s37, v63
	v_and_b32_e32 v63, exec_hi, v3
	v_lshlrev_b32_e32 v3, 30, v4
	v_xor_b32_e32 v5, s36, v5
	v_cmp_gt_i64_e64 s[36:37], 0, v[2:3]
	v_not_b32_e32 v3, v3
	v_ashrrev_i32_e32 v3, 31, v3
	v_and_b32_e32 v5, exec_lo, v5
	v_xor_b32_e32 v64, s37, v3
	v_xor_b32_e32 v3, s36, v3
	v_and_b32_e32 v5, v5, v3
	v_lshlrev_b32_e32 v3, 29, v4
	v_cmp_gt_i64_e64 s[36:37], 0, v[2:3]
	v_not_b32_e32 v3, v3
	v_ashrrev_i32_e32 v3, 31, v3
	v_and_b32_e32 v63, v63, v64
	v_xor_b32_e32 v64, s37, v3
	v_xor_b32_e32 v3, s36, v3
	v_and_b32_e32 v5, v5, v3
	v_lshlrev_b32_e32 v3, 28, v4
	v_cmp_gt_i64_e64 s[36:37], 0, v[2:3]
	v_not_b32_e32 v3, v3
	v_ashrrev_i32_e32 v3, 31, v3
	v_and_b32_e32 v63, v63, v64
	v_xor_b32_e32 v64, s37, v3
	v_xor_b32_e32 v3, s36, v3
	v_and_b32_e32 v5, v5, v3
	v_lshlrev_b32_e32 v3, 27, v4
	v_cmp_gt_i64_e64 s[36:37], 0, v[2:3]
	v_not_b32_e32 v3, v3
	v_ashrrev_i32_e32 v3, 31, v3
	v_and_b32_e32 v63, v63, v64
	v_xor_b32_e32 v64, s37, v3
	v_xor_b32_e32 v3, s36, v3
	v_and_b32_e32 v5, v5, v3
	v_lshlrev_b32_e32 v3, 26, v4
	v_cmp_gt_i64_e64 s[36:37], 0, v[2:3]
	v_not_b32_e32 v3, v3
	v_ashrrev_i32_e32 v3, 31, v3
	v_and_b32_e32 v63, v63, v64
	v_xor_b32_e32 v64, s37, v3
	v_xor_b32_e32 v3, s36, v3
	v_and_b32_e32 v5, v5, v3
	v_lshlrev_b32_e32 v3, 25, v4
	v_cmp_gt_i64_e64 s[36:37], 0, v[2:3]
	v_not_b32_e32 v3, v3
	v_ashrrev_i32_e32 v3, 31, v3
	v_and_b32_e32 v63, v63, v64
	v_xor_b32_e32 v64, s37, v3
	v_xor_b32_e32 v3, s36, v3
	v_and_b32_e32 v5, v5, v3
	v_lshlrev_b32_e32 v3, 24, v4
	v_cmp_gt_i64_e64 s[36:37], 0, v[2:3]
	v_not_b32_e32 v2, v3
	v_ashrrev_i32_e32 v2, 31, v2
	v_xor_b32_e32 v3, s37, v2
	v_xor_b32_e32 v2, s36, v2
	; wave barrier
	ds_read_b32 v60, v62 offset:32
	v_and_b32_e32 v63, v63, v64
	v_and_b32_e32 v2, v5, v2
	;; [unrolled: 1-line block ×3, first 2 shown]
	v_mbcnt_lo_u32_b32 v4, v2, 0
	v_mbcnt_hi_u32_b32 v66, v3, v4
	v_cmp_eq_u32_e64 s[36:37], 0, v66
	v_cmp_ne_u64_e64 s[40:41], 0, v[2:3]
	s_and_b64 s[40:41], s[40:41], s[36:37]
	; wave barrier
	s_and_saveexec_b64 s[36:37], s[40:41]
	s_cbranch_execz .LBB179_61
; %bb.60:
	v_bcnt_u32_b32 v2, v2, 0
	v_bcnt_u32_b32 v2, v3, v2
	s_waitcnt lgkmcnt(0)
	v_add_u32_e32 v2, v60, v2
	ds_write_b32 v62, v2 offset:32
.LBB179_61:
	s_or_b64 exec, exec, s[36:37]
	v_lshrrev_b32_e32 v2, s56, v35
	v_and_b32_e32 v4, s69, v2
	v_and_b32_e32 v3, 1, v4
	v_add_co_u32_e64 v5, s[36:37], -1, v3
	v_addc_co_u32_e64 v64, s[36:37], 0, -1, s[36:37]
	v_cmp_ne_u32_e64 s[36:37], 0, v3
	v_lshl_add_u32 v2, v4, 3, v4
	v_xor_b32_e32 v3, s37, v64
	v_add_lshl_u32 v63, v21, v2, 2
	v_mov_b32_e32 v2, 0
	v_and_b32_e32 v64, exec_hi, v3
	v_lshlrev_b32_e32 v3, 30, v4
	v_xor_b32_e32 v5, s36, v5
	v_cmp_gt_i64_e64 s[36:37], 0, v[2:3]
	v_not_b32_e32 v3, v3
	v_ashrrev_i32_e32 v3, 31, v3
	v_and_b32_e32 v5, exec_lo, v5
	v_xor_b32_e32 v67, s37, v3
	v_xor_b32_e32 v3, s36, v3
	v_and_b32_e32 v5, v5, v3
	v_lshlrev_b32_e32 v3, 29, v4
	v_cmp_gt_i64_e64 s[36:37], 0, v[2:3]
	v_not_b32_e32 v3, v3
	v_ashrrev_i32_e32 v3, 31, v3
	v_and_b32_e32 v64, v64, v67
	v_xor_b32_e32 v67, s37, v3
	v_xor_b32_e32 v3, s36, v3
	v_and_b32_e32 v5, v5, v3
	v_lshlrev_b32_e32 v3, 28, v4
	v_cmp_gt_i64_e64 s[36:37], 0, v[2:3]
	v_not_b32_e32 v3, v3
	v_ashrrev_i32_e32 v3, 31, v3
	v_and_b32_e32 v64, v64, v67
	;; [unrolled: 8-line block ×5, first 2 shown]
	v_xor_b32_e32 v67, s37, v3
	v_xor_b32_e32 v3, s36, v3
	v_and_b32_e32 v64, v64, v67
	v_and_b32_e32 v67, v5, v3
	v_lshlrev_b32_e32 v3, 24, v4
	v_cmp_gt_i64_e64 s[36:37], 0, v[2:3]
	v_not_b32_e32 v3, v3
	v_ashrrev_i32_e32 v3, 31, v3
	v_xor_b32_e32 v4, s37, v3
	v_xor_b32_e32 v3, s36, v3
	; wave barrier
	ds_read_b32 v65, v63 offset:32
	v_and_b32_e32 v5, v64, v4
	v_and_b32_e32 v4, v67, v3
	v_mbcnt_lo_u32_b32 v3, v4, 0
	v_mbcnt_hi_u32_b32 v67, v5, v3
	v_cmp_eq_u32_e64 s[36:37], 0, v67
	v_cmp_ne_u64_e64 s[40:41], 0, v[4:5]
	s_and_b64 s[40:41], s[40:41], s[36:37]
	; wave barrier
	s_and_saveexec_b64 s[36:37], s[40:41]
	s_cbranch_execz .LBB179_63
; %bb.62:
	v_bcnt_u32_b32 v3, v4, 0
	v_bcnt_u32_b32 v3, v5, v3
	s_waitcnt lgkmcnt(0)
	v_add_u32_e32 v3, v65, v3
	ds_write_b32 v63, v3 offset:32
.LBB179_63:
	s_or_b64 exec, exec, s[36:37]
	v_lshrrev_b32_e32 v3, s56, v38
	v_and_b32_e32 v4, s69, v3
	v_lshl_add_u32 v3, v4, 3, v4
	v_add_lshl_u32 v70, v21, v3, 2
	v_and_b32_e32 v3, 1, v4
	v_add_co_u32_e64 v5, s[36:37], -1, v3
	v_addc_co_u32_e64 v68, s[36:37], 0, -1, s[36:37]
	v_cmp_ne_u32_e64 s[36:37], 0, v3
	v_xor_b32_e32 v3, s37, v68
	v_and_b32_e32 v68, exec_hi, v3
	v_lshlrev_b32_e32 v3, 30, v4
	v_xor_b32_e32 v5, s36, v5
	v_cmp_gt_i64_e64 s[36:37], 0, v[2:3]
	v_not_b32_e32 v3, v3
	v_ashrrev_i32_e32 v3, 31, v3
	v_and_b32_e32 v5, exec_lo, v5
	v_xor_b32_e32 v69, s37, v3
	v_xor_b32_e32 v3, s36, v3
	v_and_b32_e32 v5, v5, v3
	v_lshlrev_b32_e32 v3, 29, v4
	v_cmp_gt_i64_e64 s[36:37], 0, v[2:3]
	v_not_b32_e32 v3, v3
	v_ashrrev_i32_e32 v3, 31, v3
	v_and_b32_e32 v68, v68, v69
	v_xor_b32_e32 v69, s37, v3
	v_xor_b32_e32 v3, s36, v3
	v_and_b32_e32 v5, v5, v3
	v_lshlrev_b32_e32 v3, 28, v4
	v_cmp_gt_i64_e64 s[36:37], 0, v[2:3]
	v_not_b32_e32 v3, v3
	v_ashrrev_i32_e32 v3, 31, v3
	v_and_b32_e32 v68, v68, v69
	v_xor_b32_e32 v69, s37, v3
	v_xor_b32_e32 v3, s36, v3
	v_and_b32_e32 v5, v5, v3
	v_lshlrev_b32_e32 v3, 27, v4
	v_cmp_gt_i64_e64 s[36:37], 0, v[2:3]
	v_not_b32_e32 v3, v3
	v_ashrrev_i32_e32 v3, 31, v3
	v_and_b32_e32 v68, v68, v69
	v_xor_b32_e32 v69, s37, v3
	v_xor_b32_e32 v3, s36, v3
	v_and_b32_e32 v5, v5, v3
	v_lshlrev_b32_e32 v3, 26, v4
	v_cmp_gt_i64_e64 s[36:37], 0, v[2:3]
	v_not_b32_e32 v3, v3
	v_ashrrev_i32_e32 v3, 31, v3
	v_and_b32_e32 v68, v68, v69
	v_xor_b32_e32 v69, s37, v3
	v_xor_b32_e32 v3, s36, v3
	v_and_b32_e32 v5, v5, v3
	v_lshlrev_b32_e32 v3, 25, v4
	v_cmp_gt_i64_e64 s[36:37], 0, v[2:3]
	v_not_b32_e32 v3, v3
	v_ashrrev_i32_e32 v3, 31, v3
	v_and_b32_e32 v68, v68, v69
	v_xor_b32_e32 v69, s37, v3
	v_xor_b32_e32 v3, s36, v3
	v_and_b32_e32 v5, v5, v3
	v_lshlrev_b32_e32 v3, 24, v4
	v_cmp_gt_i64_e64 s[36:37], 0, v[2:3]
	v_not_b32_e32 v2, v3
	v_ashrrev_i32_e32 v2, 31, v2
	v_xor_b32_e32 v3, s37, v2
	v_xor_b32_e32 v2, s36, v2
	; wave barrier
	ds_read_b32 v64, v70 offset:32
	v_and_b32_e32 v68, v68, v69
	v_and_b32_e32 v2, v5, v2
	;; [unrolled: 1-line block ×3, first 2 shown]
	v_mbcnt_lo_u32_b32 v4, v2, 0
	v_mbcnt_hi_u32_b32 v68, v3, v4
	v_cmp_eq_u32_e64 s[36:37], 0, v68
	v_cmp_ne_u64_e64 s[40:41], 0, v[2:3]
	s_and_b64 s[40:41], s[40:41], s[36:37]
	; wave barrier
	s_and_saveexec_b64 s[36:37], s[40:41]
	s_cbranch_execz .LBB179_65
; %bb.64:
	v_bcnt_u32_b32 v2, v2, 0
	v_bcnt_u32_b32 v2, v3, v2
	s_waitcnt lgkmcnt(0)
	v_add_u32_e32 v2, v64, v2
	ds_write_b32 v70, v2 offset:32
.LBB179_65:
	s_or_b64 exec, exec, s[36:37]
	v_lshrrev_b32_e32 v2, s56, v37
	v_and_b32_e32 v4, s69, v2
	v_and_b32_e32 v3, 1, v4
	v_add_co_u32_e64 v5, s[36:37], -1, v3
	v_addc_co_u32_e64 v71, s[36:37], 0, -1, s[36:37]
	v_cmp_ne_u32_e64 s[36:37], 0, v3
	v_lshl_add_u32 v2, v4, 3, v4
	v_xor_b32_e32 v3, s37, v71
	v_add_lshl_u32 v72, v21, v2, 2
	v_mov_b32_e32 v2, 0
	v_and_b32_e32 v71, exec_hi, v3
	v_lshlrev_b32_e32 v3, 30, v4
	v_xor_b32_e32 v5, s36, v5
	v_cmp_gt_i64_e64 s[36:37], 0, v[2:3]
	v_not_b32_e32 v3, v3
	v_ashrrev_i32_e32 v3, 31, v3
	v_and_b32_e32 v5, exec_lo, v5
	v_xor_b32_e32 v73, s37, v3
	v_xor_b32_e32 v3, s36, v3
	v_and_b32_e32 v5, v5, v3
	v_lshlrev_b32_e32 v3, 29, v4
	v_cmp_gt_i64_e64 s[36:37], 0, v[2:3]
	v_not_b32_e32 v3, v3
	v_ashrrev_i32_e32 v3, 31, v3
	v_and_b32_e32 v71, v71, v73
	v_xor_b32_e32 v73, s37, v3
	v_xor_b32_e32 v3, s36, v3
	v_and_b32_e32 v5, v5, v3
	v_lshlrev_b32_e32 v3, 28, v4
	v_cmp_gt_i64_e64 s[36:37], 0, v[2:3]
	v_not_b32_e32 v3, v3
	v_ashrrev_i32_e32 v3, 31, v3
	v_and_b32_e32 v71, v71, v73
	;; [unrolled: 8-line block ×5, first 2 shown]
	v_xor_b32_e32 v73, s37, v3
	v_xor_b32_e32 v3, s36, v3
	v_and_b32_e32 v71, v71, v73
	v_and_b32_e32 v73, v5, v3
	v_lshlrev_b32_e32 v3, 24, v4
	v_cmp_gt_i64_e64 s[36:37], 0, v[2:3]
	v_not_b32_e32 v3, v3
	v_ashrrev_i32_e32 v3, 31, v3
	v_xor_b32_e32 v4, s37, v3
	v_xor_b32_e32 v3, s36, v3
	; wave barrier
	ds_read_b32 v69, v72 offset:32
	v_and_b32_e32 v5, v71, v4
	v_and_b32_e32 v4, v73, v3
	v_mbcnt_lo_u32_b32 v3, v4, 0
	v_mbcnt_hi_u32_b32 v71, v5, v3
	v_cmp_eq_u32_e64 s[36:37], 0, v71
	v_cmp_ne_u64_e64 s[40:41], 0, v[4:5]
	s_and_b64 s[40:41], s[40:41], s[36:37]
	; wave barrier
	s_and_saveexec_b64 s[36:37], s[40:41]
	s_cbranch_execz .LBB179_67
; %bb.66:
	v_bcnt_u32_b32 v3, v4, 0
	v_bcnt_u32_b32 v3, v5, v3
	s_waitcnt lgkmcnt(0)
	v_add_u32_e32 v3, v69, v3
	ds_write_b32 v72, v3 offset:32
.LBB179_67:
	s_or_b64 exec, exec, s[36:37]
	v_lshrrev_b32_e32 v3, s56, v39
	v_and_b32_e32 v4, s69, v3
	v_lshl_add_u32 v3, v4, 3, v4
	v_add_lshl_u32 v74, v21, v3, 2
	v_and_b32_e32 v3, 1, v4
	v_add_co_u32_e64 v5, s[36:37], -1, v3
	v_addc_co_u32_e64 v73, s[36:37], 0, -1, s[36:37]
	v_cmp_ne_u32_e64 s[36:37], 0, v3
	v_xor_b32_e32 v3, s37, v73
	v_and_b32_e32 v73, exec_hi, v3
	v_lshlrev_b32_e32 v3, 30, v4
	v_xor_b32_e32 v5, s36, v5
	v_cmp_gt_i64_e64 s[36:37], 0, v[2:3]
	v_not_b32_e32 v3, v3
	v_ashrrev_i32_e32 v3, 31, v3
	v_and_b32_e32 v5, exec_lo, v5
	v_xor_b32_e32 v76, s37, v3
	v_xor_b32_e32 v3, s36, v3
	v_and_b32_e32 v5, v5, v3
	v_lshlrev_b32_e32 v3, 29, v4
	v_cmp_gt_i64_e64 s[36:37], 0, v[2:3]
	v_not_b32_e32 v3, v3
	v_ashrrev_i32_e32 v3, 31, v3
	v_and_b32_e32 v73, v73, v76
	v_xor_b32_e32 v76, s37, v3
	v_xor_b32_e32 v3, s36, v3
	v_and_b32_e32 v5, v5, v3
	v_lshlrev_b32_e32 v3, 28, v4
	v_cmp_gt_i64_e64 s[36:37], 0, v[2:3]
	v_not_b32_e32 v3, v3
	v_ashrrev_i32_e32 v3, 31, v3
	v_and_b32_e32 v73, v73, v76
	;; [unrolled: 8-line block ×5, first 2 shown]
	v_xor_b32_e32 v76, s37, v3
	v_xor_b32_e32 v3, s36, v3
	v_and_b32_e32 v5, v5, v3
	v_lshlrev_b32_e32 v3, 24, v4
	v_cmp_gt_i64_e64 s[36:37], 0, v[2:3]
	v_not_b32_e32 v2, v3
	v_ashrrev_i32_e32 v2, 31, v2
	v_xor_b32_e32 v3, s37, v2
	v_xor_b32_e32 v2, s36, v2
	; wave barrier
	ds_read_b32 v21, v74 offset:32
	v_and_b32_e32 v73, v73, v76
	v_and_b32_e32 v2, v5, v2
	;; [unrolled: 1-line block ×3, first 2 shown]
	v_mbcnt_lo_u32_b32 v4, v2, 0
	v_mbcnt_hi_u32_b32 v73, v3, v4
	v_cmp_eq_u32_e64 s[36:37], 0, v73
	v_cmp_ne_u64_e64 s[40:41], 0, v[2:3]
	v_add_u32_e32 v75, 32, v7
	s_and_b64 s[40:41], s[40:41], s[36:37]
	; wave barrier
	s_and_saveexec_b64 s[36:37], s[40:41]
	s_cbranch_execz .LBB179_69
; %bb.68:
	v_bcnt_u32_b32 v2, v2, 0
	v_bcnt_u32_b32 v2, v3, v2
	s_waitcnt lgkmcnt(0)
	v_add_u32_e32 v2, v21, v2
	ds_write_b32 v74, v2 offset:32
.LBB179_69:
	s_or_b64 exec, exec, s[36:37]
	; wave barrier
	s_waitcnt lgkmcnt(0)
	s_barrier
	ds_read2_b32 v[4:5], v7 offset0:8 offset1:9
	ds_read2_b32 v[2:3], v75 offset0:2 offset1:3
	ds_read_b32 v76, v75 offset:16
	s_waitcnt lgkmcnt(1)
	v_add3_u32 v77, v5, v4, v2
	s_waitcnt lgkmcnt(0)
	v_add3_u32 v76, v77, v3, v76
	v_and_b32_e32 v77, 15, v6
	v_cmp_ne_u32_e64 s[36:37], 0, v77
	v_mov_b32_dpp v78, v76 row_shr:1 row_mask:0xf bank_mask:0xf
	v_cndmask_b32_e64 v78, 0, v78, s[36:37]
	v_add_u32_e32 v76, v78, v76
	v_cmp_lt_u32_e64 s[36:37], 1, v77
	s_nop 0
	v_mov_b32_dpp v78, v76 row_shr:2 row_mask:0xf bank_mask:0xf
	v_cndmask_b32_e64 v78, 0, v78, s[36:37]
	v_add_u32_e32 v76, v76, v78
	v_cmp_lt_u32_e64 s[36:37], 3, v77
	s_nop 0
	;; [unrolled: 5-line block ×3, first 2 shown]
	v_mov_b32_dpp v78, v76 row_shr:8 row_mask:0xf bank_mask:0xf
	v_cndmask_b32_e64 v77, 0, v78, s[36:37]
	v_add_u32_e32 v76, v76, v77
	v_bfe_i32 v78, v6, 4, 1
	v_cmp_lt_u32_e64 s[36:37], 31, v6
	v_mov_b32_dpp v77, v76 row_bcast:15 row_mask:0xf bank_mask:0xf
	v_and_b32_e32 v77, v78, v77
	v_add_u32_e32 v76, v76, v77
	v_and_b32_e32 v78, 0x3c0, v18
	v_min_u32_e32 v78, 0x1c0, v78
	v_mov_b32_dpp v77, v76 row_bcast:31 row_mask:0xf bank_mask:0xf
	v_cndmask_b32_e64 v77, 0, v77, s[36:37]
	v_or_b32_e32 v78, 63, v78
	v_add_u32_e32 v76, v76, v77
	v_lshrrev_b32_e32 v77, 6, v18
	v_cmp_eq_u32_e64 s[36:37], v78, v18
	s_and_saveexec_b64 s[40:41], s[36:37]
	s_cbranch_execz .LBB179_71
; %bb.70:
	v_lshlrev_b32_e32 v78, 2, v77
	ds_write_b32 v78, v76
.LBB179_71:
	s_or_b64 exec, exec, s[40:41]
	v_cmp_gt_u32_e64 s[36:37], 8, v18
	s_waitcnt lgkmcnt(0)
	s_barrier
	s_and_saveexec_b64 s[60:61], s[36:37]
	s_cbranch_execz .LBB179_73
; %bb.72:
	v_lshlrev_b32_e32 v78, 2, v18
	ds_read_b32 v79, v78
	v_and_b32_e32 v80, 7, v6
	v_cmp_ne_u32_e64 s[36:37], 0, v80
	v_cmp_lt_u32_e64 s[40:41], 1, v80
	s_waitcnt lgkmcnt(0)
	v_mov_b32_dpp v81, v79 row_shr:1 row_mask:0xf bank_mask:0xf
	v_cndmask_b32_e64 v81, 0, v81, s[36:37]
	v_add_u32_e32 v79, v81, v79
	v_cmp_lt_u32_e64 s[36:37], 3, v80
	s_nop 0
	v_mov_b32_dpp v81, v79 row_shr:2 row_mask:0xf bank_mask:0xf
	v_cndmask_b32_e64 v81, 0, v81, s[40:41]
	v_add_u32_e32 v79, v79, v81
	s_nop 1
	v_mov_b32_dpp v81, v79 row_shr:4 row_mask:0xf bank_mask:0xf
	v_cndmask_b32_e64 v80, 0, v81, s[36:37]
	v_add_u32_e32 v79, v79, v80
	ds_write_b32 v78, v79
.LBB179_73:
	s_or_b64 exec, exec, s[60:61]
	v_cmp_lt_u32_e64 s[36:37], 63, v18
	v_mov_b32_e32 v78, 0
	s_waitcnt lgkmcnt(0)
	s_barrier
	s_and_saveexec_b64 s[40:41], s[36:37]
	s_cbranch_execz .LBB179_75
; %bb.74:
	v_lshl_add_u32 v77, v77, 2, -4
	ds_read_b32 v78, v77
.LBB179_75:
	s_or_b64 exec, exec, s[40:41]
	v_add_u32_e32 v77, -1, v6
	v_and_b32_e32 v79, 64, v6
	v_cmp_lt_i32_e64 s[36:37], v77, v79
	v_cndmask_b32_e64 v77, v77, v6, s[36:37]
	s_waitcnt lgkmcnt(0)
	v_add_u32_e32 v76, v78, v76
	v_lshlrev_b32_e32 v77, 2, v77
	ds_bpermute_b32 v76, v77, v76
	v_cmp_eq_u32_e64 s[36:37], 0, v6
	s_waitcnt lgkmcnt(0)
	v_cndmask_b32_e64 v6, v76, v78, s[36:37]
	v_cndmask_b32_e64 v6, v6, 0, s[0:1]
	v_add_u32_e32 v4, v6, v4
	v_add_u32_e32 v5, v4, v5
	;; [unrolled: 1-line block ×4, first 2 shown]
	ds_write2_b32 v7, v6, v4 offset0:8 offset1:9
	ds_write2_b32 v75, v5, v2 offset0:2 offset1:3
	ds_write_b32 v75, v3 offset:16
	s_waitcnt lgkmcnt(0)
	s_barrier
	ds_read_b32 v78, v12 offset:32
	ds_read_b32 v12, v13 offset:32
	;; [unrolled: 1-line block ×16, first 2 shown]
	s_movk_i32 s36, 0x100
	v_cmp_gt_u32_e64 s[36:37], s36, v18
                                        ; implicit-def: $vgpr55
                                        ; implicit-def: $vgpr58
	s_and_saveexec_b64 s[60:61], s[36:37]
	s_cbranch_execz .LBB179_79
; %bb.76:
	v_mul_u32_u24_e32 v2, 9, v18
	v_lshlrev_b32_e32 v3, 2, v2
	ds_read_b32 v55, v3 offset:32
	s_movk_i32 s40, 0xff
	v_cmp_ne_u32_e64 s[40:41], s40, v18
	v_mov_b32_e32 v2, 0x2000
	s_and_saveexec_b64 s[62:63], s[40:41]
	s_cbranch_execz .LBB179_78
; %bb.77:
	ds_read_b32 v2, v3 offset:68
.LBB179_78:
	s_or_b64 exec, exec, s[62:63]
	s_waitcnt lgkmcnt(0)
	v_sub_u32_e32 v58, v2, v55
.LBB179_79:
	s_or_b64 exec, exec, s[60:61]
	s_waitcnt lgkmcnt(0)
	s_barrier
	s_and_saveexec_b64 s[60:61], s[36:37]
	s_cbranch_execz .LBB179_89
; %bb.80:
	v_lshl_or_b32 v2, s33, 8, v18
	v_mov_b32_e32 v3, 0
	v_lshlrev_b64 v[4:5], 2, v[2:3]
	v_mov_b32_e32 v40, s43
	v_add_co_u32_e64 v4, s[40:41], s42, v4
	v_addc_co_u32_e64 v5, s[40:41], v40, v5, s[40:41]
	v_or_b32_e32 v2, 2.0, v58
	s_mov_b64 s[62:63], 0
	s_brev_b32 s70, 1
	s_mov_b32 s71, s33
	v_mov_b32_e32 v43, 0
	global_store_dword v[4:5], v2, off
                                        ; implicit-def: $sgpr40_sgpr41
	s_branch .LBB179_82
.LBB179_81:                             ;   in Loop: Header=BB179_82 Depth=1
	s_or_b64 exec, exec, s[64:65]
	v_and_b32_e32 v6, 0x3fffffff, v61
	v_add_u32_e32 v43, v6, v43
	v_cmp_eq_u32_e64 s[40:41], s70, v2
	s_and_b64 s[64:65], exec, s[40:41]
	s_or_b64 s[62:63], s[64:65], s[62:63]
	s_andn2_b64 exec, exec, s[62:63]
	s_cbranch_execz .LBB179_88
.LBB179_82:                             ; =>This Loop Header: Depth=1
                                        ;     Child Loop BB179_85 Depth 2
	s_or_b64 s[40:41], s[40:41], exec
	s_cmp_eq_u32 s71, 0
	s_cbranch_scc1 .LBB179_87
; %bb.83:                               ;   in Loop: Header=BB179_82 Depth=1
	s_add_i32 s71, s71, -1
	v_lshl_or_b32 v2, s71, 8, v18
	v_lshlrev_b64 v[6:7], 2, v[2:3]
	v_add_co_u32_e64 v6, s[40:41], s42, v6
	v_addc_co_u32_e64 v7, s[40:41], v40, v7, s[40:41]
	global_load_dword v61, v[6:7], off glc
	s_waitcnt vmcnt(0)
	v_and_b32_e32 v2, -2.0, v61
	v_cmp_eq_u32_e64 s[40:41], 0, v2
	s_and_saveexec_b64 s[64:65], s[40:41]
	s_cbranch_execz .LBB179_81
; %bb.84:                               ;   in Loop: Header=BB179_82 Depth=1
	s_mov_b64 s[66:67], 0
.LBB179_85:                             ;   Parent Loop BB179_82 Depth=1
                                        ; =>  This Inner Loop Header: Depth=2
	global_load_dword v61, v[6:7], off glc
	s_waitcnt vmcnt(0)
	v_and_b32_e32 v2, -2.0, v61
	v_cmp_ne_u32_e64 s[40:41], 0, v2
	s_or_b64 s[66:67], s[40:41], s[66:67]
	s_andn2_b64 exec, exec, s[66:67]
	s_cbranch_execnz .LBB179_85
; %bb.86:                               ;   in Loop: Header=BB179_82 Depth=1
	s_or_b64 exec, exec, s[66:67]
	s_branch .LBB179_81
.LBB179_87:                             ;   in Loop: Header=BB179_82 Depth=1
                                        ; implicit-def: $sgpr71
	s_and_b64 s[64:65], exec, s[40:41]
	s_or_b64 s[62:63], s[64:65], s[62:63]
	s_andn2_b64 exec, exec, s[62:63]
	s_cbranch_execnz .LBB179_82
.LBB179_88:
	s_or_b64 exec, exec, s[62:63]
	v_add_u32_e32 v2, v43, v58
	v_or_b32_e32 v2, 0x80000000, v2
	global_store_dword v[4:5], v2, off
	v_lshlrev_b32_e32 v2, 2, v18
	global_load_dword v3, v2, s[52:53]
	v_sub_u32_e32 v4, v43, v55
	s_waitcnt vmcnt(0)
	v_add_u32_e32 v3, v4, v3
	ds_write_b32 v2, v3
.LBB179_89:
	s_or_b64 exec, exec, s[60:61]
	v_lshlrev_b32_e32 v40, 2, v18
	v_add_u32_e32 v61, v78, v8
	s_movk_i32 s62, 0x400
	v_add_u32_e32 v43, 0x400, v40
	v_add3_u32 v62, v73, v62, v21
	v_add3_u32 v63, v71, v63, v69
	;; [unrolled: 1-line block ×15, first 2 shown]
	s_mov_b32 s63, 0
	v_mov_b32_e32 v21, 0
	s_movk_i32 s64, 0x200
	s_movk_i32 s65, 0x600
	v_mov_b32_e32 v41, v18
	s_mov_b32 s66, 0
                                        ; implicit-def: $vgpr2_vgpr3_vgpr4_vgpr5_vgpr6_vgpr7_vgpr8_vgpr9_vgpr10_vgpr11_vgpr12_vgpr13_vgpr14_vgpr15_vgpr16_vgpr17
	s_branch .LBB179_91
.LBB179_90:                             ;   in Loop: Header=BB179_91 Depth=1
	s_or_b64 exec, exec, s[60:61]
	s_addk_i32 s66, 0xf800
	s_add_i32 s63, s63, 4
	s_cmpk_eq_i32 s66, 0xe000
	v_add_u32_e32 v41, 0x800, v41
	s_barrier
	s_cbranch_scc1 .LBB179_100
.LBB179_91:                             ; =>This Inner Loop Header: Depth=1
	v_add_u32_e32 v20, s66, v61
	v_min_u32_e32 v20, 0x800, v20
	v_lshlrev_b32_e32 v20, 2, v20
	ds_write_b32 v20, v25 offset:1024
	v_add_u32_e32 v20, s66, v71
	v_min_u32_e32 v20, 0x800, v20
	v_lshlrev_b32_e32 v20, 2, v20
	ds_write_b32 v20, v26 offset:1024
	;; [unrolled: 4-line block ×15, first 2 shown]
	v_add_u32_e32 v20, s66, v62
	v_min_u32_e32 v20, 0x800, v20
	v_lshlrev_b32_e32 v20, 2, v20
	v_cmp_gt_u32_e64 s[40:41], s7, v41
	ds_write_b32 v20, v39 offset:1024
	s_waitcnt lgkmcnt(0)
	s_barrier
	s_and_saveexec_b64 s[60:61], s[40:41]
	s_cbranch_execz .LBB179_93
; %bb.92:                               ;   in Loop: Header=BB179_91 Depth=1
	ds_read_b32 v42, v40 offset:1024
	v_mov_b32_e32 v47, s47
	s_waitcnt lgkmcnt(0)
	v_lshrrev_b32_e32 v20, s56, v42
	v_and_b32_e32 v46, s69, v20
	v_lshlrev_b32_e32 v20, 2, v46
	ds_read_b32 v20, v20
	s_waitcnt lgkmcnt(0)
	v_add_u32_e32 v20, v41, v20
	v_lshlrev_b64 v[44:45], 2, v[20:21]
	v_add_co_u32_e64 v44, s[40:41], s46, v44
	v_addc_co_u32_e64 v45, s[40:41], v47, v45, s[40:41]
	global_store_dword v[44:45], v42, off
	s_set_gpr_idx_on s63, gpr_idx(DST)
	v_mov_b32_e32 v2, v46
	s_set_gpr_idx_off
.LBB179_93:                             ;   in Loop: Header=BB179_91 Depth=1
	s_or_b64 exec, exec, s[60:61]
	v_add_u32_e32 v20, 0x200, v41
	v_cmp_gt_u32_e64 s[40:41], s7, v20
	s_and_saveexec_b64 s[60:61], s[40:41]
	s_cbranch_execz .LBB179_95
; %bb.94:                               ;   in Loop: Header=BB179_91 Depth=1
	ds_read_b32 v42, v43 offset:2048
	v_mov_b32_e32 v47, s47
	s_add_i32 s67, s63, 1
	s_waitcnt lgkmcnt(0)
	v_lshrrev_b32_e32 v20, s56, v42
	v_and_b32_e32 v46, s69, v20
	v_lshlrev_b32_e32 v20, 2, v46
	ds_read_b32 v20, v20
	s_waitcnt lgkmcnt(0)
	v_add3_u32 v20, v41, v20, s64
	v_lshlrev_b64 v[44:45], 2, v[20:21]
	v_add_co_u32_e64 v44, s[40:41], s46, v44
	v_addc_co_u32_e64 v45, s[40:41], v47, v45, s[40:41]
	global_store_dword v[44:45], v42, off
	s_set_gpr_idx_on s67, gpr_idx(DST)
	v_mov_b32_e32 v2, v46
	s_set_gpr_idx_off
.LBB179_95:                             ;   in Loop: Header=BB179_91 Depth=1
	s_or_b64 exec, exec, s[60:61]
	v_add_u32_e32 v20, 0x400, v41
	v_cmp_gt_u32_e64 s[40:41], s7, v20
	s_and_saveexec_b64 s[60:61], s[40:41]
	s_cbranch_execz .LBB179_97
; %bb.96:                               ;   in Loop: Header=BB179_91 Depth=1
	ds_read_b32 v42, v43 offset:4096
	v_mov_b32_e32 v47, s47
	s_add_i32 s67, s63, 2
	s_waitcnt lgkmcnt(0)
	v_lshrrev_b32_e32 v20, s56, v42
	v_and_b32_e32 v46, s69, v20
	v_lshlrev_b32_e32 v20, 2, v46
	ds_read_b32 v20, v20
	s_waitcnt lgkmcnt(0)
	v_add3_u32 v20, v41, v20, s62
	v_lshlrev_b64 v[44:45], 2, v[20:21]
	v_add_co_u32_e64 v44, s[40:41], s46, v44
	v_addc_co_u32_e64 v45, s[40:41], v47, v45, s[40:41]
	global_store_dword v[44:45], v42, off
	s_set_gpr_idx_on s67, gpr_idx(DST)
	v_mov_b32_e32 v2, v46
	s_set_gpr_idx_off
.LBB179_97:                             ;   in Loop: Header=BB179_91 Depth=1
	s_or_b64 exec, exec, s[60:61]
	v_add_u32_e32 v20, 0x600, v41
	v_cmp_gt_u32_e64 s[40:41], s7, v20
	s_and_saveexec_b64 s[60:61], s[40:41]
	s_cbranch_execz .LBB179_90
; %bb.98:                               ;   in Loop: Header=BB179_91 Depth=1
	ds_read_b32 v42, v43 offset:6144
	v_mov_b32_e32 v47, s47
	s_add_i32 s67, s63, 3
	s_waitcnt lgkmcnt(0)
	v_lshrrev_b32_e32 v20, s56, v42
	v_and_b32_e32 v46, s69, v20
	v_lshlrev_b32_e32 v20, 2, v46
	ds_read_b32 v20, v20
	s_waitcnt lgkmcnt(0)
	v_add3_u32 v20, v41, v20, s65
	v_lshlrev_b64 v[44:45], 2, v[20:21]
	v_add_co_u32_e64 v44, s[40:41], s46, v44
	v_addc_co_u32_e64 v45, s[40:41], v47, v45, s[40:41]
	global_store_dword v[44:45], v42, off
	s_set_gpr_idx_on s67, gpr_idx(DST)
	v_mov_b32_e32 v2, v46
	s_set_gpr_idx_off
	s_branch .LBB179_90
.LBB179_99:
	s_mov_b64 s[8:9], 0
                                        ; implicit-def: $vgpr2
	s_cbranch_execnz .LBB179_141
	s_branch .LBB179_200
.LBB179_100:
	s_lshl_b64 s[40:41], s[58:59], 3
	s_add_u32 s40, s48, s40
	s_addc_u32 s41, s49, s41
	v_lshlrev_b32_e32 v20, 3, v23
	v_mov_b32_e32 v21, s41
	v_add_co_u32_e64 v20, s[40:41], s40, v20
	v_addc_co_u32_e64 v21, s[40:41], 0, v21, s[40:41]
	v_lshlrev_b32_e32 v22, 3, v22
	v_add_co_u32_e64 v40, s[40:41], v20, v22
	v_addc_co_u32_e64 v41, s[40:41], 0, v21, s[40:41]
	v_mov_b32_e32 v20, 0
	v_mov_b32_e32 v22, 0
	;; [unrolled: 1-line block ×3, first 2 shown]
	s_and_saveexec_b64 s[40:41], s[34:35]
	s_cbranch_execz .LBB179_102
; %bb.101:
	global_load_dwordx2 v[22:23], v[40:41], off
.LBB179_102:
	s_or_b64 exec, exec, s[40:41]
	v_mov_b32_e32 v21, 0
	s_and_saveexec_b64 s[34:35], s[30:31]
	s_cbranch_execz .LBB179_104
; %bb.103:
	global_load_dwordx2 v[20:21], v[40:41], off offset:512
.LBB179_104:
	s_or_b64 exec, exec, s[34:35]
	v_mov_b32_e32 v24, 0
	v_mov_b32_e32 v26, 0
	v_mov_b32_e32 v27, 0
	s_and_saveexec_b64 s[30:31], s[28:29]
	s_cbranch_execz .LBB179_106
; %bb.105:
	global_load_dwordx2 v[26:27], v[40:41], off offset:1024
.LBB179_106:
	s_or_b64 exec, exec, s[30:31]
	v_mov_b32_e32 v25, 0
	s_and_saveexec_b64 s[28:29], s[26:27]
	s_cbranch_execz .LBB179_108
; %bb.107:
	global_load_dwordx2 v[24:25], v[40:41], off offset:1536
.LBB179_108:
	s_or_b64 exec, exec, s[28:29]
	v_mov_b32_e32 v28, 0
	v_mov_b32_e32 v30, 0
	v_mov_b32_e32 v31, 0
	s_and_saveexec_b64 s[26:27], s[24:25]
	s_cbranch_execz .LBB179_110
; %bb.109:
	global_load_dwordx2 v[30:31], v[40:41], off offset:2048
.LBB179_110:
	;; [unrolled: 16-line block ×3, first 2 shown]
	s_or_b64 exec, exec, s[22:23]
	v_mov_b32_e32 v33, 0
	s_and_saveexec_b64 s[20:21], s[18:19]
	s_cbranch_execz .LBB179_116
; %bb.115:
	global_load_dwordx2 v[32:33], v[40:41], off offset:3584
.LBB179_116:
	s_or_b64 exec, exec, s[20:21]
	v_mov_b32_e32 v36, 0
	v_mov_b32_e32 v38, 0
	;; [unrolled: 1-line block ×3, first 2 shown]
	s_and_saveexec_b64 s[18:19], vcc
	s_cbranch_execz .LBB179_118
; %bb.117:
	v_add_co_u32_e32 v38, vcc, 0x1000, v40
	v_addc_co_u32_e32 v39, vcc, 0, v41, vcc
	global_load_dwordx2 v[38:39], v[38:39], off
.LBB179_118:
	s_or_b64 exec, exec, s[18:19]
	v_mov_b32_e32 v37, 0
	s_and_saveexec_b64 s[18:19], s[16:17]
	s_cbranch_execz .LBB179_120
; %bb.119:
	v_add_co_u32_e32 v36, vcc, 0x1000, v40
	v_addc_co_u32_e32 v37, vcc, 0, v41, vcc
	global_load_dwordx2 v[36:37], v[36:37], off offset:512
.LBB179_120:
	s_or_b64 exec, exec, s[18:19]
	v_mov_b32_e32 v42, 0
	v_mov_b32_e32 v44, 0
	v_mov_b32_e32 v45, 0
	s_and_saveexec_b64 s[16:17], s[14:15]
	s_cbranch_execz .LBB179_122
; %bb.121:
	v_add_co_u32_e32 v44, vcc, 0x1000, v40
	v_addc_co_u32_e32 v45, vcc, 0, v41, vcc
	global_load_dwordx2 v[44:45], v[44:45], off offset:1024
.LBB179_122:
	s_or_b64 exec, exec, s[16:17]
	v_mov_b32_e32 v43, 0
	s_and_saveexec_b64 s[14:15], s[12:13]
	s_cbranch_execz .LBB179_124
; %bb.123:
	v_add_co_u32_e32 v42, vcc, 0x1000, v40
	v_addc_co_u32_e32 v43, vcc, 0, v41, vcc
	global_load_dwordx2 v[42:43], v[42:43], off offset:1536
.LBB179_124:
	s_or_b64 exec, exec, s[14:15]
	v_mov_b32_e32 v46, 0
	v_mov_b32_e32 v48, 0
	v_mov_b32_e32 v49, 0
	s_and_saveexec_b64 s[12:13], s[10:11]
	s_cbranch_execz .LBB179_126
; %bb.125:
	v_add_co_u32_e32 v48, vcc, 0x1000, v40
	v_addc_co_u32_e32 v49, vcc, 0, v41, vcc
	global_load_dwordx2 v[48:49], v[48:49], off offset:2048
.LBB179_126:
	;; [unrolled: 20-line block ×3, first 2 shown]
	s_or_b64 exec, exec, s[8:9]
	s_mov_b32 s10, 0
	v_mov_b32_e32 v51, 0
	s_and_saveexec_b64 s[8:9], s[2:3]
	s_cbranch_execz .LBB179_132
; %bb.131:
	v_add_co_u32_e32 v40, vcc, 0x1000, v40
	v_addc_co_u32_e32 v41, vcc, 0, v41, vcc
	global_load_dwordx2 v[50:51], v[40:41], off offset:3584
.LBB179_132:
	s_or_b64 exec, exec, s[8:9]
	v_lshlrev_b32_e32 v72, 3, v18
	v_add_u32_e32 v73, 0x400, v72
	v_mov_b32_e32 v41, 0
	s_movk_i32 s8, 0x200
	s_mov_b32 s9, 0
	v_mov_b32_e32 v74, v18
	s_waitcnt vmcnt(0)
	s_branch .LBB179_134
.LBB179_133:                            ;   in Loop: Header=BB179_134 Depth=1
	s_or_b64 exec, exec, s[2:3]
	s_addk_i32 s9, 0xfc00
	s_add_i32 s10, s10, 2
	s_cmpk_eq_i32 s9, 0xe000
	v_add_u32_e32 v74, 0x400, v74
	s_barrier
	s_cbranch_scc1 .LBB179_138
.LBB179_134:                            ; =>This Inner Loop Header: Depth=1
	v_add_u32_e32 v40, s9, v61
	v_min_u32_e32 v40, 0x400, v40
	v_lshlrev_b32_e32 v40, 3, v40
	ds_write_b64 v40, v[22:23] offset:1024
	v_add_u32_e32 v40, s9, v71
	v_min_u32_e32 v40, 0x400, v40
	v_lshlrev_b32_e32 v40, 3, v40
	ds_write_b64 v40, v[20:21] offset:1024
	;; [unrolled: 4-line block ×15, first 2 shown]
	v_add_u32_e32 v40, s9, v62
	v_min_u32_e32 v40, 0x400, v40
	v_lshlrev_b32_e32 v40, 3, v40
	v_cmp_gt_u32_e32 vcc, s7, v74
	ds_write_b64 v40, v[50:51] offset:1024
	s_waitcnt lgkmcnt(0)
	s_barrier
	s_and_saveexec_b64 s[2:3], vcc
	s_cbranch_execz .LBB179_136
; %bb.135:                              ;   in Loop: Header=BB179_134 Depth=1
	s_set_gpr_idx_on s10, gpr_idx(SRC0)
	v_mov_b32_e32 v40, v2
	s_set_gpr_idx_off
	v_lshlrev_b32_e32 v40, 2, v40
	ds_read_b32 v40, v40
	ds_read_b64 v[76:77], v72 offset:1024
	v_mov_b32_e32 v75, s51
	s_waitcnt lgkmcnt(1)
	v_add_u32_e32 v40, v74, v40
	v_lshlrev_b64 v[78:79], 3, v[40:41]
	v_add_co_u32_e32 v78, vcc, s50, v78
	v_addc_co_u32_e32 v79, vcc, v75, v79, vcc
	s_waitcnt lgkmcnt(0)
	global_store_dwordx2 v[78:79], v[76:77], off
.LBB179_136:                            ;   in Loop: Header=BB179_134 Depth=1
	s_or_b64 exec, exec, s[2:3]
	v_add_u32_e32 v40, 0x200, v74
	v_cmp_gt_u32_e32 vcc, s7, v40
	s_and_saveexec_b64 s[2:3], vcc
	s_cbranch_execz .LBB179_133
; %bb.137:                              ;   in Loop: Header=BB179_134 Depth=1
	s_add_i32 s11, s10, 1
	s_set_gpr_idx_on s11, gpr_idx(SRC0)
	v_mov_b32_e32 v40, v2
	s_set_gpr_idx_off
	v_lshlrev_b32_e32 v40, 2, v40
	ds_read_b32 v40, v40
	ds_read_b64 v[76:77], v73 offset:4096
	v_mov_b32_e32 v75, s51
	s_waitcnt lgkmcnt(1)
	v_add3_u32 v40, v74, v40, s8
	v_lshlrev_b64 v[78:79], 3, v[40:41]
	v_add_co_u32_e32 v78, vcc, s50, v78
	v_addc_co_u32_e32 v79, vcc, v75, v79, vcc
	s_waitcnt lgkmcnt(0)
	global_store_dwordx2 v[78:79], v[76:77], off
	s_branch .LBB179_133
.LBB179_138:
	s_add_i32 s68, s68, -1
	s_cmp_eq_u32 s68, s33
	s_cselect_b64 s[2:3], -1, 0
	s_and_b64 s[10:11], s[36:37], s[2:3]
	s_mov_b64 s[2:3], 0
	s_mov_b64 s[8:9], 0
                                        ; implicit-def: $vgpr2
	s_and_saveexec_b64 s[12:13], s[10:11]
	s_xor_b64 s[10:11], exec, s[12:13]
; %bb.139:
	s_mov_b64 s[8:9], exec
	v_add_u32_e32 v2, v55, v58
; %bb.140:
	s_or_b64 exec, exec, s[10:11]
	s_and_b64 vcc, exec, s[2:3]
	s_cbranch_vccz .LBB179_200
.LBB179_141:
	s_lshl_b32 s10, s33, 13
	s_mov_b32 s11, 0
	v_mbcnt_hi_u32_b32 v4, -1, v19
	s_lshl_b64 s[2:3], s[10:11], 2
	v_and_b32_e32 v20, 63, v4
	s_add_u32 s2, s44, s2
	v_and_b32_e32 v19, 0x3c00, v1
	v_lshlrev_b32_e32 v1, 2, v20
	v_add_co_u32_e32 v1, vcc, s2, v1
	s_load_dword s14, s[4:5], 0x58
	s_load_dword s2, s[4:5], 0x64
	s_addc_u32 s3, s45, s3
	v_mov_b32_e32 v3, s3
	s_add_u32 s3, s4, 0x58
	v_addc_co_u32_e32 v3, vcc, 0, v3, vcc
	v_lshlrev_b32_e32 v5, 2, v19
	s_addc_u32 s4, s5, 0
	s_waitcnt lgkmcnt(0)
	s_lshr_b32 s5, s2, 16
	v_add_co_u32_e32 v6, vcc, v1, v5
	s_cmp_lt_u32 s6, s14
	v_addc_co_u32_e32 v7, vcc, 0, v3, vcc
	s_cselect_b32 s2, 12, 18
	global_load_dword v21, v[6:7], off
	s_add_u32 s2, s3, s2
	v_mov_b32_e32 v2, 0
	s_addc_u32 s3, s4, 0
	global_load_ushort v1, v2, s[2:3]
	v_mul_u32_u24_e32 v5, 5, v18
	v_lshlrev_b32_e32 v5, 2, v5
	ds_write2_b32 v5, v2, v2 offset0:8 offset1:9
	ds_write2_b32 v5, v2, v2 offset0:10 offset1:11
	ds_write_b32 v5, v2 offset:48
	global_load_dword v22, v[6:7], off offset:256
	global_load_dword v23, v[6:7], off offset:512
	;; [unrolled: 1-line block ×15, first 2 shown]
	v_bfe_u32 v3, v0, 10, 10
	v_bfe_u32 v0, v0, 20, 10
	s_lshl_b32 s2, -1, s57
	v_mad_u32_u24 v0, v0, s5, v3
	s_not_b32 s15, s2
	s_waitcnt lgkmcnt(0)
	s_barrier
	s_waitcnt lgkmcnt(0)
	; wave barrier
	s_waitcnt vmcnt(16)
	v_lshrrev_b32_e32 v3, s56, v21
	v_and_b32_e32 v6, s15, v3
	v_and_b32_e32 v8, 1, v6
	v_lshlrev_b32_e32 v3, 30, v6
	s_waitcnt vmcnt(15)
	v_mad_u64_u32 v[0:1], s[2:3], v0, v1, v[18:19]
	v_add_co_u32_e32 v1, vcc, -1, v8
	v_addc_co_u32_e64 v9, s[2:3], 0, -1, vcc
	v_cmp_ne_u32_e32 vcc, 0, v8
	v_cmp_gt_i64_e64 s[2:3], 0, v[2:3]
	v_not_b32_e32 v8, v3
	v_lshlrev_b32_e32 v3, 29, v6
	v_lshl_add_u32 v7, v6, 3, v6
	v_lshrrev_b32_e32 v16, 6, v0
	v_xor_b32_e32 v0, vcc_hi, v9
	v_xor_b32_e32 v1, vcc_lo, v1
	v_ashrrev_i32_e32 v8, 31, v8
	v_cmp_gt_i64_e32 vcc, 0, v[2:3]
	v_not_b32_e32 v10, v3
	v_lshlrev_b32_e32 v3, 28, v6
	v_add_lshl_u32 v9, v16, v7, 2
	v_and_b32_e32 v0, exec_hi, v0
	v_and_b32_e32 v1, exec_lo, v1
	v_xor_b32_e32 v7, s3, v8
	v_xor_b32_e32 v8, s2, v8
	v_ashrrev_i32_e32 v10, 31, v10
	v_cmp_gt_i64_e64 s[2:3], 0, v[2:3]
	v_not_b32_e32 v3, v3
	v_and_b32_e32 v0, v0, v7
	v_and_b32_e32 v1, v1, v8
	v_xor_b32_e32 v7, vcc_hi, v10
	v_xor_b32_e32 v8, vcc_lo, v10
	v_ashrrev_i32_e32 v3, 31, v3
	v_and_b32_e32 v0, v0, v7
	v_and_b32_e32 v1, v1, v8
	v_xor_b32_e32 v7, s3, v3
	v_xor_b32_e32 v3, s2, v3
	v_and_b32_e32 v1, v1, v3
	v_lshlrev_b32_e32 v3, 27, v6
	v_cmp_gt_i64_e32 vcc, 0, v[2:3]
	v_not_b32_e32 v3, v3
	v_ashrrev_i32_e32 v3, 31, v3
	v_and_b32_e32 v0, v0, v7
	v_xor_b32_e32 v7, vcc_hi, v3
	v_xor_b32_e32 v3, vcc_lo, v3
	v_and_b32_e32 v1, v1, v3
	v_lshlrev_b32_e32 v3, 26, v6
	v_cmp_gt_i64_e32 vcc, 0, v[2:3]
	v_not_b32_e32 v3, v3
	v_ashrrev_i32_e32 v3, 31, v3
	v_and_b32_e32 v0, v0, v7
	v_xor_b32_e32 v7, vcc_hi, v3
	v_xor_b32_e32 v3, vcc_lo, v3
	;; [unrolled: 8-line block ×3, first 2 shown]
	v_and_b32_e32 v0, v0, v7
	v_and_b32_e32 v7, v1, v3
	v_lshlrev_b32_e32 v3, 24, v6
	v_not_b32_e32 v1, v3
	v_cmp_gt_i64_e32 vcc, 0, v[2:3]
	v_ashrrev_i32_e32 v1, 31, v1
	v_xor_b32_e32 v3, vcc_hi, v1
	v_xor_b32_e32 v6, vcc_lo, v1
	v_and_b32_e32 v1, v0, v3
	v_and_b32_e32 v0, v7, v6
	v_mbcnt_lo_u32_b32 v3, v0, 0
	v_mbcnt_hi_u32_b32 v6, v1, v3
	v_cmp_eq_u32_e32 vcc, 0, v6
	v_cmp_ne_u64_e64 s[2:3], 0, v[0:1]
	s_and_b64 s[4:5], s[2:3], vcc
	s_and_saveexec_b64 s[2:3], s[4:5]
	s_cbranch_execz .LBB179_143
; %bb.142:
	v_bcnt_u32_b32 v0, v0, 0
	v_bcnt_u32_b32 v0, v1, v0
	ds_write_b32 v9, v0 offset:32
.LBB179_143:
	s_or_b64 exec, exec, s[2:3]
	s_waitcnt vmcnt(14)
	v_lshrrev_b32_e32 v0, s56, v22
	v_and_b32_e32 v0, s15, v0
	v_lshl_add_u32 v1, v0, 3, v0
	v_add_lshl_u32 v11, v16, v1, 2
	v_and_b32_e32 v1, 1, v0
	v_add_co_u32_e32 v3, vcc, -1, v1
	v_addc_co_u32_e64 v8, s[2:3], 0, -1, vcc
	v_cmp_ne_u32_e32 vcc, 0, v1
	v_xor_b32_e32 v3, vcc_lo, v3
	v_xor_b32_e32 v1, vcc_hi, v8
	v_and_b32_e32 v8, exec_lo, v3
	v_lshlrev_b32_e32 v3, 30, v0
	v_cmp_gt_i64_e32 vcc, 0, v[2:3]
	v_not_b32_e32 v3, v3
	v_ashrrev_i32_e32 v3, 31, v3
	v_xor_b32_e32 v10, vcc_hi, v3
	v_xor_b32_e32 v3, vcc_lo, v3
	v_and_b32_e32 v8, v8, v3
	v_lshlrev_b32_e32 v3, 29, v0
	v_cmp_gt_i64_e32 vcc, 0, v[2:3]
	v_not_b32_e32 v3, v3
	v_and_b32_e32 v1, exec_hi, v1
	v_ashrrev_i32_e32 v3, 31, v3
	v_and_b32_e32 v1, v1, v10
	v_xor_b32_e32 v10, vcc_hi, v3
	v_xor_b32_e32 v3, vcc_lo, v3
	v_and_b32_e32 v8, v8, v3
	v_lshlrev_b32_e32 v3, 28, v0
	v_cmp_gt_i64_e32 vcc, 0, v[2:3]
	v_not_b32_e32 v3, v3
	v_ashrrev_i32_e32 v3, 31, v3
	v_and_b32_e32 v1, v1, v10
	v_xor_b32_e32 v10, vcc_hi, v3
	v_xor_b32_e32 v3, vcc_lo, v3
	v_and_b32_e32 v8, v8, v3
	v_lshlrev_b32_e32 v3, 27, v0
	v_cmp_gt_i64_e32 vcc, 0, v[2:3]
	v_not_b32_e32 v3, v3
	;; [unrolled: 8-line block ×4, first 2 shown]
	v_ashrrev_i32_e32 v3, 31, v3
	v_and_b32_e32 v1, v1, v10
	v_xor_b32_e32 v10, vcc_hi, v3
	v_xor_b32_e32 v3, vcc_lo, v3
	v_and_b32_e32 v8, v8, v3
	v_lshlrev_b32_e32 v3, 24, v0
	v_not_b32_e32 v0, v3
	v_cmp_gt_i64_e32 vcc, 0, v[2:3]
	v_ashrrev_i32_e32 v0, 31, v0
	v_xor_b32_e32 v2, vcc_hi, v0
	v_xor_b32_e32 v0, vcc_lo, v0
	; wave barrier
	ds_read_b32 v7, v11 offset:32
	v_and_b32_e32 v1, v1, v10
	v_and_b32_e32 v0, v8, v0
	;; [unrolled: 1-line block ×3, first 2 shown]
	v_mbcnt_lo_u32_b32 v2, v0, 0
	v_mbcnt_hi_u32_b32 v8, v1, v2
	v_cmp_eq_u32_e32 vcc, 0, v8
	v_cmp_ne_u64_e64 s[2:3], 0, v[0:1]
	s_and_b64 s[4:5], s[2:3], vcc
	; wave barrier
	s_and_saveexec_b64 s[2:3], s[4:5]
	s_cbranch_execz .LBB179_145
; %bb.144:
	v_bcnt_u32_b32 v0, v0, 0
	v_bcnt_u32_b32 v0, v1, v0
	s_waitcnt lgkmcnt(0)
	v_add_u32_e32 v0, v7, v0
	ds_write_b32 v11, v0 offset:32
.LBB179_145:
	s_or_b64 exec, exec, s[2:3]
	s_waitcnt vmcnt(13)
	v_lshrrev_b32_e32 v0, s56, v23
	v_and_b32_e32 v2, s15, v0
	v_and_b32_e32 v1, 1, v2
	v_add_co_u32_e32 v3, vcc, -1, v1
	v_addc_co_u32_e64 v12, s[2:3], 0, -1, vcc
	v_cmp_ne_u32_e32 vcc, 0, v1
	v_lshl_add_u32 v0, v2, 3, v2
	v_xor_b32_e32 v1, vcc_hi, v12
	v_add_lshl_u32 v14, v16, v0, 2
	v_mov_b32_e32 v0, 0
	v_and_b32_e32 v12, exec_hi, v1
	v_lshlrev_b32_e32 v1, 30, v2
	v_xor_b32_e32 v3, vcc_lo, v3
	v_cmp_gt_i64_e32 vcc, 0, v[0:1]
	v_not_b32_e32 v1, v1
	v_ashrrev_i32_e32 v1, 31, v1
	v_and_b32_e32 v3, exec_lo, v3
	v_xor_b32_e32 v13, vcc_hi, v1
	v_xor_b32_e32 v1, vcc_lo, v1
	v_and_b32_e32 v3, v3, v1
	v_lshlrev_b32_e32 v1, 29, v2
	v_cmp_gt_i64_e32 vcc, 0, v[0:1]
	v_not_b32_e32 v1, v1
	v_ashrrev_i32_e32 v1, 31, v1
	v_and_b32_e32 v12, v12, v13
	v_xor_b32_e32 v13, vcc_hi, v1
	v_xor_b32_e32 v1, vcc_lo, v1
	v_and_b32_e32 v3, v3, v1
	v_lshlrev_b32_e32 v1, 28, v2
	v_cmp_gt_i64_e32 vcc, 0, v[0:1]
	v_not_b32_e32 v1, v1
	v_ashrrev_i32_e32 v1, 31, v1
	v_and_b32_e32 v12, v12, v13
	;; [unrolled: 8-line block ×5, first 2 shown]
	v_xor_b32_e32 v13, vcc_hi, v1
	v_xor_b32_e32 v1, vcc_lo, v1
	v_and_b32_e32 v12, v12, v13
	v_and_b32_e32 v13, v3, v1
	v_lshlrev_b32_e32 v1, 24, v2
	v_cmp_gt_i64_e32 vcc, 0, v[0:1]
	v_not_b32_e32 v1, v1
	v_ashrrev_i32_e32 v1, 31, v1
	v_xor_b32_e32 v2, vcc_hi, v1
	v_xor_b32_e32 v1, vcc_lo, v1
	; wave barrier
	ds_read_b32 v10, v14 offset:32
	v_and_b32_e32 v3, v12, v2
	v_and_b32_e32 v2, v13, v1
	v_mbcnt_lo_u32_b32 v1, v2, 0
	v_mbcnt_hi_u32_b32 v12, v3, v1
	v_cmp_eq_u32_e32 vcc, 0, v12
	v_cmp_ne_u64_e64 s[2:3], 0, v[2:3]
	s_and_b64 s[4:5], s[2:3], vcc
	; wave barrier
	s_and_saveexec_b64 s[2:3], s[4:5]
	s_cbranch_execz .LBB179_147
; %bb.146:
	v_bcnt_u32_b32 v1, v2, 0
	v_bcnt_u32_b32 v1, v3, v1
	s_waitcnt lgkmcnt(0)
	v_add_u32_e32 v1, v10, v1
	ds_write_b32 v14, v1 offset:32
.LBB179_147:
	s_or_b64 exec, exec, s[2:3]
	s_waitcnt vmcnt(12)
	v_lshrrev_b32_e32 v1, s56, v24
	v_and_b32_e32 v2, s15, v1
	v_lshl_add_u32 v1, v2, 3, v2
	v_add_lshl_u32 v37, v16, v1, 2
	v_and_b32_e32 v1, 1, v2
	v_add_co_u32_e32 v3, vcc, -1, v1
	v_addc_co_u32_e64 v15, s[2:3], 0, -1, vcc
	v_cmp_ne_u32_e32 vcc, 0, v1
	v_xor_b32_e32 v1, vcc_hi, v15
	v_and_b32_e32 v15, exec_hi, v1
	v_lshlrev_b32_e32 v1, 30, v2
	v_xor_b32_e32 v3, vcc_lo, v3
	v_cmp_gt_i64_e32 vcc, 0, v[0:1]
	v_not_b32_e32 v1, v1
	v_ashrrev_i32_e32 v1, 31, v1
	v_and_b32_e32 v3, exec_lo, v3
	v_xor_b32_e32 v17, vcc_hi, v1
	v_xor_b32_e32 v1, vcc_lo, v1
	v_and_b32_e32 v3, v3, v1
	v_lshlrev_b32_e32 v1, 29, v2
	v_cmp_gt_i64_e32 vcc, 0, v[0:1]
	v_not_b32_e32 v1, v1
	v_ashrrev_i32_e32 v1, 31, v1
	v_and_b32_e32 v15, v15, v17
	v_xor_b32_e32 v17, vcc_hi, v1
	v_xor_b32_e32 v1, vcc_lo, v1
	v_and_b32_e32 v3, v3, v1
	v_lshlrev_b32_e32 v1, 28, v2
	v_cmp_gt_i64_e32 vcc, 0, v[0:1]
	v_not_b32_e32 v1, v1
	v_ashrrev_i32_e32 v1, 31, v1
	v_and_b32_e32 v15, v15, v17
	;; [unrolled: 8-line block ×5, first 2 shown]
	v_xor_b32_e32 v17, vcc_hi, v1
	v_xor_b32_e32 v1, vcc_lo, v1
	v_and_b32_e32 v3, v3, v1
	v_lshlrev_b32_e32 v1, 24, v2
	v_cmp_gt_i64_e32 vcc, 0, v[0:1]
	v_not_b32_e32 v0, v1
	v_ashrrev_i32_e32 v0, 31, v0
	v_xor_b32_e32 v1, vcc_hi, v0
	v_xor_b32_e32 v0, vcc_lo, v0
	; wave barrier
	ds_read_b32 v13, v37 offset:32
	v_and_b32_e32 v15, v15, v17
	v_and_b32_e32 v0, v3, v0
	;; [unrolled: 1-line block ×3, first 2 shown]
	v_mbcnt_lo_u32_b32 v2, v0, 0
	v_mbcnt_hi_u32_b32 v15, v1, v2
	v_cmp_eq_u32_e32 vcc, 0, v15
	v_cmp_ne_u64_e64 s[2:3], 0, v[0:1]
	s_and_b64 s[4:5], s[2:3], vcc
	; wave barrier
	s_and_saveexec_b64 s[2:3], s[4:5]
	s_cbranch_execz .LBB179_149
; %bb.148:
	v_bcnt_u32_b32 v0, v0, 0
	v_bcnt_u32_b32 v0, v1, v0
	s_waitcnt lgkmcnt(0)
	v_add_u32_e32 v0, v13, v0
	ds_write_b32 v37, v0 offset:32
.LBB179_149:
	s_or_b64 exec, exec, s[2:3]
	s_waitcnt vmcnt(11)
	v_lshrrev_b32_e32 v0, s56, v25
	v_and_b32_e32 v2, s15, v0
	v_and_b32_e32 v1, 1, v2
	v_add_co_u32_e32 v3, vcc, -1, v1
	v_addc_co_u32_e64 v38, s[2:3], 0, -1, vcc
	v_cmp_ne_u32_e32 vcc, 0, v1
	v_lshl_add_u32 v0, v2, 3, v2
	v_xor_b32_e32 v1, vcc_hi, v38
	v_add_lshl_u32 v40, v16, v0, 2
	v_mov_b32_e32 v0, 0
	v_and_b32_e32 v38, exec_hi, v1
	v_lshlrev_b32_e32 v1, 30, v2
	v_xor_b32_e32 v3, vcc_lo, v3
	v_cmp_gt_i64_e32 vcc, 0, v[0:1]
	v_not_b32_e32 v1, v1
	v_ashrrev_i32_e32 v1, 31, v1
	v_and_b32_e32 v3, exec_lo, v3
	v_xor_b32_e32 v39, vcc_hi, v1
	v_xor_b32_e32 v1, vcc_lo, v1
	v_and_b32_e32 v3, v3, v1
	v_lshlrev_b32_e32 v1, 29, v2
	v_cmp_gt_i64_e32 vcc, 0, v[0:1]
	v_not_b32_e32 v1, v1
	v_ashrrev_i32_e32 v1, 31, v1
	v_and_b32_e32 v38, v38, v39
	v_xor_b32_e32 v39, vcc_hi, v1
	v_xor_b32_e32 v1, vcc_lo, v1
	v_and_b32_e32 v3, v3, v1
	v_lshlrev_b32_e32 v1, 28, v2
	v_cmp_gt_i64_e32 vcc, 0, v[0:1]
	v_not_b32_e32 v1, v1
	v_ashrrev_i32_e32 v1, 31, v1
	v_and_b32_e32 v38, v38, v39
	;; [unrolled: 8-line block ×5, first 2 shown]
	v_xor_b32_e32 v39, vcc_hi, v1
	v_xor_b32_e32 v1, vcc_lo, v1
	v_and_b32_e32 v38, v38, v39
	v_and_b32_e32 v39, v3, v1
	v_lshlrev_b32_e32 v1, 24, v2
	v_cmp_gt_i64_e32 vcc, 0, v[0:1]
	v_not_b32_e32 v1, v1
	v_ashrrev_i32_e32 v1, 31, v1
	v_xor_b32_e32 v2, vcc_hi, v1
	v_xor_b32_e32 v1, vcc_lo, v1
	; wave barrier
	ds_read_b32 v17, v40 offset:32
	v_and_b32_e32 v3, v38, v2
	v_and_b32_e32 v2, v39, v1
	v_mbcnt_lo_u32_b32 v1, v2, 0
	v_mbcnt_hi_u32_b32 v38, v3, v1
	v_cmp_eq_u32_e32 vcc, 0, v38
	v_cmp_ne_u64_e64 s[2:3], 0, v[2:3]
	s_and_b64 s[4:5], s[2:3], vcc
	; wave barrier
	s_and_saveexec_b64 s[2:3], s[4:5]
	s_cbranch_execz .LBB179_151
; %bb.150:
	v_bcnt_u32_b32 v1, v2, 0
	v_bcnt_u32_b32 v1, v3, v1
	s_waitcnt lgkmcnt(0)
	v_add_u32_e32 v1, v17, v1
	ds_write_b32 v40, v1 offset:32
.LBB179_151:
	s_or_b64 exec, exec, s[2:3]
	s_waitcnt vmcnt(10)
	v_lshrrev_b32_e32 v1, s56, v26
	v_and_b32_e32 v2, s15, v1
	v_lshl_add_u32 v1, v2, 3, v2
	v_add_lshl_u32 v43, v16, v1, 2
	v_and_b32_e32 v1, 1, v2
	v_add_co_u32_e32 v3, vcc, -1, v1
	v_addc_co_u32_e64 v41, s[2:3], 0, -1, vcc
	v_cmp_ne_u32_e32 vcc, 0, v1
	v_xor_b32_e32 v1, vcc_hi, v41
	v_and_b32_e32 v41, exec_hi, v1
	v_lshlrev_b32_e32 v1, 30, v2
	v_xor_b32_e32 v3, vcc_lo, v3
	v_cmp_gt_i64_e32 vcc, 0, v[0:1]
	v_not_b32_e32 v1, v1
	v_ashrrev_i32_e32 v1, 31, v1
	v_and_b32_e32 v3, exec_lo, v3
	v_xor_b32_e32 v42, vcc_hi, v1
	v_xor_b32_e32 v1, vcc_lo, v1
	v_and_b32_e32 v3, v3, v1
	v_lshlrev_b32_e32 v1, 29, v2
	v_cmp_gt_i64_e32 vcc, 0, v[0:1]
	v_not_b32_e32 v1, v1
	v_ashrrev_i32_e32 v1, 31, v1
	v_and_b32_e32 v41, v41, v42
	v_xor_b32_e32 v42, vcc_hi, v1
	v_xor_b32_e32 v1, vcc_lo, v1
	v_and_b32_e32 v3, v3, v1
	v_lshlrev_b32_e32 v1, 28, v2
	v_cmp_gt_i64_e32 vcc, 0, v[0:1]
	v_not_b32_e32 v1, v1
	v_ashrrev_i32_e32 v1, 31, v1
	v_and_b32_e32 v41, v41, v42
	;; [unrolled: 8-line block ×5, first 2 shown]
	v_xor_b32_e32 v42, vcc_hi, v1
	v_xor_b32_e32 v1, vcc_lo, v1
	v_and_b32_e32 v3, v3, v1
	v_lshlrev_b32_e32 v1, 24, v2
	v_cmp_gt_i64_e32 vcc, 0, v[0:1]
	v_not_b32_e32 v0, v1
	v_ashrrev_i32_e32 v0, 31, v0
	v_xor_b32_e32 v1, vcc_hi, v0
	v_xor_b32_e32 v0, vcc_lo, v0
	; wave barrier
	ds_read_b32 v39, v43 offset:32
	v_and_b32_e32 v41, v41, v42
	v_and_b32_e32 v0, v3, v0
	;; [unrolled: 1-line block ×3, first 2 shown]
	v_mbcnt_lo_u32_b32 v2, v0, 0
	v_mbcnt_hi_u32_b32 v41, v1, v2
	v_cmp_eq_u32_e32 vcc, 0, v41
	v_cmp_ne_u64_e64 s[2:3], 0, v[0:1]
	s_and_b64 s[4:5], s[2:3], vcc
	; wave barrier
	s_and_saveexec_b64 s[2:3], s[4:5]
	s_cbranch_execz .LBB179_153
; %bb.152:
	v_bcnt_u32_b32 v0, v0, 0
	v_bcnt_u32_b32 v0, v1, v0
	s_waitcnt lgkmcnt(0)
	v_add_u32_e32 v0, v39, v0
	ds_write_b32 v43, v0 offset:32
.LBB179_153:
	s_or_b64 exec, exec, s[2:3]
	s_waitcnt vmcnt(9)
	v_lshrrev_b32_e32 v0, s56, v27
	v_and_b32_e32 v2, s15, v0
	v_and_b32_e32 v1, 1, v2
	v_add_co_u32_e32 v3, vcc, -1, v1
	v_addc_co_u32_e64 v44, s[2:3], 0, -1, vcc
	v_cmp_ne_u32_e32 vcc, 0, v1
	v_lshl_add_u32 v0, v2, 3, v2
	v_xor_b32_e32 v1, vcc_hi, v44
	v_add_lshl_u32 v46, v16, v0, 2
	v_mov_b32_e32 v0, 0
	v_and_b32_e32 v44, exec_hi, v1
	v_lshlrev_b32_e32 v1, 30, v2
	v_xor_b32_e32 v3, vcc_lo, v3
	v_cmp_gt_i64_e32 vcc, 0, v[0:1]
	v_not_b32_e32 v1, v1
	v_ashrrev_i32_e32 v1, 31, v1
	v_and_b32_e32 v3, exec_lo, v3
	v_xor_b32_e32 v45, vcc_hi, v1
	v_xor_b32_e32 v1, vcc_lo, v1
	v_and_b32_e32 v3, v3, v1
	v_lshlrev_b32_e32 v1, 29, v2
	v_cmp_gt_i64_e32 vcc, 0, v[0:1]
	v_not_b32_e32 v1, v1
	v_ashrrev_i32_e32 v1, 31, v1
	v_and_b32_e32 v44, v44, v45
	v_xor_b32_e32 v45, vcc_hi, v1
	v_xor_b32_e32 v1, vcc_lo, v1
	v_and_b32_e32 v3, v3, v1
	v_lshlrev_b32_e32 v1, 28, v2
	v_cmp_gt_i64_e32 vcc, 0, v[0:1]
	v_not_b32_e32 v1, v1
	v_ashrrev_i32_e32 v1, 31, v1
	v_and_b32_e32 v44, v44, v45
	;; [unrolled: 8-line block ×5, first 2 shown]
	v_xor_b32_e32 v45, vcc_hi, v1
	v_xor_b32_e32 v1, vcc_lo, v1
	v_and_b32_e32 v44, v44, v45
	v_and_b32_e32 v45, v3, v1
	v_lshlrev_b32_e32 v1, 24, v2
	v_cmp_gt_i64_e32 vcc, 0, v[0:1]
	v_not_b32_e32 v1, v1
	v_ashrrev_i32_e32 v1, 31, v1
	v_xor_b32_e32 v2, vcc_hi, v1
	v_xor_b32_e32 v1, vcc_lo, v1
	; wave barrier
	ds_read_b32 v42, v46 offset:32
	v_and_b32_e32 v3, v44, v2
	v_and_b32_e32 v2, v45, v1
	v_mbcnt_lo_u32_b32 v1, v2, 0
	v_mbcnt_hi_u32_b32 v44, v3, v1
	v_cmp_eq_u32_e32 vcc, 0, v44
	v_cmp_ne_u64_e64 s[2:3], 0, v[2:3]
	s_and_b64 s[4:5], s[2:3], vcc
	; wave barrier
	s_and_saveexec_b64 s[2:3], s[4:5]
	s_cbranch_execz .LBB179_155
; %bb.154:
	v_bcnt_u32_b32 v1, v2, 0
	v_bcnt_u32_b32 v1, v3, v1
	s_waitcnt lgkmcnt(0)
	v_add_u32_e32 v1, v42, v1
	ds_write_b32 v46, v1 offset:32
.LBB179_155:
	s_or_b64 exec, exec, s[2:3]
	s_waitcnt vmcnt(8)
	v_lshrrev_b32_e32 v1, s56, v28
	v_and_b32_e32 v2, s15, v1
	v_lshl_add_u32 v1, v2, 3, v2
	v_add_lshl_u32 v49, v16, v1, 2
	v_and_b32_e32 v1, 1, v2
	v_add_co_u32_e32 v3, vcc, -1, v1
	v_addc_co_u32_e64 v47, s[2:3], 0, -1, vcc
	v_cmp_ne_u32_e32 vcc, 0, v1
	v_xor_b32_e32 v1, vcc_hi, v47
	v_and_b32_e32 v47, exec_hi, v1
	v_lshlrev_b32_e32 v1, 30, v2
	v_xor_b32_e32 v3, vcc_lo, v3
	v_cmp_gt_i64_e32 vcc, 0, v[0:1]
	v_not_b32_e32 v1, v1
	v_ashrrev_i32_e32 v1, 31, v1
	v_and_b32_e32 v3, exec_lo, v3
	v_xor_b32_e32 v48, vcc_hi, v1
	v_xor_b32_e32 v1, vcc_lo, v1
	v_and_b32_e32 v3, v3, v1
	v_lshlrev_b32_e32 v1, 29, v2
	v_cmp_gt_i64_e32 vcc, 0, v[0:1]
	v_not_b32_e32 v1, v1
	v_ashrrev_i32_e32 v1, 31, v1
	v_and_b32_e32 v47, v47, v48
	v_xor_b32_e32 v48, vcc_hi, v1
	v_xor_b32_e32 v1, vcc_lo, v1
	v_and_b32_e32 v3, v3, v1
	v_lshlrev_b32_e32 v1, 28, v2
	v_cmp_gt_i64_e32 vcc, 0, v[0:1]
	v_not_b32_e32 v1, v1
	v_ashrrev_i32_e32 v1, 31, v1
	v_and_b32_e32 v47, v47, v48
	;; [unrolled: 8-line block ×5, first 2 shown]
	v_xor_b32_e32 v48, vcc_hi, v1
	v_xor_b32_e32 v1, vcc_lo, v1
	v_and_b32_e32 v3, v3, v1
	v_lshlrev_b32_e32 v1, 24, v2
	v_cmp_gt_i64_e32 vcc, 0, v[0:1]
	v_not_b32_e32 v0, v1
	v_ashrrev_i32_e32 v0, 31, v0
	v_xor_b32_e32 v1, vcc_hi, v0
	v_xor_b32_e32 v0, vcc_lo, v0
	; wave barrier
	ds_read_b32 v45, v49 offset:32
	v_and_b32_e32 v47, v47, v48
	v_and_b32_e32 v0, v3, v0
	;; [unrolled: 1-line block ×3, first 2 shown]
	v_mbcnt_lo_u32_b32 v2, v0, 0
	v_mbcnt_hi_u32_b32 v47, v1, v2
	v_cmp_eq_u32_e32 vcc, 0, v47
	v_cmp_ne_u64_e64 s[2:3], 0, v[0:1]
	s_and_b64 s[4:5], s[2:3], vcc
	; wave barrier
	s_and_saveexec_b64 s[2:3], s[4:5]
	s_cbranch_execz .LBB179_157
; %bb.156:
	v_bcnt_u32_b32 v0, v0, 0
	v_bcnt_u32_b32 v0, v1, v0
	s_waitcnt lgkmcnt(0)
	v_add_u32_e32 v0, v45, v0
	ds_write_b32 v49, v0 offset:32
.LBB179_157:
	s_or_b64 exec, exec, s[2:3]
	s_waitcnt vmcnt(7)
	v_lshrrev_b32_e32 v0, s56, v29
	v_and_b32_e32 v2, s15, v0
	v_and_b32_e32 v1, 1, v2
	v_add_co_u32_e32 v3, vcc, -1, v1
	v_addc_co_u32_e64 v50, s[2:3], 0, -1, vcc
	v_cmp_ne_u32_e32 vcc, 0, v1
	v_lshl_add_u32 v0, v2, 3, v2
	v_xor_b32_e32 v1, vcc_hi, v50
	v_add_lshl_u32 v52, v16, v0, 2
	v_mov_b32_e32 v0, 0
	v_and_b32_e32 v50, exec_hi, v1
	v_lshlrev_b32_e32 v1, 30, v2
	v_xor_b32_e32 v3, vcc_lo, v3
	v_cmp_gt_i64_e32 vcc, 0, v[0:1]
	v_not_b32_e32 v1, v1
	v_ashrrev_i32_e32 v1, 31, v1
	v_and_b32_e32 v3, exec_lo, v3
	v_xor_b32_e32 v51, vcc_hi, v1
	v_xor_b32_e32 v1, vcc_lo, v1
	v_and_b32_e32 v3, v3, v1
	v_lshlrev_b32_e32 v1, 29, v2
	v_cmp_gt_i64_e32 vcc, 0, v[0:1]
	v_not_b32_e32 v1, v1
	v_ashrrev_i32_e32 v1, 31, v1
	v_and_b32_e32 v50, v50, v51
	v_xor_b32_e32 v51, vcc_hi, v1
	v_xor_b32_e32 v1, vcc_lo, v1
	v_and_b32_e32 v3, v3, v1
	v_lshlrev_b32_e32 v1, 28, v2
	v_cmp_gt_i64_e32 vcc, 0, v[0:1]
	v_not_b32_e32 v1, v1
	v_ashrrev_i32_e32 v1, 31, v1
	v_and_b32_e32 v50, v50, v51
	;; [unrolled: 8-line block ×5, first 2 shown]
	v_xor_b32_e32 v51, vcc_hi, v1
	v_xor_b32_e32 v1, vcc_lo, v1
	v_and_b32_e32 v50, v50, v51
	v_and_b32_e32 v51, v3, v1
	v_lshlrev_b32_e32 v1, 24, v2
	v_cmp_gt_i64_e32 vcc, 0, v[0:1]
	v_not_b32_e32 v1, v1
	v_ashrrev_i32_e32 v1, 31, v1
	v_xor_b32_e32 v2, vcc_hi, v1
	v_xor_b32_e32 v1, vcc_lo, v1
	; wave barrier
	ds_read_b32 v48, v52 offset:32
	v_and_b32_e32 v3, v50, v2
	v_and_b32_e32 v2, v51, v1
	v_mbcnt_lo_u32_b32 v1, v2, 0
	v_mbcnt_hi_u32_b32 v50, v3, v1
	v_cmp_eq_u32_e32 vcc, 0, v50
	v_cmp_ne_u64_e64 s[2:3], 0, v[2:3]
	s_and_b64 s[4:5], s[2:3], vcc
	; wave barrier
	s_and_saveexec_b64 s[2:3], s[4:5]
	s_cbranch_execz .LBB179_159
; %bb.158:
	v_bcnt_u32_b32 v1, v2, 0
	v_bcnt_u32_b32 v1, v3, v1
	s_waitcnt lgkmcnt(0)
	v_add_u32_e32 v1, v48, v1
	ds_write_b32 v52, v1 offset:32
.LBB179_159:
	s_or_b64 exec, exec, s[2:3]
	s_waitcnt vmcnt(6)
	v_lshrrev_b32_e32 v1, s56, v30
	v_and_b32_e32 v2, s15, v1
	v_lshl_add_u32 v1, v2, 3, v2
	v_add_lshl_u32 v55, v16, v1, 2
	v_and_b32_e32 v1, 1, v2
	v_add_co_u32_e32 v3, vcc, -1, v1
	v_addc_co_u32_e64 v53, s[2:3], 0, -1, vcc
	v_cmp_ne_u32_e32 vcc, 0, v1
	v_xor_b32_e32 v1, vcc_hi, v53
	v_and_b32_e32 v53, exec_hi, v1
	v_lshlrev_b32_e32 v1, 30, v2
	v_xor_b32_e32 v3, vcc_lo, v3
	v_cmp_gt_i64_e32 vcc, 0, v[0:1]
	v_not_b32_e32 v1, v1
	v_ashrrev_i32_e32 v1, 31, v1
	v_and_b32_e32 v3, exec_lo, v3
	v_xor_b32_e32 v54, vcc_hi, v1
	v_xor_b32_e32 v1, vcc_lo, v1
	v_and_b32_e32 v3, v3, v1
	v_lshlrev_b32_e32 v1, 29, v2
	v_cmp_gt_i64_e32 vcc, 0, v[0:1]
	v_not_b32_e32 v1, v1
	v_ashrrev_i32_e32 v1, 31, v1
	v_and_b32_e32 v53, v53, v54
	v_xor_b32_e32 v54, vcc_hi, v1
	v_xor_b32_e32 v1, vcc_lo, v1
	v_and_b32_e32 v3, v3, v1
	v_lshlrev_b32_e32 v1, 28, v2
	v_cmp_gt_i64_e32 vcc, 0, v[0:1]
	v_not_b32_e32 v1, v1
	v_ashrrev_i32_e32 v1, 31, v1
	v_and_b32_e32 v53, v53, v54
	;; [unrolled: 8-line block ×5, first 2 shown]
	v_xor_b32_e32 v54, vcc_hi, v1
	v_xor_b32_e32 v1, vcc_lo, v1
	v_and_b32_e32 v3, v3, v1
	v_lshlrev_b32_e32 v1, 24, v2
	v_cmp_gt_i64_e32 vcc, 0, v[0:1]
	v_not_b32_e32 v0, v1
	v_ashrrev_i32_e32 v0, 31, v0
	v_xor_b32_e32 v1, vcc_hi, v0
	v_xor_b32_e32 v0, vcc_lo, v0
	; wave barrier
	ds_read_b32 v51, v55 offset:32
	v_and_b32_e32 v53, v53, v54
	v_and_b32_e32 v0, v3, v0
	;; [unrolled: 1-line block ×3, first 2 shown]
	v_mbcnt_lo_u32_b32 v2, v0, 0
	v_mbcnt_hi_u32_b32 v53, v1, v2
	v_cmp_eq_u32_e32 vcc, 0, v53
	v_cmp_ne_u64_e64 s[2:3], 0, v[0:1]
	s_and_b64 s[4:5], s[2:3], vcc
	; wave barrier
	s_and_saveexec_b64 s[2:3], s[4:5]
	s_cbranch_execz .LBB179_161
; %bb.160:
	v_bcnt_u32_b32 v0, v0, 0
	v_bcnt_u32_b32 v0, v1, v0
	s_waitcnt lgkmcnt(0)
	v_add_u32_e32 v0, v51, v0
	ds_write_b32 v55, v0 offset:32
.LBB179_161:
	s_or_b64 exec, exec, s[2:3]
	s_waitcnt vmcnt(5)
	v_lshrrev_b32_e32 v0, s56, v31
	v_and_b32_e32 v2, s15, v0
	v_and_b32_e32 v1, 1, v2
	v_add_co_u32_e32 v3, vcc, -1, v1
	v_addc_co_u32_e64 v56, s[2:3], 0, -1, vcc
	v_cmp_ne_u32_e32 vcc, 0, v1
	v_lshl_add_u32 v0, v2, 3, v2
	v_xor_b32_e32 v1, vcc_hi, v56
	v_add_lshl_u32 v58, v16, v0, 2
	v_mov_b32_e32 v0, 0
	v_and_b32_e32 v56, exec_hi, v1
	v_lshlrev_b32_e32 v1, 30, v2
	v_xor_b32_e32 v3, vcc_lo, v3
	v_cmp_gt_i64_e32 vcc, 0, v[0:1]
	v_not_b32_e32 v1, v1
	v_ashrrev_i32_e32 v1, 31, v1
	v_and_b32_e32 v3, exec_lo, v3
	v_xor_b32_e32 v57, vcc_hi, v1
	v_xor_b32_e32 v1, vcc_lo, v1
	v_and_b32_e32 v3, v3, v1
	v_lshlrev_b32_e32 v1, 29, v2
	v_cmp_gt_i64_e32 vcc, 0, v[0:1]
	v_not_b32_e32 v1, v1
	v_ashrrev_i32_e32 v1, 31, v1
	v_and_b32_e32 v56, v56, v57
	v_xor_b32_e32 v57, vcc_hi, v1
	v_xor_b32_e32 v1, vcc_lo, v1
	v_and_b32_e32 v3, v3, v1
	v_lshlrev_b32_e32 v1, 28, v2
	v_cmp_gt_i64_e32 vcc, 0, v[0:1]
	v_not_b32_e32 v1, v1
	v_ashrrev_i32_e32 v1, 31, v1
	v_and_b32_e32 v56, v56, v57
	;; [unrolled: 8-line block ×5, first 2 shown]
	v_xor_b32_e32 v57, vcc_hi, v1
	v_xor_b32_e32 v1, vcc_lo, v1
	v_and_b32_e32 v56, v56, v57
	v_and_b32_e32 v57, v3, v1
	v_lshlrev_b32_e32 v1, 24, v2
	v_cmp_gt_i64_e32 vcc, 0, v[0:1]
	v_not_b32_e32 v1, v1
	v_ashrrev_i32_e32 v1, 31, v1
	v_xor_b32_e32 v2, vcc_hi, v1
	v_xor_b32_e32 v1, vcc_lo, v1
	; wave barrier
	ds_read_b32 v54, v58 offset:32
	v_and_b32_e32 v3, v56, v2
	v_and_b32_e32 v2, v57, v1
	v_mbcnt_lo_u32_b32 v1, v2, 0
	v_mbcnt_hi_u32_b32 v56, v3, v1
	v_cmp_eq_u32_e32 vcc, 0, v56
	v_cmp_ne_u64_e64 s[2:3], 0, v[2:3]
	s_and_b64 s[4:5], s[2:3], vcc
	; wave barrier
	s_and_saveexec_b64 s[2:3], s[4:5]
	s_cbranch_execz .LBB179_163
; %bb.162:
	v_bcnt_u32_b32 v1, v2, 0
	v_bcnt_u32_b32 v1, v3, v1
	s_waitcnt lgkmcnt(0)
	v_add_u32_e32 v1, v54, v1
	ds_write_b32 v58, v1 offset:32
.LBB179_163:
	s_or_b64 exec, exec, s[2:3]
	s_waitcnt vmcnt(4)
	v_lshrrev_b32_e32 v1, s56, v32
	v_and_b32_e32 v2, s15, v1
	v_lshl_add_u32 v1, v2, 3, v2
	v_add_lshl_u32 v61, v16, v1, 2
	v_and_b32_e32 v1, 1, v2
	v_add_co_u32_e32 v3, vcc, -1, v1
	v_addc_co_u32_e64 v59, s[2:3], 0, -1, vcc
	v_cmp_ne_u32_e32 vcc, 0, v1
	v_xor_b32_e32 v1, vcc_hi, v59
	v_and_b32_e32 v59, exec_hi, v1
	v_lshlrev_b32_e32 v1, 30, v2
	v_xor_b32_e32 v3, vcc_lo, v3
	v_cmp_gt_i64_e32 vcc, 0, v[0:1]
	v_not_b32_e32 v1, v1
	v_ashrrev_i32_e32 v1, 31, v1
	v_and_b32_e32 v3, exec_lo, v3
	v_xor_b32_e32 v60, vcc_hi, v1
	v_xor_b32_e32 v1, vcc_lo, v1
	v_and_b32_e32 v3, v3, v1
	v_lshlrev_b32_e32 v1, 29, v2
	v_cmp_gt_i64_e32 vcc, 0, v[0:1]
	v_not_b32_e32 v1, v1
	v_ashrrev_i32_e32 v1, 31, v1
	v_and_b32_e32 v59, v59, v60
	v_xor_b32_e32 v60, vcc_hi, v1
	v_xor_b32_e32 v1, vcc_lo, v1
	v_and_b32_e32 v3, v3, v1
	v_lshlrev_b32_e32 v1, 28, v2
	v_cmp_gt_i64_e32 vcc, 0, v[0:1]
	v_not_b32_e32 v1, v1
	v_ashrrev_i32_e32 v1, 31, v1
	v_and_b32_e32 v59, v59, v60
	;; [unrolled: 8-line block ×5, first 2 shown]
	v_xor_b32_e32 v60, vcc_hi, v1
	v_xor_b32_e32 v1, vcc_lo, v1
	v_and_b32_e32 v3, v3, v1
	v_lshlrev_b32_e32 v1, 24, v2
	v_cmp_gt_i64_e32 vcc, 0, v[0:1]
	v_not_b32_e32 v0, v1
	v_ashrrev_i32_e32 v0, 31, v0
	v_xor_b32_e32 v1, vcc_hi, v0
	v_xor_b32_e32 v0, vcc_lo, v0
	; wave barrier
	ds_read_b32 v57, v61 offset:32
	v_and_b32_e32 v59, v59, v60
	v_and_b32_e32 v0, v3, v0
	;; [unrolled: 1-line block ×3, first 2 shown]
	v_mbcnt_lo_u32_b32 v2, v0, 0
	v_mbcnt_hi_u32_b32 v59, v1, v2
	v_cmp_eq_u32_e32 vcc, 0, v59
	v_cmp_ne_u64_e64 s[2:3], 0, v[0:1]
	s_and_b64 s[4:5], s[2:3], vcc
	; wave barrier
	s_and_saveexec_b64 s[2:3], s[4:5]
	s_cbranch_execz .LBB179_165
; %bb.164:
	v_bcnt_u32_b32 v0, v0, 0
	v_bcnt_u32_b32 v0, v1, v0
	s_waitcnt lgkmcnt(0)
	v_add_u32_e32 v0, v57, v0
	ds_write_b32 v61, v0 offset:32
.LBB179_165:
	s_or_b64 exec, exec, s[2:3]
	s_waitcnt vmcnt(3)
	v_lshrrev_b32_e32 v0, s56, v33
	v_and_b32_e32 v2, s15, v0
	v_and_b32_e32 v1, 1, v2
	v_add_co_u32_e32 v3, vcc, -1, v1
	v_addc_co_u32_e64 v62, s[2:3], 0, -1, vcc
	v_cmp_ne_u32_e32 vcc, 0, v1
	v_lshl_add_u32 v0, v2, 3, v2
	v_xor_b32_e32 v1, vcc_hi, v62
	v_add_lshl_u32 v64, v16, v0, 2
	v_mov_b32_e32 v0, 0
	v_and_b32_e32 v62, exec_hi, v1
	v_lshlrev_b32_e32 v1, 30, v2
	v_xor_b32_e32 v3, vcc_lo, v3
	v_cmp_gt_i64_e32 vcc, 0, v[0:1]
	v_not_b32_e32 v1, v1
	v_ashrrev_i32_e32 v1, 31, v1
	v_and_b32_e32 v3, exec_lo, v3
	v_xor_b32_e32 v63, vcc_hi, v1
	v_xor_b32_e32 v1, vcc_lo, v1
	v_and_b32_e32 v3, v3, v1
	v_lshlrev_b32_e32 v1, 29, v2
	v_cmp_gt_i64_e32 vcc, 0, v[0:1]
	v_not_b32_e32 v1, v1
	v_ashrrev_i32_e32 v1, 31, v1
	v_and_b32_e32 v62, v62, v63
	v_xor_b32_e32 v63, vcc_hi, v1
	v_xor_b32_e32 v1, vcc_lo, v1
	v_and_b32_e32 v3, v3, v1
	v_lshlrev_b32_e32 v1, 28, v2
	v_cmp_gt_i64_e32 vcc, 0, v[0:1]
	v_not_b32_e32 v1, v1
	v_ashrrev_i32_e32 v1, 31, v1
	v_and_b32_e32 v62, v62, v63
	;; [unrolled: 8-line block ×5, first 2 shown]
	v_xor_b32_e32 v63, vcc_hi, v1
	v_xor_b32_e32 v1, vcc_lo, v1
	v_and_b32_e32 v62, v62, v63
	v_and_b32_e32 v63, v3, v1
	v_lshlrev_b32_e32 v1, 24, v2
	v_cmp_gt_i64_e32 vcc, 0, v[0:1]
	v_not_b32_e32 v1, v1
	v_ashrrev_i32_e32 v1, 31, v1
	v_xor_b32_e32 v2, vcc_hi, v1
	v_xor_b32_e32 v1, vcc_lo, v1
	; wave barrier
	ds_read_b32 v60, v64 offset:32
	v_and_b32_e32 v3, v62, v2
	v_and_b32_e32 v2, v63, v1
	v_mbcnt_lo_u32_b32 v1, v2, 0
	v_mbcnt_hi_u32_b32 v62, v3, v1
	v_cmp_eq_u32_e32 vcc, 0, v62
	v_cmp_ne_u64_e64 s[2:3], 0, v[2:3]
	s_and_b64 s[4:5], s[2:3], vcc
	; wave barrier
	s_and_saveexec_b64 s[2:3], s[4:5]
	s_cbranch_execz .LBB179_167
; %bb.166:
	v_bcnt_u32_b32 v1, v2, 0
	v_bcnt_u32_b32 v1, v3, v1
	s_waitcnt lgkmcnt(0)
	v_add_u32_e32 v1, v60, v1
	ds_write_b32 v64, v1 offset:32
.LBB179_167:
	s_or_b64 exec, exec, s[2:3]
	s_waitcnt vmcnt(2)
	v_lshrrev_b32_e32 v1, s56, v34
	v_and_b32_e32 v2, s15, v1
	v_lshl_add_u32 v1, v2, 3, v2
	v_add_lshl_u32 v67, v16, v1, 2
	v_and_b32_e32 v1, 1, v2
	v_add_co_u32_e32 v3, vcc, -1, v1
	v_addc_co_u32_e64 v65, s[2:3], 0, -1, vcc
	v_cmp_ne_u32_e32 vcc, 0, v1
	v_xor_b32_e32 v1, vcc_hi, v65
	v_and_b32_e32 v65, exec_hi, v1
	v_lshlrev_b32_e32 v1, 30, v2
	v_xor_b32_e32 v3, vcc_lo, v3
	v_cmp_gt_i64_e32 vcc, 0, v[0:1]
	v_not_b32_e32 v1, v1
	v_ashrrev_i32_e32 v1, 31, v1
	v_and_b32_e32 v3, exec_lo, v3
	v_xor_b32_e32 v66, vcc_hi, v1
	v_xor_b32_e32 v1, vcc_lo, v1
	v_and_b32_e32 v3, v3, v1
	v_lshlrev_b32_e32 v1, 29, v2
	v_cmp_gt_i64_e32 vcc, 0, v[0:1]
	v_not_b32_e32 v1, v1
	v_ashrrev_i32_e32 v1, 31, v1
	v_and_b32_e32 v65, v65, v66
	v_xor_b32_e32 v66, vcc_hi, v1
	v_xor_b32_e32 v1, vcc_lo, v1
	v_and_b32_e32 v3, v3, v1
	v_lshlrev_b32_e32 v1, 28, v2
	v_cmp_gt_i64_e32 vcc, 0, v[0:1]
	v_not_b32_e32 v1, v1
	v_ashrrev_i32_e32 v1, 31, v1
	v_and_b32_e32 v65, v65, v66
	;; [unrolled: 8-line block ×5, first 2 shown]
	v_xor_b32_e32 v66, vcc_hi, v1
	v_xor_b32_e32 v1, vcc_lo, v1
	v_and_b32_e32 v3, v3, v1
	v_lshlrev_b32_e32 v1, 24, v2
	v_cmp_gt_i64_e32 vcc, 0, v[0:1]
	v_not_b32_e32 v0, v1
	v_ashrrev_i32_e32 v0, 31, v0
	v_xor_b32_e32 v1, vcc_hi, v0
	v_xor_b32_e32 v0, vcc_lo, v0
	; wave barrier
	ds_read_b32 v63, v67 offset:32
	v_and_b32_e32 v65, v65, v66
	v_and_b32_e32 v0, v3, v0
	;; [unrolled: 1-line block ×3, first 2 shown]
	v_mbcnt_lo_u32_b32 v2, v0, 0
	v_mbcnt_hi_u32_b32 v65, v1, v2
	v_cmp_eq_u32_e32 vcc, 0, v65
	v_cmp_ne_u64_e64 s[2:3], 0, v[0:1]
	s_and_b64 s[4:5], s[2:3], vcc
	; wave barrier
	s_and_saveexec_b64 s[2:3], s[4:5]
	s_cbranch_execz .LBB179_169
; %bb.168:
	v_bcnt_u32_b32 v0, v0, 0
	v_bcnt_u32_b32 v0, v1, v0
	s_waitcnt lgkmcnt(0)
	v_add_u32_e32 v0, v63, v0
	ds_write_b32 v67, v0 offset:32
.LBB179_169:
	s_or_b64 exec, exec, s[2:3]
	s_waitcnt vmcnt(1)
	v_lshrrev_b32_e32 v0, s56, v35
	v_and_b32_e32 v2, s15, v0
	v_and_b32_e32 v1, 1, v2
	v_add_co_u32_e32 v3, vcc, -1, v1
	v_addc_co_u32_e64 v68, s[2:3], 0, -1, vcc
	v_cmp_ne_u32_e32 vcc, 0, v1
	v_lshl_add_u32 v0, v2, 3, v2
	v_xor_b32_e32 v1, vcc_hi, v68
	v_add_lshl_u32 v69, v16, v0, 2
	v_mov_b32_e32 v0, 0
	v_and_b32_e32 v68, exec_hi, v1
	v_lshlrev_b32_e32 v1, 30, v2
	v_xor_b32_e32 v3, vcc_lo, v3
	v_cmp_gt_i64_e32 vcc, 0, v[0:1]
	v_not_b32_e32 v1, v1
	v_ashrrev_i32_e32 v1, 31, v1
	v_and_b32_e32 v3, exec_lo, v3
	v_xor_b32_e32 v70, vcc_hi, v1
	v_xor_b32_e32 v1, vcc_lo, v1
	v_and_b32_e32 v3, v3, v1
	v_lshlrev_b32_e32 v1, 29, v2
	v_cmp_gt_i64_e32 vcc, 0, v[0:1]
	v_not_b32_e32 v1, v1
	v_ashrrev_i32_e32 v1, 31, v1
	v_and_b32_e32 v68, v68, v70
	v_xor_b32_e32 v70, vcc_hi, v1
	v_xor_b32_e32 v1, vcc_lo, v1
	v_and_b32_e32 v3, v3, v1
	v_lshlrev_b32_e32 v1, 28, v2
	v_cmp_gt_i64_e32 vcc, 0, v[0:1]
	v_not_b32_e32 v1, v1
	v_ashrrev_i32_e32 v1, 31, v1
	v_and_b32_e32 v68, v68, v70
	;; [unrolled: 8-line block ×5, first 2 shown]
	v_xor_b32_e32 v70, vcc_hi, v1
	v_xor_b32_e32 v1, vcc_lo, v1
	v_and_b32_e32 v68, v68, v70
	v_and_b32_e32 v70, v3, v1
	v_lshlrev_b32_e32 v1, 24, v2
	v_cmp_gt_i64_e32 vcc, 0, v[0:1]
	v_not_b32_e32 v1, v1
	v_ashrrev_i32_e32 v1, 31, v1
	v_xor_b32_e32 v2, vcc_hi, v1
	v_xor_b32_e32 v1, vcc_lo, v1
	; wave barrier
	ds_read_b32 v66, v69 offset:32
	v_and_b32_e32 v3, v68, v2
	v_and_b32_e32 v2, v70, v1
	v_mbcnt_lo_u32_b32 v1, v2, 0
	v_mbcnt_hi_u32_b32 v68, v3, v1
	v_cmp_eq_u32_e32 vcc, 0, v68
	v_cmp_ne_u64_e64 s[2:3], 0, v[2:3]
	s_and_b64 s[4:5], s[2:3], vcc
	; wave barrier
	s_and_saveexec_b64 s[2:3], s[4:5]
	s_cbranch_execz .LBB179_171
; %bb.170:
	v_bcnt_u32_b32 v1, v2, 0
	v_bcnt_u32_b32 v1, v3, v1
	s_waitcnt lgkmcnt(0)
	v_add_u32_e32 v1, v66, v1
	ds_write_b32 v69, v1 offset:32
.LBB179_171:
	s_or_b64 exec, exec, s[2:3]
	s_waitcnt vmcnt(0)
	v_lshrrev_b32_e32 v1, s56, v36
	v_and_b32_e32 v2, s15, v1
	v_lshl_add_u32 v1, v2, 3, v2
	v_add_lshl_u32 v71, v16, v1, 2
	v_and_b32_e32 v1, 1, v2
	v_add_co_u32_e32 v3, vcc, -1, v1
	v_addc_co_u32_e64 v70, s[2:3], 0, -1, vcc
	v_cmp_ne_u32_e32 vcc, 0, v1
	v_xor_b32_e32 v1, vcc_hi, v70
	v_and_b32_e32 v70, exec_hi, v1
	v_lshlrev_b32_e32 v1, 30, v2
	v_xor_b32_e32 v3, vcc_lo, v3
	v_cmp_gt_i64_e32 vcc, 0, v[0:1]
	v_not_b32_e32 v1, v1
	v_ashrrev_i32_e32 v1, 31, v1
	v_and_b32_e32 v3, exec_lo, v3
	v_xor_b32_e32 v73, vcc_hi, v1
	v_xor_b32_e32 v1, vcc_lo, v1
	v_and_b32_e32 v3, v3, v1
	v_lshlrev_b32_e32 v1, 29, v2
	v_cmp_gt_i64_e32 vcc, 0, v[0:1]
	v_not_b32_e32 v1, v1
	v_ashrrev_i32_e32 v1, 31, v1
	v_and_b32_e32 v70, v70, v73
	v_xor_b32_e32 v73, vcc_hi, v1
	v_xor_b32_e32 v1, vcc_lo, v1
	v_and_b32_e32 v3, v3, v1
	v_lshlrev_b32_e32 v1, 28, v2
	v_cmp_gt_i64_e32 vcc, 0, v[0:1]
	v_not_b32_e32 v1, v1
	v_ashrrev_i32_e32 v1, 31, v1
	v_and_b32_e32 v70, v70, v73
	;; [unrolled: 8-line block ×5, first 2 shown]
	v_xor_b32_e32 v73, vcc_hi, v1
	v_xor_b32_e32 v1, vcc_lo, v1
	v_and_b32_e32 v3, v3, v1
	v_lshlrev_b32_e32 v1, 24, v2
	v_cmp_gt_i64_e32 vcc, 0, v[0:1]
	v_not_b32_e32 v0, v1
	v_ashrrev_i32_e32 v0, 31, v0
	v_xor_b32_e32 v1, vcc_hi, v0
	v_xor_b32_e32 v0, vcc_lo, v0
	; wave barrier
	ds_read_b32 v16, v71 offset:32
	v_and_b32_e32 v70, v70, v73
	v_and_b32_e32 v0, v3, v0
	v_and_b32_e32 v1, v70, v1
	v_mbcnt_lo_u32_b32 v2, v0, 0
	v_mbcnt_hi_u32_b32 v70, v1, v2
	v_cmp_eq_u32_e32 vcc, 0, v70
	v_cmp_ne_u64_e64 s[2:3], 0, v[0:1]
	v_add_u32_e32 v72, 32, v5
	s_and_b64 s[4:5], s[2:3], vcc
	; wave barrier
	s_and_saveexec_b64 s[2:3], s[4:5]
	s_cbranch_execz .LBB179_173
; %bb.172:
	v_bcnt_u32_b32 v0, v0, 0
	v_bcnt_u32_b32 v0, v1, v0
	s_waitcnt lgkmcnt(0)
	v_add_u32_e32 v0, v16, v0
	ds_write_b32 v71, v0 offset:32
.LBB179_173:
	s_or_b64 exec, exec, s[2:3]
	; wave barrier
	s_waitcnt lgkmcnt(0)
	s_barrier
	ds_read2_b32 v[2:3], v5 offset0:8 offset1:9
	ds_read2_b32 v[0:1], v72 offset0:2 offset1:3
	ds_read_b32 v73, v72 offset:16
	s_waitcnt lgkmcnt(1)
	v_add3_u32 v74, v3, v2, v0
	s_waitcnt lgkmcnt(0)
	v_add3_u32 v73, v74, v1, v73
	v_and_b32_e32 v74, 15, v4
	v_cmp_ne_u32_e32 vcc, 0, v74
	v_mov_b32_dpp v75, v73 row_shr:1 row_mask:0xf bank_mask:0xf
	v_cndmask_b32_e32 v75, 0, v75, vcc
	v_add_u32_e32 v73, v75, v73
	v_cmp_lt_u32_e32 vcc, 1, v74
	s_nop 0
	v_mov_b32_dpp v75, v73 row_shr:2 row_mask:0xf bank_mask:0xf
	v_cndmask_b32_e32 v75, 0, v75, vcc
	v_add_u32_e32 v73, v73, v75
	v_cmp_lt_u32_e32 vcc, 3, v74
	s_nop 0
	;; [unrolled: 5-line block ×3, first 2 shown]
	v_mov_b32_dpp v75, v73 row_shr:8 row_mask:0xf bank_mask:0xf
	v_cndmask_b32_e32 v74, 0, v75, vcc
	v_add_u32_e32 v73, v73, v74
	v_bfe_i32 v75, v4, 4, 1
	v_cmp_lt_u32_e32 vcc, 31, v4
	v_mov_b32_dpp v74, v73 row_bcast:15 row_mask:0xf bank_mask:0xf
	v_and_b32_e32 v74, v75, v74
	v_add_u32_e32 v73, v73, v74
	v_and_b32_e32 v75, 0x3c0, v18
	v_min_u32_e32 v75, 0x1c0, v75
	v_mov_b32_dpp v74, v73 row_bcast:31 row_mask:0xf bank_mask:0xf
	v_cndmask_b32_e32 v74, 0, v74, vcc
	v_or_b32_e32 v75, 63, v75
	v_add_u32_e32 v73, v73, v74
	v_lshrrev_b32_e32 v74, 6, v18
	v_cmp_eq_u32_e32 vcc, v75, v18
	s_and_saveexec_b64 s[2:3], vcc
	s_cbranch_execz .LBB179_175
; %bb.174:
	v_lshlrev_b32_e32 v75, 2, v74
	ds_write_b32 v75, v73
.LBB179_175:
	s_or_b64 exec, exec, s[2:3]
	v_cmp_gt_u32_e32 vcc, 8, v18
	s_waitcnt lgkmcnt(0)
	s_barrier
	s_and_saveexec_b64 s[2:3], vcc
	s_cbranch_execz .LBB179_177
; %bb.176:
	v_lshlrev_b32_e32 v75, 2, v18
	ds_read_b32 v76, v75
	v_and_b32_e32 v77, 7, v4
	v_cmp_ne_u32_e32 vcc, 0, v77
	s_waitcnt lgkmcnt(0)
	v_mov_b32_dpp v78, v76 row_shr:1 row_mask:0xf bank_mask:0xf
	v_cndmask_b32_e32 v78, 0, v78, vcc
	v_add_u32_e32 v76, v78, v76
	v_cmp_lt_u32_e32 vcc, 1, v77
	s_nop 0
	v_mov_b32_dpp v78, v76 row_shr:2 row_mask:0xf bank_mask:0xf
	v_cndmask_b32_e32 v78, 0, v78, vcc
	v_add_u32_e32 v76, v76, v78
	v_cmp_lt_u32_e32 vcc, 3, v77
	s_nop 0
	v_mov_b32_dpp v78, v76 row_shr:4 row_mask:0xf bank_mask:0xf
	v_cndmask_b32_e32 v77, 0, v78, vcc
	v_add_u32_e32 v76, v76, v77
	ds_write_b32 v75, v76
.LBB179_177:
	s_or_b64 exec, exec, s[2:3]
	v_cmp_lt_u32_e32 vcc, 63, v18
	v_mov_b32_e32 v75, 0
	s_waitcnt lgkmcnt(0)
	s_barrier
	s_and_saveexec_b64 s[2:3], vcc
	s_cbranch_execz .LBB179_179
; %bb.178:
	v_lshl_add_u32 v74, v74, 2, -4
	ds_read_b32 v75, v74
.LBB179_179:
	s_or_b64 exec, exec, s[2:3]
	v_add_u32_e32 v74, -1, v4
	v_and_b32_e32 v76, 64, v4
	v_cmp_lt_i32_e32 vcc, v74, v76
	v_cndmask_b32_e32 v74, v74, v4, vcc
	s_waitcnt lgkmcnt(0)
	v_add_u32_e32 v73, v75, v73
	v_lshlrev_b32_e32 v74, 2, v74
	ds_bpermute_b32 v73, v74, v73
	v_cmp_eq_u32_e32 vcc, 0, v4
	s_waitcnt lgkmcnt(0)
	v_cndmask_b32_e32 v4, v73, v75, vcc
	v_cndmask_b32_e64 v4, v4, 0, s[0:1]
	v_add_u32_e32 v2, v4, v2
	v_add_u32_e32 v3, v2, v3
	;; [unrolled: 1-line block ×4, first 2 shown]
	ds_write2_b32 v5, v4, v2 offset0:8 offset1:9
	ds_write2_b32 v72, v3, v0 offset0:2 offset1:3
	ds_write_b32 v72, v1 offset:16
	s_waitcnt lgkmcnt(0)
	s_barrier
	ds_read_b32 v75, v9 offset:32
	ds_read_b32 v9, v11 offset:32
	;; [unrolled: 1-line block ×16, first 2 shown]
	s_movk_i32 s0, 0x100
	v_cmp_gt_u32_e32 vcc, s0, v18
                                        ; implicit-def: $vgpr52
                                        ; implicit-def: $vgpr55
	s_and_saveexec_b64 s[2:3], vcc
	s_cbranch_execz .LBB179_183
; %bb.180:
	v_mul_u32_u24_e32 v0, 9, v18
	v_lshlrev_b32_e32 v1, 2, v0
	ds_read_b32 v52, v1 offset:32
	s_movk_i32 s0, 0xff
	v_cmp_ne_u32_e64 s[0:1], s0, v18
	v_mov_b32_e32 v0, 0x2000
	s_and_saveexec_b64 s[4:5], s[0:1]
	s_cbranch_execz .LBB179_182
; %bb.181:
	ds_read_b32 v0, v1 offset:68
.LBB179_182:
	s_or_b64 exec, exec, s[4:5]
	s_waitcnt lgkmcnt(0)
	v_sub_u32_e32 v55, v0, v52
.LBB179_183:
	s_or_b64 exec, exec, s[2:3]
	s_waitcnt lgkmcnt(0)
	s_barrier
	s_and_saveexec_b64 s[2:3], vcc
	s_cbranch_execz .LBB179_193
; %bb.184:
	v_lshl_or_b32 v0, s33, 8, v18
	v_mov_b32_e32 v1, 0
	v_lshlrev_b64 v[2:3], 2, v[0:1]
	v_mov_b32_e32 v37, s43
	v_add_co_u32_e64 v2, s[0:1], s42, v2
	v_addc_co_u32_e64 v3, s[0:1], v37, v3, s[0:1]
	v_or_b32_e32 v0, 2.0, v55
	s_mov_b64 s[4:5], 0
	s_brev_b32 s16, 1
	s_mov_b32 s17, s33
	v_mov_b32_e32 v40, 0
	global_store_dword v[2:3], v0, off
                                        ; implicit-def: $sgpr0_sgpr1
	s_branch .LBB179_187
.LBB179_185:                            ;   in Loop: Header=BB179_187 Depth=1
	s_or_b64 exec, exec, s[12:13]
.LBB179_186:                            ;   in Loop: Header=BB179_187 Depth=1
	s_or_b64 exec, exec, s[6:7]
	v_and_b32_e32 v4, 0x3fffffff, v58
	v_add_u32_e32 v40, v4, v40
	v_cmp_eq_u32_e64 s[0:1], s16, v0
	s_and_b64 s[6:7], exec, s[0:1]
	s_or_b64 s[4:5], s[6:7], s[4:5]
	s_andn2_b64 exec, exec, s[4:5]
	s_cbranch_execz .LBB179_192
.LBB179_187:                            ; =>This Loop Header: Depth=1
                                        ;     Child Loop BB179_190 Depth 2
	s_or_b64 s[0:1], s[0:1], exec
	s_cmp_eq_u32 s17, 0
	s_cbranch_scc1 .LBB179_191
; %bb.188:                              ;   in Loop: Header=BB179_187 Depth=1
	s_add_i32 s17, s17, -1
	v_lshl_or_b32 v0, s17, 8, v18
	v_lshlrev_b64 v[4:5], 2, v[0:1]
	v_add_co_u32_e64 v4, s[0:1], s42, v4
	v_addc_co_u32_e64 v5, s[0:1], v37, v5, s[0:1]
	global_load_dword v58, v[4:5], off glc
	s_waitcnt vmcnt(0)
	v_and_b32_e32 v0, -2.0, v58
	v_cmp_eq_u32_e64 s[0:1], 0, v0
	s_and_saveexec_b64 s[6:7], s[0:1]
	s_cbranch_execz .LBB179_186
; %bb.189:                              ;   in Loop: Header=BB179_187 Depth=1
	s_mov_b64 s[12:13], 0
.LBB179_190:                            ;   Parent Loop BB179_187 Depth=1
                                        ; =>  This Inner Loop Header: Depth=2
	global_load_dword v58, v[4:5], off glc
	s_waitcnt vmcnt(0)
	v_and_b32_e32 v0, -2.0, v58
	v_cmp_ne_u32_e64 s[0:1], 0, v0
	s_or_b64 s[12:13], s[0:1], s[12:13]
	s_andn2_b64 exec, exec, s[12:13]
	s_cbranch_execnz .LBB179_190
	s_branch .LBB179_185
.LBB179_191:                            ;   in Loop: Header=BB179_187 Depth=1
                                        ; implicit-def: $sgpr17
	s_and_b64 s[6:7], exec, s[0:1]
	s_or_b64 s[4:5], s[6:7], s[4:5]
	s_andn2_b64 exec, exec, s[4:5]
	s_cbranch_execnz .LBB179_187
.LBB179_192:
	s_or_b64 exec, exec, s[4:5]
	v_add_u32_e32 v0, v40, v55
	v_or_b32_e32 v0, 0x80000000, v0
	global_store_dword v[2:3], v0, off
	v_lshlrev_b32_e32 v0, 2, v18
	global_load_dword v1, v0, s[52:53]
	v_sub_u32_e32 v2, v40, v52
	s_waitcnt vmcnt(0)
	v_add_u32_e32 v1, v2, v1
	ds_write_b32 v0, v1
.LBB179_193:
	s_or_b64 exec, exec, s[2:3]
	v_lshlrev_b32_e32 v37, 2, v18
	v_add_u32_e32 v58, v75, v6
	s_movk_i32 s2, 0x400
	v_add_u32_e32 v40, 0x400, v37
	v_add3_u32 v61, v70, v61, v16
	v_add3_u32 v64, v68, v64, v66
	;; [unrolled: 1-line block ×15, first 2 shown]
	s_mov_b32 s3, 0
	s_mov_b32 s4, 3
	s_movk_i32 s5, 0x200
	s_movk_i32 s6, 0x600
	v_mov_b32_e32 v17, 0
	v_mov_b32_e32 v38, s47
	;; [unrolled: 1-line block ×3, first 2 shown]
                                        ; implicit-def: $vgpr0
.LBB179_194:                            ; =>This Inner Loop Header: Depth=1
	v_add_u32_e32 v16, s3, v58
	v_add_u32_e32 v41, s3, v69
	;; [unrolled: 1-line block ×16, first 2 shown]
	v_min_u32_e32 v16, 0x800, v16
	v_min_u32_e32 v41, 0x800, v41
	;; [unrolled: 1-line block ×16, first 2 shown]
	v_lshlrev_b32_e32 v16, 2, v16
	v_lshlrev_b32_e32 v41, 2, v41
	;; [unrolled: 1-line block ×16, first 2 shown]
	ds_write_b32 v16, v21 offset:1024
	ds_write_b32 v41, v22 offset:1024
	ds_write_b32 v42, v23 offset:1024
	ds_write_b32 v43, v24 offset:1024
	ds_write_b32 v44, v25 offset:1024
	ds_write_b32 v45, v26 offset:1024
	ds_write_b32 v46, v27 offset:1024
	ds_write_b32 v47, v28 offset:1024
	ds_write_b32 v48, v29 offset:1024
	ds_write_b32 v49, v30 offset:1024
	ds_write_b32 v50, v31 offset:1024
	ds_write_b32 v51, v32 offset:1024
	ds_write_b32 v70, v33 offset:1024
	ds_write_b32 v71, v34 offset:1024
	ds_write_b32 v72, v35 offset:1024
	ds_write_b32 v73, v36 offset:1024
	s_waitcnt lgkmcnt(0)
	s_barrier
	ds_read_b32 v41, v37 offset:1024
	s_add_i32 s7, s4, -3
	s_add_i32 s12, s4, -2
	s_add_i32 s13, s4, -1
	s_addk_i32 s3, 0xf800
	s_waitcnt lgkmcnt(0)
	v_lshrrev_b32_e32 v16, s56, v41
	v_and_b32_e32 v44, s15, v16
	v_lshlrev_b32_e32 v16, 2, v44
	ds_read_b32 v16, v16
	s_waitcnt lgkmcnt(0)
	v_add_u32_e32 v16, v39, v16
	v_lshlrev_b64 v[42:43], 2, v[16:17]
	v_add_co_u32_e64 v42, s[0:1], s46, v42
	v_addc_co_u32_e64 v43, s[0:1], v38, v43, s[0:1]
	global_store_dword v[42:43], v41, off
	s_set_gpr_idx_on s7, gpr_idx(DST)
	v_mov_b32_e32 v0, v44
	s_set_gpr_idx_off
	ds_read_b32 v41, v40 offset:2048
	s_waitcnt lgkmcnt(0)
	v_lshrrev_b32_e32 v16, s56, v41
	v_and_b32_e32 v44, s15, v16
	v_lshlrev_b32_e32 v16, 2, v44
	ds_read_b32 v16, v16
	s_waitcnt lgkmcnt(0)
	v_add3_u32 v16, v39, v16, s5
	v_lshlrev_b64 v[42:43], 2, v[16:17]
	v_add_co_u32_e64 v42, s[0:1], s46, v42
	v_addc_co_u32_e64 v43, s[0:1], v38, v43, s[0:1]
	global_store_dword v[42:43], v41, off
	s_set_gpr_idx_on s12, gpr_idx(DST)
	v_mov_b32_e32 v0, v44
	s_set_gpr_idx_off
	ds_read_b32 v41, v40 offset:4096
	s_waitcnt lgkmcnt(0)
	v_lshrrev_b32_e32 v16, s56, v41
	v_and_b32_e32 v44, s15, v16
	v_lshlrev_b32_e32 v16, 2, v44
	ds_read_b32 v16, v16
	s_waitcnt lgkmcnt(0)
	v_add3_u32 v16, v39, v16, s2
	;; [unrolled: 15-line block ×3, first 2 shown]
	v_lshlrev_b64 v[42:43], 2, v[16:17]
	v_add_co_u32_e64 v42, s[0:1], s46, v42
	v_addc_co_u32_e64 v43, s[0:1], v38, v43, s[0:1]
	global_store_dword v[42:43], v41, off
	s_set_gpr_idx_on s4, gpr_idx(DST)
	v_mov_b32_e32 v0, v44
	s_set_gpr_idx_off
	s_add_i32 s4, s4, 4
	v_add_u32_e32 v39, 0x800, v39
	s_cmpk_lg_i32 s3, 0xe000
	s_barrier
	s_cbranch_scc1 .LBB179_194
; %bb.195:
	s_lshl_b64 s[0:1], s[10:11], 3
	s_add_u32 s0, s48, s0
	s_addc_u32 s1, s49, s1
	v_lshlrev_b32_e32 v16, 3, v20
	v_mov_b32_e32 v17, s1
	v_add_co_u32_e64 v16, s[0:1], s0, v16
	v_addc_co_u32_e64 v17, s[0:1], 0, v17, s[0:1]
	v_lshlrev_b32_e32 v19, 3, v19
	v_add_co_u32_e64 v34, s[0:1], v16, v19
	v_addc_co_u32_e64 v35, s[0:1], 0, v17, s[0:1]
	s_movk_i32 s0, 0x1000
	v_add_co_u32_e64 v50, s[0:1], s0, v34
	v_addc_co_u32_e64 v51, s[0:1], 0, v35, s[0:1]
	global_load_dwordx2 v[16:17], v[34:35], off
	global_load_dwordx2 v[20:21], v[34:35], off offset:512
	global_load_dwordx2 v[22:23], v[34:35], off offset:1024
	;; [unrolled: 1-line block ×7, first 2 shown]
	s_nop 0
	global_load_dwordx2 v[34:35], v[50:51], off
	global_load_dwordx2 v[36:37], v[50:51], off offset:512
	global_load_dwordx2 v[38:39], v[50:51], off offset:1024
	;; [unrolled: 1-line block ×7, first 2 shown]
	v_lshlrev_b32_e32 v19, 3, v18
	s_mov_b32 s2, 0
	v_add_u32_e32 v70, 0x400, v19
	s_mov_b32 s3, 1
	s_movk_i32 s4, 0x200
	v_mov_b32_e32 v51, 0
	v_mov_b32_e32 v71, v18
	s_waitcnt vmcnt(0)
.LBB179_196:                            ; =>This Inner Loop Header: Depth=1
	v_add_u32_e32 v50, s2, v58
	v_add_u32_e32 v72, s2, v69
	;; [unrolled: 1-line block ×16, first 2 shown]
	v_min_u32_e32 v50, 0x400, v50
	s_add_i32 s0, s3, -1
	v_min_u32_e32 v72, 0x400, v72
	v_min_u32_e32 v73, 0x400, v73
	;; [unrolled: 1-line block ×15, first 2 shown]
	v_lshlrev_b32_e32 v50, 3, v50
	v_lshlrev_b32_e32 v72, 3, v72
	;; [unrolled: 1-line block ×16, first 2 shown]
	ds_write_b64 v50, v[16:17] offset:1024
	ds_write_b64 v72, v[20:21] offset:1024
	;; [unrolled: 1-line block ×16, first 2 shown]
	s_waitcnt lgkmcnt(0)
	s_barrier
	s_set_gpr_idx_on s0, gpr_idx(SRC0)
	v_mov_b32_e32 v50, v0
	s_set_gpr_idx_off
	v_lshlrev_b32_e32 v50, 2, v50
	ds_read_b32 v50, v50
	ds_read_b64 v[72:73], v19 offset:1024
	v_mov_b32_e32 v87, s51
	s_addk_i32 s2, 0xfc00
	s_waitcnt lgkmcnt(1)
	v_add_u32_e32 v50, v71, v50
	v_lshlrev_b64 v[74:75], 3, v[50:51]
	v_add_co_u32_e64 v74, s[0:1], s50, v74
	v_addc_co_u32_e64 v75, s[0:1], v87, v75, s[0:1]
	s_waitcnt lgkmcnt(0)
	global_store_dwordx2 v[74:75], v[72:73], off
	s_set_gpr_idx_on s3, gpr_idx(SRC0)
	v_mov_b32_e32 v50, v0
	s_set_gpr_idx_off
	v_lshlrev_b32_e32 v50, 2, v50
	ds_read_b32 v50, v50
	ds_read_b64 v[72:73], v70 offset:4096
	s_add_i32 s3, s3, 2
	s_cmpk_lg_i32 s2, 0xe000
	s_waitcnt lgkmcnt(1)
	v_add3_u32 v50, v71, v50, s4
	v_lshlrev_b64 v[74:75], 3, v[50:51]
	v_add_co_u32_e64 v74, s[0:1], s50, v74
	v_add_u32_e32 v71, 0x400, v71
	v_addc_co_u32_e64 v75, s[0:1], v87, v75, s[0:1]
	s_waitcnt lgkmcnt(0)
	global_store_dwordx2 v[74:75], v[72:73], off
	s_barrier
	s_cbranch_scc1 .LBB179_196
; %bb.197:
	s_add_i32 s14, s14, -1
	s_cmp_eq_u32 s14, s33
	s_cselect_b64 s[0:1], -1, 0
	s_and_b64 s[2:3], vcc, s[0:1]
                                        ; implicit-def: $vgpr2
	s_and_saveexec_b64 s[0:1], s[2:3]
; %bb.198:
	v_add_u32_e32 v2, v52, v55
	s_or_b64 s[8:9], s[8:9], exec
; %bb.199:
	s_or_b64 exec, exec, s[0:1]
.LBB179_200:
	s_and_saveexec_b64 s[0:1], s[8:9]
	s_cbranch_execnz .LBB179_202
; %bb.201:
	s_endpgm
.LBB179_202:
	v_lshlrev_b32_e32 v0, 2, v18
	ds_read_b32 v1, v0
	s_waitcnt lgkmcnt(0)
	v_add_u32_e32 v1, v1, v2
	global_store_dword v0, v1, s[54:55]
	s_endpgm
	.section	.rodata,"a",@progbits
	.p2align	6, 0x0
	.amdhsa_kernel _ZN7rocprim17ROCPRIM_400000_NS6detail17trampoline_kernelINS0_14default_configENS1_35radix_sort_onesweep_config_selectorIjN6thrust23THRUST_200600_302600_NS5tupleIffNS6_9null_typeES8_S8_S8_S8_S8_S8_S8_EEEEZZNS1_29radix_sort_onesweep_iterationIS3_Lb0ENS6_6detail15normal_iteratorINS6_10device_ptrIjEEEESG_NSD_INSE_IS9_EEEESI_jNS0_19identity_decomposerENS1_16block_id_wrapperIjLb1EEEEE10hipError_tT1_PNSt15iterator_traitsISN_E10value_typeET2_T3_PNSO_IST_E10value_typeET4_T5_PSY_SZ_PNS1_23onesweep_lookback_stateEbbT6_jjT7_P12ihipStream_tbENKUlT_T0_SN_SS_E_clISG_SG_SI_SI_EEDaS16_S17_SN_SS_EUlS16_E_NS1_11comp_targetILNS1_3genE4ELNS1_11target_archE910ELNS1_3gpuE8ELNS1_3repE0EEENS1_47radix_sort_onesweep_sort_config_static_selectorELNS0_4arch9wavefront6targetE1EEEvSN_
		.amdhsa_group_segment_fixed_size 10280
		.amdhsa_private_segment_fixed_size 0
		.amdhsa_kernarg_size 344
		.amdhsa_user_sgpr_count 6
		.amdhsa_user_sgpr_private_segment_buffer 1
		.amdhsa_user_sgpr_dispatch_ptr 0
		.amdhsa_user_sgpr_queue_ptr 0
		.amdhsa_user_sgpr_kernarg_segment_ptr 1
		.amdhsa_user_sgpr_dispatch_id 0
		.amdhsa_user_sgpr_flat_scratch_init 0
		.amdhsa_user_sgpr_kernarg_preload_length 0
		.amdhsa_user_sgpr_kernarg_preload_offset 0
		.amdhsa_user_sgpr_private_segment_size 0
		.amdhsa_uses_dynamic_stack 0
		.amdhsa_system_sgpr_private_segment_wavefront_offset 0
		.amdhsa_system_sgpr_workgroup_id_x 1
		.amdhsa_system_sgpr_workgroup_id_y 0
		.amdhsa_system_sgpr_workgroup_id_z 0
		.amdhsa_system_sgpr_workgroup_info 0
		.amdhsa_system_vgpr_workitem_id 2
		.amdhsa_next_free_vgpr 88
		.amdhsa_next_free_sgpr 72
		.amdhsa_accum_offset 88
		.amdhsa_reserve_vcc 1
		.amdhsa_reserve_flat_scratch 0
		.amdhsa_float_round_mode_32 0
		.amdhsa_float_round_mode_16_64 0
		.amdhsa_float_denorm_mode_32 3
		.amdhsa_float_denorm_mode_16_64 3
		.amdhsa_dx10_clamp 1
		.amdhsa_ieee_mode 1
		.amdhsa_fp16_overflow 0
		.amdhsa_tg_split 0
		.amdhsa_exception_fp_ieee_invalid_op 0
		.amdhsa_exception_fp_denorm_src 0
		.amdhsa_exception_fp_ieee_div_zero 0
		.amdhsa_exception_fp_ieee_overflow 0
		.amdhsa_exception_fp_ieee_underflow 0
		.amdhsa_exception_fp_ieee_inexact 0
		.amdhsa_exception_int_div_zero 0
	.end_amdhsa_kernel
	.section	.text._ZN7rocprim17ROCPRIM_400000_NS6detail17trampoline_kernelINS0_14default_configENS1_35radix_sort_onesweep_config_selectorIjN6thrust23THRUST_200600_302600_NS5tupleIffNS6_9null_typeES8_S8_S8_S8_S8_S8_S8_EEEEZZNS1_29radix_sort_onesweep_iterationIS3_Lb0ENS6_6detail15normal_iteratorINS6_10device_ptrIjEEEESG_NSD_INSE_IS9_EEEESI_jNS0_19identity_decomposerENS1_16block_id_wrapperIjLb1EEEEE10hipError_tT1_PNSt15iterator_traitsISN_E10value_typeET2_T3_PNSO_IST_E10value_typeET4_T5_PSY_SZ_PNS1_23onesweep_lookback_stateEbbT6_jjT7_P12ihipStream_tbENKUlT_T0_SN_SS_E_clISG_SG_SI_SI_EEDaS16_S17_SN_SS_EUlS16_E_NS1_11comp_targetILNS1_3genE4ELNS1_11target_archE910ELNS1_3gpuE8ELNS1_3repE0EEENS1_47radix_sort_onesweep_sort_config_static_selectorELNS0_4arch9wavefront6targetE1EEEvSN_,"axG",@progbits,_ZN7rocprim17ROCPRIM_400000_NS6detail17trampoline_kernelINS0_14default_configENS1_35radix_sort_onesweep_config_selectorIjN6thrust23THRUST_200600_302600_NS5tupleIffNS6_9null_typeES8_S8_S8_S8_S8_S8_S8_EEEEZZNS1_29radix_sort_onesweep_iterationIS3_Lb0ENS6_6detail15normal_iteratorINS6_10device_ptrIjEEEESG_NSD_INSE_IS9_EEEESI_jNS0_19identity_decomposerENS1_16block_id_wrapperIjLb1EEEEE10hipError_tT1_PNSt15iterator_traitsISN_E10value_typeET2_T3_PNSO_IST_E10value_typeET4_T5_PSY_SZ_PNS1_23onesweep_lookback_stateEbbT6_jjT7_P12ihipStream_tbENKUlT_T0_SN_SS_E_clISG_SG_SI_SI_EEDaS16_S17_SN_SS_EUlS16_E_NS1_11comp_targetILNS1_3genE4ELNS1_11target_archE910ELNS1_3gpuE8ELNS1_3repE0EEENS1_47radix_sort_onesweep_sort_config_static_selectorELNS0_4arch9wavefront6targetE1EEEvSN_,comdat
.Lfunc_end179:
	.size	_ZN7rocprim17ROCPRIM_400000_NS6detail17trampoline_kernelINS0_14default_configENS1_35radix_sort_onesweep_config_selectorIjN6thrust23THRUST_200600_302600_NS5tupleIffNS6_9null_typeES8_S8_S8_S8_S8_S8_S8_EEEEZZNS1_29radix_sort_onesweep_iterationIS3_Lb0ENS6_6detail15normal_iteratorINS6_10device_ptrIjEEEESG_NSD_INSE_IS9_EEEESI_jNS0_19identity_decomposerENS1_16block_id_wrapperIjLb1EEEEE10hipError_tT1_PNSt15iterator_traitsISN_E10value_typeET2_T3_PNSO_IST_E10value_typeET4_T5_PSY_SZ_PNS1_23onesweep_lookback_stateEbbT6_jjT7_P12ihipStream_tbENKUlT_T0_SN_SS_E_clISG_SG_SI_SI_EEDaS16_S17_SN_SS_EUlS16_E_NS1_11comp_targetILNS1_3genE4ELNS1_11target_archE910ELNS1_3gpuE8ELNS1_3repE0EEENS1_47radix_sort_onesweep_sort_config_static_selectorELNS0_4arch9wavefront6targetE1EEEvSN_, .Lfunc_end179-_ZN7rocprim17ROCPRIM_400000_NS6detail17trampoline_kernelINS0_14default_configENS1_35radix_sort_onesweep_config_selectorIjN6thrust23THRUST_200600_302600_NS5tupleIffNS6_9null_typeES8_S8_S8_S8_S8_S8_S8_EEEEZZNS1_29radix_sort_onesweep_iterationIS3_Lb0ENS6_6detail15normal_iteratorINS6_10device_ptrIjEEEESG_NSD_INSE_IS9_EEEESI_jNS0_19identity_decomposerENS1_16block_id_wrapperIjLb1EEEEE10hipError_tT1_PNSt15iterator_traitsISN_E10value_typeET2_T3_PNSO_IST_E10value_typeET4_T5_PSY_SZ_PNS1_23onesweep_lookback_stateEbbT6_jjT7_P12ihipStream_tbENKUlT_T0_SN_SS_E_clISG_SG_SI_SI_EEDaS16_S17_SN_SS_EUlS16_E_NS1_11comp_targetILNS1_3genE4ELNS1_11target_archE910ELNS1_3gpuE8ELNS1_3repE0EEENS1_47radix_sort_onesweep_sort_config_static_selectorELNS0_4arch9wavefront6targetE1EEEvSN_
                                        ; -- End function
	.section	.AMDGPU.csdata,"",@progbits
; Kernel info:
; codeLenInByte = 20408
; NumSgprs: 76
; NumVgprs: 88
; NumAgprs: 0
; TotalNumVgprs: 88
; ScratchSize: 0
; MemoryBound: 0
; FloatMode: 240
; IeeeMode: 1
; LDSByteSize: 10280 bytes/workgroup (compile time only)
; SGPRBlocks: 9
; VGPRBlocks: 10
; NumSGPRsForWavesPerEU: 76
; NumVGPRsForWavesPerEU: 88
; AccumOffset: 88
; Occupancy: 5
; WaveLimiterHint : 1
; COMPUTE_PGM_RSRC2:SCRATCH_EN: 0
; COMPUTE_PGM_RSRC2:USER_SGPR: 6
; COMPUTE_PGM_RSRC2:TRAP_HANDLER: 0
; COMPUTE_PGM_RSRC2:TGID_X_EN: 1
; COMPUTE_PGM_RSRC2:TGID_Y_EN: 0
; COMPUTE_PGM_RSRC2:TGID_Z_EN: 0
; COMPUTE_PGM_RSRC2:TIDIG_COMP_CNT: 2
; COMPUTE_PGM_RSRC3_GFX90A:ACCUM_OFFSET: 21
; COMPUTE_PGM_RSRC3_GFX90A:TG_SPLIT: 0
	.section	.text._ZN7rocprim17ROCPRIM_400000_NS6detail17trampoline_kernelINS0_14default_configENS1_35radix_sort_onesweep_config_selectorIjN6thrust23THRUST_200600_302600_NS5tupleIffNS6_9null_typeES8_S8_S8_S8_S8_S8_S8_EEEEZZNS1_29radix_sort_onesweep_iterationIS3_Lb0ENS6_6detail15normal_iteratorINS6_10device_ptrIjEEEESG_NSD_INSE_IS9_EEEESI_jNS0_19identity_decomposerENS1_16block_id_wrapperIjLb1EEEEE10hipError_tT1_PNSt15iterator_traitsISN_E10value_typeET2_T3_PNSO_IST_E10value_typeET4_T5_PSY_SZ_PNS1_23onesweep_lookback_stateEbbT6_jjT7_P12ihipStream_tbENKUlT_T0_SN_SS_E_clISG_SG_SI_SI_EEDaS16_S17_SN_SS_EUlS16_E_NS1_11comp_targetILNS1_3genE3ELNS1_11target_archE908ELNS1_3gpuE7ELNS1_3repE0EEENS1_47radix_sort_onesweep_sort_config_static_selectorELNS0_4arch9wavefront6targetE1EEEvSN_,"axG",@progbits,_ZN7rocprim17ROCPRIM_400000_NS6detail17trampoline_kernelINS0_14default_configENS1_35radix_sort_onesweep_config_selectorIjN6thrust23THRUST_200600_302600_NS5tupleIffNS6_9null_typeES8_S8_S8_S8_S8_S8_S8_EEEEZZNS1_29radix_sort_onesweep_iterationIS3_Lb0ENS6_6detail15normal_iteratorINS6_10device_ptrIjEEEESG_NSD_INSE_IS9_EEEESI_jNS0_19identity_decomposerENS1_16block_id_wrapperIjLb1EEEEE10hipError_tT1_PNSt15iterator_traitsISN_E10value_typeET2_T3_PNSO_IST_E10value_typeET4_T5_PSY_SZ_PNS1_23onesweep_lookback_stateEbbT6_jjT7_P12ihipStream_tbENKUlT_T0_SN_SS_E_clISG_SG_SI_SI_EEDaS16_S17_SN_SS_EUlS16_E_NS1_11comp_targetILNS1_3genE3ELNS1_11target_archE908ELNS1_3gpuE7ELNS1_3repE0EEENS1_47radix_sort_onesweep_sort_config_static_selectorELNS0_4arch9wavefront6targetE1EEEvSN_,comdat
	.protected	_ZN7rocprim17ROCPRIM_400000_NS6detail17trampoline_kernelINS0_14default_configENS1_35radix_sort_onesweep_config_selectorIjN6thrust23THRUST_200600_302600_NS5tupleIffNS6_9null_typeES8_S8_S8_S8_S8_S8_S8_EEEEZZNS1_29radix_sort_onesweep_iterationIS3_Lb0ENS6_6detail15normal_iteratorINS6_10device_ptrIjEEEESG_NSD_INSE_IS9_EEEESI_jNS0_19identity_decomposerENS1_16block_id_wrapperIjLb1EEEEE10hipError_tT1_PNSt15iterator_traitsISN_E10value_typeET2_T3_PNSO_IST_E10value_typeET4_T5_PSY_SZ_PNS1_23onesweep_lookback_stateEbbT6_jjT7_P12ihipStream_tbENKUlT_T0_SN_SS_E_clISG_SG_SI_SI_EEDaS16_S17_SN_SS_EUlS16_E_NS1_11comp_targetILNS1_3genE3ELNS1_11target_archE908ELNS1_3gpuE7ELNS1_3repE0EEENS1_47radix_sort_onesweep_sort_config_static_selectorELNS0_4arch9wavefront6targetE1EEEvSN_ ; -- Begin function _ZN7rocprim17ROCPRIM_400000_NS6detail17trampoline_kernelINS0_14default_configENS1_35radix_sort_onesweep_config_selectorIjN6thrust23THRUST_200600_302600_NS5tupleIffNS6_9null_typeES8_S8_S8_S8_S8_S8_S8_EEEEZZNS1_29radix_sort_onesweep_iterationIS3_Lb0ENS6_6detail15normal_iteratorINS6_10device_ptrIjEEEESG_NSD_INSE_IS9_EEEESI_jNS0_19identity_decomposerENS1_16block_id_wrapperIjLb1EEEEE10hipError_tT1_PNSt15iterator_traitsISN_E10value_typeET2_T3_PNSO_IST_E10value_typeET4_T5_PSY_SZ_PNS1_23onesweep_lookback_stateEbbT6_jjT7_P12ihipStream_tbENKUlT_T0_SN_SS_E_clISG_SG_SI_SI_EEDaS16_S17_SN_SS_EUlS16_E_NS1_11comp_targetILNS1_3genE3ELNS1_11target_archE908ELNS1_3gpuE7ELNS1_3repE0EEENS1_47radix_sort_onesweep_sort_config_static_selectorELNS0_4arch9wavefront6targetE1EEEvSN_
	.globl	_ZN7rocprim17ROCPRIM_400000_NS6detail17trampoline_kernelINS0_14default_configENS1_35radix_sort_onesweep_config_selectorIjN6thrust23THRUST_200600_302600_NS5tupleIffNS6_9null_typeES8_S8_S8_S8_S8_S8_S8_EEEEZZNS1_29radix_sort_onesweep_iterationIS3_Lb0ENS6_6detail15normal_iteratorINS6_10device_ptrIjEEEESG_NSD_INSE_IS9_EEEESI_jNS0_19identity_decomposerENS1_16block_id_wrapperIjLb1EEEEE10hipError_tT1_PNSt15iterator_traitsISN_E10value_typeET2_T3_PNSO_IST_E10value_typeET4_T5_PSY_SZ_PNS1_23onesweep_lookback_stateEbbT6_jjT7_P12ihipStream_tbENKUlT_T0_SN_SS_E_clISG_SG_SI_SI_EEDaS16_S17_SN_SS_EUlS16_E_NS1_11comp_targetILNS1_3genE3ELNS1_11target_archE908ELNS1_3gpuE7ELNS1_3repE0EEENS1_47radix_sort_onesweep_sort_config_static_selectorELNS0_4arch9wavefront6targetE1EEEvSN_
	.p2align	8
	.type	_ZN7rocprim17ROCPRIM_400000_NS6detail17trampoline_kernelINS0_14default_configENS1_35radix_sort_onesweep_config_selectorIjN6thrust23THRUST_200600_302600_NS5tupleIffNS6_9null_typeES8_S8_S8_S8_S8_S8_S8_EEEEZZNS1_29radix_sort_onesweep_iterationIS3_Lb0ENS6_6detail15normal_iteratorINS6_10device_ptrIjEEEESG_NSD_INSE_IS9_EEEESI_jNS0_19identity_decomposerENS1_16block_id_wrapperIjLb1EEEEE10hipError_tT1_PNSt15iterator_traitsISN_E10value_typeET2_T3_PNSO_IST_E10value_typeET4_T5_PSY_SZ_PNS1_23onesweep_lookback_stateEbbT6_jjT7_P12ihipStream_tbENKUlT_T0_SN_SS_E_clISG_SG_SI_SI_EEDaS16_S17_SN_SS_EUlS16_E_NS1_11comp_targetILNS1_3genE3ELNS1_11target_archE908ELNS1_3gpuE7ELNS1_3repE0EEENS1_47radix_sort_onesweep_sort_config_static_selectorELNS0_4arch9wavefront6targetE1EEEvSN_,@function
_ZN7rocprim17ROCPRIM_400000_NS6detail17trampoline_kernelINS0_14default_configENS1_35radix_sort_onesweep_config_selectorIjN6thrust23THRUST_200600_302600_NS5tupleIffNS6_9null_typeES8_S8_S8_S8_S8_S8_S8_EEEEZZNS1_29radix_sort_onesweep_iterationIS3_Lb0ENS6_6detail15normal_iteratorINS6_10device_ptrIjEEEESG_NSD_INSE_IS9_EEEESI_jNS0_19identity_decomposerENS1_16block_id_wrapperIjLb1EEEEE10hipError_tT1_PNSt15iterator_traitsISN_E10value_typeET2_T3_PNSO_IST_E10value_typeET4_T5_PSY_SZ_PNS1_23onesweep_lookback_stateEbbT6_jjT7_P12ihipStream_tbENKUlT_T0_SN_SS_E_clISG_SG_SI_SI_EEDaS16_S17_SN_SS_EUlS16_E_NS1_11comp_targetILNS1_3genE3ELNS1_11target_archE908ELNS1_3gpuE7ELNS1_3repE0EEENS1_47radix_sort_onesweep_sort_config_static_selectorELNS0_4arch9wavefront6targetE1EEEvSN_: ; @_ZN7rocprim17ROCPRIM_400000_NS6detail17trampoline_kernelINS0_14default_configENS1_35radix_sort_onesweep_config_selectorIjN6thrust23THRUST_200600_302600_NS5tupleIffNS6_9null_typeES8_S8_S8_S8_S8_S8_S8_EEEEZZNS1_29radix_sort_onesweep_iterationIS3_Lb0ENS6_6detail15normal_iteratorINS6_10device_ptrIjEEEESG_NSD_INSE_IS9_EEEESI_jNS0_19identity_decomposerENS1_16block_id_wrapperIjLb1EEEEE10hipError_tT1_PNSt15iterator_traitsISN_E10value_typeET2_T3_PNSO_IST_E10value_typeET4_T5_PSY_SZ_PNS1_23onesweep_lookback_stateEbbT6_jjT7_P12ihipStream_tbENKUlT_T0_SN_SS_E_clISG_SG_SI_SI_EEDaS16_S17_SN_SS_EUlS16_E_NS1_11comp_targetILNS1_3genE3ELNS1_11target_archE908ELNS1_3gpuE7ELNS1_3repE0EEENS1_47radix_sort_onesweep_sort_config_static_selectorELNS0_4arch9wavefront6targetE1EEEvSN_
; %bb.0:
	.section	.rodata,"a",@progbits
	.p2align	6, 0x0
	.amdhsa_kernel _ZN7rocprim17ROCPRIM_400000_NS6detail17trampoline_kernelINS0_14default_configENS1_35radix_sort_onesweep_config_selectorIjN6thrust23THRUST_200600_302600_NS5tupleIffNS6_9null_typeES8_S8_S8_S8_S8_S8_S8_EEEEZZNS1_29radix_sort_onesweep_iterationIS3_Lb0ENS6_6detail15normal_iteratorINS6_10device_ptrIjEEEESG_NSD_INSE_IS9_EEEESI_jNS0_19identity_decomposerENS1_16block_id_wrapperIjLb1EEEEE10hipError_tT1_PNSt15iterator_traitsISN_E10value_typeET2_T3_PNSO_IST_E10value_typeET4_T5_PSY_SZ_PNS1_23onesweep_lookback_stateEbbT6_jjT7_P12ihipStream_tbENKUlT_T0_SN_SS_E_clISG_SG_SI_SI_EEDaS16_S17_SN_SS_EUlS16_E_NS1_11comp_targetILNS1_3genE3ELNS1_11target_archE908ELNS1_3gpuE7ELNS1_3repE0EEENS1_47radix_sort_onesweep_sort_config_static_selectorELNS0_4arch9wavefront6targetE1EEEvSN_
		.amdhsa_group_segment_fixed_size 0
		.amdhsa_private_segment_fixed_size 0
		.amdhsa_kernarg_size 88
		.amdhsa_user_sgpr_count 6
		.amdhsa_user_sgpr_private_segment_buffer 1
		.amdhsa_user_sgpr_dispatch_ptr 0
		.amdhsa_user_sgpr_queue_ptr 0
		.amdhsa_user_sgpr_kernarg_segment_ptr 1
		.amdhsa_user_sgpr_dispatch_id 0
		.amdhsa_user_sgpr_flat_scratch_init 0
		.amdhsa_user_sgpr_kernarg_preload_length 0
		.amdhsa_user_sgpr_kernarg_preload_offset 0
		.amdhsa_user_sgpr_private_segment_size 0
		.amdhsa_uses_dynamic_stack 0
		.amdhsa_system_sgpr_private_segment_wavefront_offset 0
		.amdhsa_system_sgpr_workgroup_id_x 1
		.amdhsa_system_sgpr_workgroup_id_y 0
		.amdhsa_system_sgpr_workgroup_id_z 0
		.amdhsa_system_sgpr_workgroup_info 0
		.amdhsa_system_vgpr_workitem_id 0
		.amdhsa_next_free_vgpr 1
		.amdhsa_next_free_sgpr 0
		.amdhsa_accum_offset 4
		.amdhsa_reserve_vcc 0
		.amdhsa_reserve_flat_scratch 0
		.amdhsa_float_round_mode_32 0
		.amdhsa_float_round_mode_16_64 0
		.amdhsa_float_denorm_mode_32 3
		.amdhsa_float_denorm_mode_16_64 3
		.amdhsa_dx10_clamp 1
		.amdhsa_ieee_mode 1
		.amdhsa_fp16_overflow 0
		.amdhsa_tg_split 0
		.amdhsa_exception_fp_ieee_invalid_op 0
		.amdhsa_exception_fp_denorm_src 0
		.amdhsa_exception_fp_ieee_div_zero 0
		.amdhsa_exception_fp_ieee_overflow 0
		.amdhsa_exception_fp_ieee_underflow 0
		.amdhsa_exception_fp_ieee_inexact 0
		.amdhsa_exception_int_div_zero 0
	.end_amdhsa_kernel
	.section	.text._ZN7rocprim17ROCPRIM_400000_NS6detail17trampoline_kernelINS0_14default_configENS1_35radix_sort_onesweep_config_selectorIjN6thrust23THRUST_200600_302600_NS5tupleIffNS6_9null_typeES8_S8_S8_S8_S8_S8_S8_EEEEZZNS1_29radix_sort_onesweep_iterationIS3_Lb0ENS6_6detail15normal_iteratorINS6_10device_ptrIjEEEESG_NSD_INSE_IS9_EEEESI_jNS0_19identity_decomposerENS1_16block_id_wrapperIjLb1EEEEE10hipError_tT1_PNSt15iterator_traitsISN_E10value_typeET2_T3_PNSO_IST_E10value_typeET4_T5_PSY_SZ_PNS1_23onesweep_lookback_stateEbbT6_jjT7_P12ihipStream_tbENKUlT_T0_SN_SS_E_clISG_SG_SI_SI_EEDaS16_S17_SN_SS_EUlS16_E_NS1_11comp_targetILNS1_3genE3ELNS1_11target_archE908ELNS1_3gpuE7ELNS1_3repE0EEENS1_47radix_sort_onesweep_sort_config_static_selectorELNS0_4arch9wavefront6targetE1EEEvSN_,"axG",@progbits,_ZN7rocprim17ROCPRIM_400000_NS6detail17trampoline_kernelINS0_14default_configENS1_35radix_sort_onesweep_config_selectorIjN6thrust23THRUST_200600_302600_NS5tupleIffNS6_9null_typeES8_S8_S8_S8_S8_S8_S8_EEEEZZNS1_29radix_sort_onesweep_iterationIS3_Lb0ENS6_6detail15normal_iteratorINS6_10device_ptrIjEEEESG_NSD_INSE_IS9_EEEESI_jNS0_19identity_decomposerENS1_16block_id_wrapperIjLb1EEEEE10hipError_tT1_PNSt15iterator_traitsISN_E10value_typeET2_T3_PNSO_IST_E10value_typeET4_T5_PSY_SZ_PNS1_23onesweep_lookback_stateEbbT6_jjT7_P12ihipStream_tbENKUlT_T0_SN_SS_E_clISG_SG_SI_SI_EEDaS16_S17_SN_SS_EUlS16_E_NS1_11comp_targetILNS1_3genE3ELNS1_11target_archE908ELNS1_3gpuE7ELNS1_3repE0EEENS1_47radix_sort_onesweep_sort_config_static_selectorELNS0_4arch9wavefront6targetE1EEEvSN_,comdat
.Lfunc_end180:
	.size	_ZN7rocprim17ROCPRIM_400000_NS6detail17trampoline_kernelINS0_14default_configENS1_35radix_sort_onesweep_config_selectorIjN6thrust23THRUST_200600_302600_NS5tupleIffNS6_9null_typeES8_S8_S8_S8_S8_S8_S8_EEEEZZNS1_29radix_sort_onesweep_iterationIS3_Lb0ENS6_6detail15normal_iteratorINS6_10device_ptrIjEEEESG_NSD_INSE_IS9_EEEESI_jNS0_19identity_decomposerENS1_16block_id_wrapperIjLb1EEEEE10hipError_tT1_PNSt15iterator_traitsISN_E10value_typeET2_T3_PNSO_IST_E10value_typeET4_T5_PSY_SZ_PNS1_23onesweep_lookback_stateEbbT6_jjT7_P12ihipStream_tbENKUlT_T0_SN_SS_E_clISG_SG_SI_SI_EEDaS16_S17_SN_SS_EUlS16_E_NS1_11comp_targetILNS1_3genE3ELNS1_11target_archE908ELNS1_3gpuE7ELNS1_3repE0EEENS1_47radix_sort_onesweep_sort_config_static_selectorELNS0_4arch9wavefront6targetE1EEEvSN_, .Lfunc_end180-_ZN7rocprim17ROCPRIM_400000_NS6detail17trampoline_kernelINS0_14default_configENS1_35radix_sort_onesweep_config_selectorIjN6thrust23THRUST_200600_302600_NS5tupleIffNS6_9null_typeES8_S8_S8_S8_S8_S8_S8_EEEEZZNS1_29radix_sort_onesweep_iterationIS3_Lb0ENS6_6detail15normal_iteratorINS6_10device_ptrIjEEEESG_NSD_INSE_IS9_EEEESI_jNS0_19identity_decomposerENS1_16block_id_wrapperIjLb1EEEEE10hipError_tT1_PNSt15iterator_traitsISN_E10value_typeET2_T3_PNSO_IST_E10value_typeET4_T5_PSY_SZ_PNS1_23onesweep_lookback_stateEbbT6_jjT7_P12ihipStream_tbENKUlT_T0_SN_SS_E_clISG_SG_SI_SI_EEDaS16_S17_SN_SS_EUlS16_E_NS1_11comp_targetILNS1_3genE3ELNS1_11target_archE908ELNS1_3gpuE7ELNS1_3repE0EEENS1_47radix_sort_onesweep_sort_config_static_selectorELNS0_4arch9wavefront6targetE1EEEvSN_
                                        ; -- End function
	.section	.AMDGPU.csdata,"",@progbits
; Kernel info:
; codeLenInByte = 0
; NumSgprs: 4
; NumVgprs: 0
; NumAgprs: 0
; TotalNumVgprs: 0
; ScratchSize: 0
; MemoryBound: 0
; FloatMode: 240
; IeeeMode: 1
; LDSByteSize: 0 bytes/workgroup (compile time only)
; SGPRBlocks: 0
; VGPRBlocks: 0
; NumSGPRsForWavesPerEU: 4
; NumVGPRsForWavesPerEU: 1
; AccumOffset: 4
; Occupancy: 8
; WaveLimiterHint : 0
; COMPUTE_PGM_RSRC2:SCRATCH_EN: 0
; COMPUTE_PGM_RSRC2:USER_SGPR: 6
; COMPUTE_PGM_RSRC2:TRAP_HANDLER: 0
; COMPUTE_PGM_RSRC2:TGID_X_EN: 1
; COMPUTE_PGM_RSRC2:TGID_Y_EN: 0
; COMPUTE_PGM_RSRC2:TGID_Z_EN: 0
; COMPUTE_PGM_RSRC2:TIDIG_COMP_CNT: 0
; COMPUTE_PGM_RSRC3_GFX90A:ACCUM_OFFSET: 0
; COMPUTE_PGM_RSRC3_GFX90A:TG_SPLIT: 0
	.section	.text._ZN7rocprim17ROCPRIM_400000_NS6detail17trampoline_kernelINS0_14default_configENS1_35radix_sort_onesweep_config_selectorIjN6thrust23THRUST_200600_302600_NS5tupleIffNS6_9null_typeES8_S8_S8_S8_S8_S8_S8_EEEEZZNS1_29radix_sort_onesweep_iterationIS3_Lb0ENS6_6detail15normal_iteratorINS6_10device_ptrIjEEEESG_NSD_INSE_IS9_EEEESI_jNS0_19identity_decomposerENS1_16block_id_wrapperIjLb1EEEEE10hipError_tT1_PNSt15iterator_traitsISN_E10value_typeET2_T3_PNSO_IST_E10value_typeET4_T5_PSY_SZ_PNS1_23onesweep_lookback_stateEbbT6_jjT7_P12ihipStream_tbENKUlT_T0_SN_SS_E_clISG_SG_SI_SI_EEDaS16_S17_SN_SS_EUlS16_E_NS1_11comp_targetILNS1_3genE10ELNS1_11target_archE1201ELNS1_3gpuE5ELNS1_3repE0EEENS1_47radix_sort_onesweep_sort_config_static_selectorELNS0_4arch9wavefront6targetE1EEEvSN_,"axG",@progbits,_ZN7rocprim17ROCPRIM_400000_NS6detail17trampoline_kernelINS0_14default_configENS1_35radix_sort_onesweep_config_selectorIjN6thrust23THRUST_200600_302600_NS5tupleIffNS6_9null_typeES8_S8_S8_S8_S8_S8_S8_EEEEZZNS1_29radix_sort_onesweep_iterationIS3_Lb0ENS6_6detail15normal_iteratorINS6_10device_ptrIjEEEESG_NSD_INSE_IS9_EEEESI_jNS0_19identity_decomposerENS1_16block_id_wrapperIjLb1EEEEE10hipError_tT1_PNSt15iterator_traitsISN_E10value_typeET2_T3_PNSO_IST_E10value_typeET4_T5_PSY_SZ_PNS1_23onesweep_lookback_stateEbbT6_jjT7_P12ihipStream_tbENKUlT_T0_SN_SS_E_clISG_SG_SI_SI_EEDaS16_S17_SN_SS_EUlS16_E_NS1_11comp_targetILNS1_3genE10ELNS1_11target_archE1201ELNS1_3gpuE5ELNS1_3repE0EEENS1_47radix_sort_onesweep_sort_config_static_selectorELNS0_4arch9wavefront6targetE1EEEvSN_,comdat
	.protected	_ZN7rocprim17ROCPRIM_400000_NS6detail17trampoline_kernelINS0_14default_configENS1_35radix_sort_onesweep_config_selectorIjN6thrust23THRUST_200600_302600_NS5tupleIffNS6_9null_typeES8_S8_S8_S8_S8_S8_S8_EEEEZZNS1_29radix_sort_onesweep_iterationIS3_Lb0ENS6_6detail15normal_iteratorINS6_10device_ptrIjEEEESG_NSD_INSE_IS9_EEEESI_jNS0_19identity_decomposerENS1_16block_id_wrapperIjLb1EEEEE10hipError_tT1_PNSt15iterator_traitsISN_E10value_typeET2_T3_PNSO_IST_E10value_typeET4_T5_PSY_SZ_PNS1_23onesweep_lookback_stateEbbT6_jjT7_P12ihipStream_tbENKUlT_T0_SN_SS_E_clISG_SG_SI_SI_EEDaS16_S17_SN_SS_EUlS16_E_NS1_11comp_targetILNS1_3genE10ELNS1_11target_archE1201ELNS1_3gpuE5ELNS1_3repE0EEENS1_47radix_sort_onesweep_sort_config_static_selectorELNS0_4arch9wavefront6targetE1EEEvSN_ ; -- Begin function _ZN7rocprim17ROCPRIM_400000_NS6detail17trampoline_kernelINS0_14default_configENS1_35radix_sort_onesweep_config_selectorIjN6thrust23THRUST_200600_302600_NS5tupleIffNS6_9null_typeES8_S8_S8_S8_S8_S8_S8_EEEEZZNS1_29radix_sort_onesweep_iterationIS3_Lb0ENS6_6detail15normal_iteratorINS6_10device_ptrIjEEEESG_NSD_INSE_IS9_EEEESI_jNS0_19identity_decomposerENS1_16block_id_wrapperIjLb1EEEEE10hipError_tT1_PNSt15iterator_traitsISN_E10value_typeET2_T3_PNSO_IST_E10value_typeET4_T5_PSY_SZ_PNS1_23onesweep_lookback_stateEbbT6_jjT7_P12ihipStream_tbENKUlT_T0_SN_SS_E_clISG_SG_SI_SI_EEDaS16_S17_SN_SS_EUlS16_E_NS1_11comp_targetILNS1_3genE10ELNS1_11target_archE1201ELNS1_3gpuE5ELNS1_3repE0EEENS1_47radix_sort_onesweep_sort_config_static_selectorELNS0_4arch9wavefront6targetE1EEEvSN_
	.globl	_ZN7rocprim17ROCPRIM_400000_NS6detail17trampoline_kernelINS0_14default_configENS1_35radix_sort_onesweep_config_selectorIjN6thrust23THRUST_200600_302600_NS5tupleIffNS6_9null_typeES8_S8_S8_S8_S8_S8_S8_EEEEZZNS1_29radix_sort_onesweep_iterationIS3_Lb0ENS6_6detail15normal_iteratorINS6_10device_ptrIjEEEESG_NSD_INSE_IS9_EEEESI_jNS0_19identity_decomposerENS1_16block_id_wrapperIjLb1EEEEE10hipError_tT1_PNSt15iterator_traitsISN_E10value_typeET2_T3_PNSO_IST_E10value_typeET4_T5_PSY_SZ_PNS1_23onesweep_lookback_stateEbbT6_jjT7_P12ihipStream_tbENKUlT_T0_SN_SS_E_clISG_SG_SI_SI_EEDaS16_S17_SN_SS_EUlS16_E_NS1_11comp_targetILNS1_3genE10ELNS1_11target_archE1201ELNS1_3gpuE5ELNS1_3repE0EEENS1_47radix_sort_onesweep_sort_config_static_selectorELNS0_4arch9wavefront6targetE1EEEvSN_
	.p2align	8
	.type	_ZN7rocprim17ROCPRIM_400000_NS6detail17trampoline_kernelINS0_14default_configENS1_35radix_sort_onesweep_config_selectorIjN6thrust23THRUST_200600_302600_NS5tupleIffNS6_9null_typeES8_S8_S8_S8_S8_S8_S8_EEEEZZNS1_29radix_sort_onesweep_iterationIS3_Lb0ENS6_6detail15normal_iteratorINS6_10device_ptrIjEEEESG_NSD_INSE_IS9_EEEESI_jNS0_19identity_decomposerENS1_16block_id_wrapperIjLb1EEEEE10hipError_tT1_PNSt15iterator_traitsISN_E10value_typeET2_T3_PNSO_IST_E10value_typeET4_T5_PSY_SZ_PNS1_23onesweep_lookback_stateEbbT6_jjT7_P12ihipStream_tbENKUlT_T0_SN_SS_E_clISG_SG_SI_SI_EEDaS16_S17_SN_SS_EUlS16_E_NS1_11comp_targetILNS1_3genE10ELNS1_11target_archE1201ELNS1_3gpuE5ELNS1_3repE0EEENS1_47radix_sort_onesweep_sort_config_static_selectorELNS0_4arch9wavefront6targetE1EEEvSN_,@function
_ZN7rocprim17ROCPRIM_400000_NS6detail17trampoline_kernelINS0_14default_configENS1_35radix_sort_onesweep_config_selectorIjN6thrust23THRUST_200600_302600_NS5tupleIffNS6_9null_typeES8_S8_S8_S8_S8_S8_S8_EEEEZZNS1_29radix_sort_onesweep_iterationIS3_Lb0ENS6_6detail15normal_iteratorINS6_10device_ptrIjEEEESG_NSD_INSE_IS9_EEEESI_jNS0_19identity_decomposerENS1_16block_id_wrapperIjLb1EEEEE10hipError_tT1_PNSt15iterator_traitsISN_E10value_typeET2_T3_PNSO_IST_E10value_typeET4_T5_PSY_SZ_PNS1_23onesweep_lookback_stateEbbT6_jjT7_P12ihipStream_tbENKUlT_T0_SN_SS_E_clISG_SG_SI_SI_EEDaS16_S17_SN_SS_EUlS16_E_NS1_11comp_targetILNS1_3genE10ELNS1_11target_archE1201ELNS1_3gpuE5ELNS1_3repE0EEENS1_47radix_sort_onesweep_sort_config_static_selectorELNS0_4arch9wavefront6targetE1EEEvSN_: ; @_ZN7rocprim17ROCPRIM_400000_NS6detail17trampoline_kernelINS0_14default_configENS1_35radix_sort_onesweep_config_selectorIjN6thrust23THRUST_200600_302600_NS5tupleIffNS6_9null_typeES8_S8_S8_S8_S8_S8_S8_EEEEZZNS1_29radix_sort_onesweep_iterationIS3_Lb0ENS6_6detail15normal_iteratorINS6_10device_ptrIjEEEESG_NSD_INSE_IS9_EEEESI_jNS0_19identity_decomposerENS1_16block_id_wrapperIjLb1EEEEE10hipError_tT1_PNSt15iterator_traitsISN_E10value_typeET2_T3_PNSO_IST_E10value_typeET4_T5_PSY_SZ_PNS1_23onesweep_lookback_stateEbbT6_jjT7_P12ihipStream_tbENKUlT_T0_SN_SS_E_clISG_SG_SI_SI_EEDaS16_S17_SN_SS_EUlS16_E_NS1_11comp_targetILNS1_3genE10ELNS1_11target_archE1201ELNS1_3gpuE5ELNS1_3repE0EEENS1_47radix_sort_onesweep_sort_config_static_selectorELNS0_4arch9wavefront6targetE1EEEvSN_
; %bb.0:
	.section	.rodata,"a",@progbits
	.p2align	6, 0x0
	.amdhsa_kernel _ZN7rocprim17ROCPRIM_400000_NS6detail17trampoline_kernelINS0_14default_configENS1_35radix_sort_onesweep_config_selectorIjN6thrust23THRUST_200600_302600_NS5tupleIffNS6_9null_typeES8_S8_S8_S8_S8_S8_S8_EEEEZZNS1_29radix_sort_onesweep_iterationIS3_Lb0ENS6_6detail15normal_iteratorINS6_10device_ptrIjEEEESG_NSD_INSE_IS9_EEEESI_jNS0_19identity_decomposerENS1_16block_id_wrapperIjLb1EEEEE10hipError_tT1_PNSt15iterator_traitsISN_E10value_typeET2_T3_PNSO_IST_E10value_typeET4_T5_PSY_SZ_PNS1_23onesweep_lookback_stateEbbT6_jjT7_P12ihipStream_tbENKUlT_T0_SN_SS_E_clISG_SG_SI_SI_EEDaS16_S17_SN_SS_EUlS16_E_NS1_11comp_targetILNS1_3genE10ELNS1_11target_archE1201ELNS1_3gpuE5ELNS1_3repE0EEENS1_47radix_sort_onesweep_sort_config_static_selectorELNS0_4arch9wavefront6targetE1EEEvSN_
		.amdhsa_group_segment_fixed_size 0
		.amdhsa_private_segment_fixed_size 0
		.amdhsa_kernarg_size 88
		.amdhsa_user_sgpr_count 6
		.amdhsa_user_sgpr_private_segment_buffer 1
		.amdhsa_user_sgpr_dispatch_ptr 0
		.amdhsa_user_sgpr_queue_ptr 0
		.amdhsa_user_sgpr_kernarg_segment_ptr 1
		.amdhsa_user_sgpr_dispatch_id 0
		.amdhsa_user_sgpr_flat_scratch_init 0
		.amdhsa_user_sgpr_kernarg_preload_length 0
		.amdhsa_user_sgpr_kernarg_preload_offset 0
		.amdhsa_user_sgpr_private_segment_size 0
		.amdhsa_uses_dynamic_stack 0
		.amdhsa_system_sgpr_private_segment_wavefront_offset 0
		.amdhsa_system_sgpr_workgroup_id_x 1
		.amdhsa_system_sgpr_workgroup_id_y 0
		.amdhsa_system_sgpr_workgroup_id_z 0
		.amdhsa_system_sgpr_workgroup_info 0
		.amdhsa_system_vgpr_workitem_id 0
		.amdhsa_next_free_vgpr 1
		.amdhsa_next_free_sgpr 0
		.amdhsa_accum_offset 4
		.amdhsa_reserve_vcc 0
		.amdhsa_reserve_flat_scratch 0
		.amdhsa_float_round_mode_32 0
		.amdhsa_float_round_mode_16_64 0
		.amdhsa_float_denorm_mode_32 3
		.amdhsa_float_denorm_mode_16_64 3
		.amdhsa_dx10_clamp 1
		.amdhsa_ieee_mode 1
		.amdhsa_fp16_overflow 0
		.amdhsa_tg_split 0
		.amdhsa_exception_fp_ieee_invalid_op 0
		.amdhsa_exception_fp_denorm_src 0
		.amdhsa_exception_fp_ieee_div_zero 0
		.amdhsa_exception_fp_ieee_overflow 0
		.amdhsa_exception_fp_ieee_underflow 0
		.amdhsa_exception_fp_ieee_inexact 0
		.amdhsa_exception_int_div_zero 0
	.end_amdhsa_kernel
	.section	.text._ZN7rocprim17ROCPRIM_400000_NS6detail17trampoline_kernelINS0_14default_configENS1_35radix_sort_onesweep_config_selectorIjN6thrust23THRUST_200600_302600_NS5tupleIffNS6_9null_typeES8_S8_S8_S8_S8_S8_S8_EEEEZZNS1_29radix_sort_onesweep_iterationIS3_Lb0ENS6_6detail15normal_iteratorINS6_10device_ptrIjEEEESG_NSD_INSE_IS9_EEEESI_jNS0_19identity_decomposerENS1_16block_id_wrapperIjLb1EEEEE10hipError_tT1_PNSt15iterator_traitsISN_E10value_typeET2_T3_PNSO_IST_E10value_typeET4_T5_PSY_SZ_PNS1_23onesweep_lookback_stateEbbT6_jjT7_P12ihipStream_tbENKUlT_T0_SN_SS_E_clISG_SG_SI_SI_EEDaS16_S17_SN_SS_EUlS16_E_NS1_11comp_targetILNS1_3genE10ELNS1_11target_archE1201ELNS1_3gpuE5ELNS1_3repE0EEENS1_47radix_sort_onesweep_sort_config_static_selectorELNS0_4arch9wavefront6targetE1EEEvSN_,"axG",@progbits,_ZN7rocprim17ROCPRIM_400000_NS6detail17trampoline_kernelINS0_14default_configENS1_35radix_sort_onesweep_config_selectorIjN6thrust23THRUST_200600_302600_NS5tupleIffNS6_9null_typeES8_S8_S8_S8_S8_S8_S8_EEEEZZNS1_29radix_sort_onesweep_iterationIS3_Lb0ENS6_6detail15normal_iteratorINS6_10device_ptrIjEEEESG_NSD_INSE_IS9_EEEESI_jNS0_19identity_decomposerENS1_16block_id_wrapperIjLb1EEEEE10hipError_tT1_PNSt15iterator_traitsISN_E10value_typeET2_T3_PNSO_IST_E10value_typeET4_T5_PSY_SZ_PNS1_23onesweep_lookback_stateEbbT6_jjT7_P12ihipStream_tbENKUlT_T0_SN_SS_E_clISG_SG_SI_SI_EEDaS16_S17_SN_SS_EUlS16_E_NS1_11comp_targetILNS1_3genE10ELNS1_11target_archE1201ELNS1_3gpuE5ELNS1_3repE0EEENS1_47radix_sort_onesweep_sort_config_static_selectorELNS0_4arch9wavefront6targetE1EEEvSN_,comdat
.Lfunc_end181:
	.size	_ZN7rocprim17ROCPRIM_400000_NS6detail17trampoline_kernelINS0_14default_configENS1_35radix_sort_onesweep_config_selectorIjN6thrust23THRUST_200600_302600_NS5tupleIffNS6_9null_typeES8_S8_S8_S8_S8_S8_S8_EEEEZZNS1_29radix_sort_onesweep_iterationIS3_Lb0ENS6_6detail15normal_iteratorINS6_10device_ptrIjEEEESG_NSD_INSE_IS9_EEEESI_jNS0_19identity_decomposerENS1_16block_id_wrapperIjLb1EEEEE10hipError_tT1_PNSt15iterator_traitsISN_E10value_typeET2_T3_PNSO_IST_E10value_typeET4_T5_PSY_SZ_PNS1_23onesweep_lookback_stateEbbT6_jjT7_P12ihipStream_tbENKUlT_T0_SN_SS_E_clISG_SG_SI_SI_EEDaS16_S17_SN_SS_EUlS16_E_NS1_11comp_targetILNS1_3genE10ELNS1_11target_archE1201ELNS1_3gpuE5ELNS1_3repE0EEENS1_47radix_sort_onesweep_sort_config_static_selectorELNS0_4arch9wavefront6targetE1EEEvSN_, .Lfunc_end181-_ZN7rocprim17ROCPRIM_400000_NS6detail17trampoline_kernelINS0_14default_configENS1_35radix_sort_onesweep_config_selectorIjN6thrust23THRUST_200600_302600_NS5tupleIffNS6_9null_typeES8_S8_S8_S8_S8_S8_S8_EEEEZZNS1_29radix_sort_onesweep_iterationIS3_Lb0ENS6_6detail15normal_iteratorINS6_10device_ptrIjEEEESG_NSD_INSE_IS9_EEEESI_jNS0_19identity_decomposerENS1_16block_id_wrapperIjLb1EEEEE10hipError_tT1_PNSt15iterator_traitsISN_E10value_typeET2_T3_PNSO_IST_E10value_typeET4_T5_PSY_SZ_PNS1_23onesweep_lookback_stateEbbT6_jjT7_P12ihipStream_tbENKUlT_T0_SN_SS_E_clISG_SG_SI_SI_EEDaS16_S17_SN_SS_EUlS16_E_NS1_11comp_targetILNS1_3genE10ELNS1_11target_archE1201ELNS1_3gpuE5ELNS1_3repE0EEENS1_47radix_sort_onesweep_sort_config_static_selectorELNS0_4arch9wavefront6targetE1EEEvSN_
                                        ; -- End function
	.section	.AMDGPU.csdata,"",@progbits
; Kernel info:
; codeLenInByte = 0
; NumSgprs: 4
; NumVgprs: 0
; NumAgprs: 0
; TotalNumVgprs: 0
; ScratchSize: 0
; MemoryBound: 0
; FloatMode: 240
; IeeeMode: 1
; LDSByteSize: 0 bytes/workgroup (compile time only)
; SGPRBlocks: 0
; VGPRBlocks: 0
; NumSGPRsForWavesPerEU: 4
; NumVGPRsForWavesPerEU: 1
; AccumOffset: 4
; Occupancy: 8
; WaveLimiterHint : 0
; COMPUTE_PGM_RSRC2:SCRATCH_EN: 0
; COMPUTE_PGM_RSRC2:USER_SGPR: 6
; COMPUTE_PGM_RSRC2:TRAP_HANDLER: 0
; COMPUTE_PGM_RSRC2:TGID_X_EN: 1
; COMPUTE_PGM_RSRC2:TGID_Y_EN: 0
; COMPUTE_PGM_RSRC2:TGID_Z_EN: 0
; COMPUTE_PGM_RSRC2:TIDIG_COMP_CNT: 0
; COMPUTE_PGM_RSRC3_GFX90A:ACCUM_OFFSET: 0
; COMPUTE_PGM_RSRC3_GFX90A:TG_SPLIT: 0
	.section	.text._ZN7rocprim17ROCPRIM_400000_NS6detail17trampoline_kernelINS0_14default_configENS1_35radix_sort_onesweep_config_selectorIjN6thrust23THRUST_200600_302600_NS5tupleIffNS6_9null_typeES8_S8_S8_S8_S8_S8_S8_EEEEZZNS1_29radix_sort_onesweep_iterationIS3_Lb0ENS6_6detail15normal_iteratorINS6_10device_ptrIjEEEESG_NSD_INSE_IS9_EEEESI_jNS0_19identity_decomposerENS1_16block_id_wrapperIjLb1EEEEE10hipError_tT1_PNSt15iterator_traitsISN_E10value_typeET2_T3_PNSO_IST_E10value_typeET4_T5_PSY_SZ_PNS1_23onesweep_lookback_stateEbbT6_jjT7_P12ihipStream_tbENKUlT_T0_SN_SS_E_clISG_SG_SI_SI_EEDaS16_S17_SN_SS_EUlS16_E_NS1_11comp_targetILNS1_3genE9ELNS1_11target_archE1100ELNS1_3gpuE3ELNS1_3repE0EEENS1_47radix_sort_onesweep_sort_config_static_selectorELNS0_4arch9wavefront6targetE1EEEvSN_,"axG",@progbits,_ZN7rocprim17ROCPRIM_400000_NS6detail17trampoline_kernelINS0_14default_configENS1_35radix_sort_onesweep_config_selectorIjN6thrust23THRUST_200600_302600_NS5tupleIffNS6_9null_typeES8_S8_S8_S8_S8_S8_S8_EEEEZZNS1_29radix_sort_onesweep_iterationIS3_Lb0ENS6_6detail15normal_iteratorINS6_10device_ptrIjEEEESG_NSD_INSE_IS9_EEEESI_jNS0_19identity_decomposerENS1_16block_id_wrapperIjLb1EEEEE10hipError_tT1_PNSt15iterator_traitsISN_E10value_typeET2_T3_PNSO_IST_E10value_typeET4_T5_PSY_SZ_PNS1_23onesweep_lookback_stateEbbT6_jjT7_P12ihipStream_tbENKUlT_T0_SN_SS_E_clISG_SG_SI_SI_EEDaS16_S17_SN_SS_EUlS16_E_NS1_11comp_targetILNS1_3genE9ELNS1_11target_archE1100ELNS1_3gpuE3ELNS1_3repE0EEENS1_47radix_sort_onesweep_sort_config_static_selectorELNS0_4arch9wavefront6targetE1EEEvSN_,comdat
	.protected	_ZN7rocprim17ROCPRIM_400000_NS6detail17trampoline_kernelINS0_14default_configENS1_35radix_sort_onesweep_config_selectorIjN6thrust23THRUST_200600_302600_NS5tupleIffNS6_9null_typeES8_S8_S8_S8_S8_S8_S8_EEEEZZNS1_29radix_sort_onesweep_iterationIS3_Lb0ENS6_6detail15normal_iteratorINS6_10device_ptrIjEEEESG_NSD_INSE_IS9_EEEESI_jNS0_19identity_decomposerENS1_16block_id_wrapperIjLb1EEEEE10hipError_tT1_PNSt15iterator_traitsISN_E10value_typeET2_T3_PNSO_IST_E10value_typeET4_T5_PSY_SZ_PNS1_23onesweep_lookback_stateEbbT6_jjT7_P12ihipStream_tbENKUlT_T0_SN_SS_E_clISG_SG_SI_SI_EEDaS16_S17_SN_SS_EUlS16_E_NS1_11comp_targetILNS1_3genE9ELNS1_11target_archE1100ELNS1_3gpuE3ELNS1_3repE0EEENS1_47radix_sort_onesweep_sort_config_static_selectorELNS0_4arch9wavefront6targetE1EEEvSN_ ; -- Begin function _ZN7rocprim17ROCPRIM_400000_NS6detail17trampoline_kernelINS0_14default_configENS1_35radix_sort_onesweep_config_selectorIjN6thrust23THRUST_200600_302600_NS5tupleIffNS6_9null_typeES8_S8_S8_S8_S8_S8_S8_EEEEZZNS1_29radix_sort_onesweep_iterationIS3_Lb0ENS6_6detail15normal_iteratorINS6_10device_ptrIjEEEESG_NSD_INSE_IS9_EEEESI_jNS0_19identity_decomposerENS1_16block_id_wrapperIjLb1EEEEE10hipError_tT1_PNSt15iterator_traitsISN_E10value_typeET2_T3_PNSO_IST_E10value_typeET4_T5_PSY_SZ_PNS1_23onesweep_lookback_stateEbbT6_jjT7_P12ihipStream_tbENKUlT_T0_SN_SS_E_clISG_SG_SI_SI_EEDaS16_S17_SN_SS_EUlS16_E_NS1_11comp_targetILNS1_3genE9ELNS1_11target_archE1100ELNS1_3gpuE3ELNS1_3repE0EEENS1_47radix_sort_onesweep_sort_config_static_selectorELNS0_4arch9wavefront6targetE1EEEvSN_
	.globl	_ZN7rocprim17ROCPRIM_400000_NS6detail17trampoline_kernelINS0_14default_configENS1_35radix_sort_onesweep_config_selectorIjN6thrust23THRUST_200600_302600_NS5tupleIffNS6_9null_typeES8_S8_S8_S8_S8_S8_S8_EEEEZZNS1_29radix_sort_onesweep_iterationIS3_Lb0ENS6_6detail15normal_iteratorINS6_10device_ptrIjEEEESG_NSD_INSE_IS9_EEEESI_jNS0_19identity_decomposerENS1_16block_id_wrapperIjLb1EEEEE10hipError_tT1_PNSt15iterator_traitsISN_E10value_typeET2_T3_PNSO_IST_E10value_typeET4_T5_PSY_SZ_PNS1_23onesweep_lookback_stateEbbT6_jjT7_P12ihipStream_tbENKUlT_T0_SN_SS_E_clISG_SG_SI_SI_EEDaS16_S17_SN_SS_EUlS16_E_NS1_11comp_targetILNS1_3genE9ELNS1_11target_archE1100ELNS1_3gpuE3ELNS1_3repE0EEENS1_47radix_sort_onesweep_sort_config_static_selectorELNS0_4arch9wavefront6targetE1EEEvSN_
	.p2align	8
	.type	_ZN7rocprim17ROCPRIM_400000_NS6detail17trampoline_kernelINS0_14default_configENS1_35radix_sort_onesweep_config_selectorIjN6thrust23THRUST_200600_302600_NS5tupleIffNS6_9null_typeES8_S8_S8_S8_S8_S8_S8_EEEEZZNS1_29radix_sort_onesweep_iterationIS3_Lb0ENS6_6detail15normal_iteratorINS6_10device_ptrIjEEEESG_NSD_INSE_IS9_EEEESI_jNS0_19identity_decomposerENS1_16block_id_wrapperIjLb1EEEEE10hipError_tT1_PNSt15iterator_traitsISN_E10value_typeET2_T3_PNSO_IST_E10value_typeET4_T5_PSY_SZ_PNS1_23onesweep_lookback_stateEbbT6_jjT7_P12ihipStream_tbENKUlT_T0_SN_SS_E_clISG_SG_SI_SI_EEDaS16_S17_SN_SS_EUlS16_E_NS1_11comp_targetILNS1_3genE9ELNS1_11target_archE1100ELNS1_3gpuE3ELNS1_3repE0EEENS1_47radix_sort_onesweep_sort_config_static_selectorELNS0_4arch9wavefront6targetE1EEEvSN_,@function
_ZN7rocprim17ROCPRIM_400000_NS6detail17trampoline_kernelINS0_14default_configENS1_35radix_sort_onesweep_config_selectorIjN6thrust23THRUST_200600_302600_NS5tupleIffNS6_9null_typeES8_S8_S8_S8_S8_S8_S8_EEEEZZNS1_29radix_sort_onesweep_iterationIS3_Lb0ENS6_6detail15normal_iteratorINS6_10device_ptrIjEEEESG_NSD_INSE_IS9_EEEESI_jNS0_19identity_decomposerENS1_16block_id_wrapperIjLb1EEEEE10hipError_tT1_PNSt15iterator_traitsISN_E10value_typeET2_T3_PNSO_IST_E10value_typeET4_T5_PSY_SZ_PNS1_23onesweep_lookback_stateEbbT6_jjT7_P12ihipStream_tbENKUlT_T0_SN_SS_E_clISG_SG_SI_SI_EEDaS16_S17_SN_SS_EUlS16_E_NS1_11comp_targetILNS1_3genE9ELNS1_11target_archE1100ELNS1_3gpuE3ELNS1_3repE0EEENS1_47radix_sort_onesweep_sort_config_static_selectorELNS0_4arch9wavefront6targetE1EEEvSN_: ; @_ZN7rocprim17ROCPRIM_400000_NS6detail17trampoline_kernelINS0_14default_configENS1_35radix_sort_onesweep_config_selectorIjN6thrust23THRUST_200600_302600_NS5tupleIffNS6_9null_typeES8_S8_S8_S8_S8_S8_S8_EEEEZZNS1_29radix_sort_onesweep_iterationIS3_Lb0ENS6_6detail15normal_iteratorINS6_10device_ptrIjEEEESG_NSD_INSE_IS9_EEEESI_jNS0_19identity_decomposerENS1_16block_id_wrapperIjLb1EEEEE10hipError_tT1_PNSt15iterator_traitsISN_E10value_typeET2_T3_PNSO_IST_E10value_typeET4_T5_PSY_SZ_PNS1_23onesweep_lookback_stateEbbT6_jjT7_P12ihipStream_tbENKUlT_T0_SN_SS_E_clISG_SG_SI_SI_EEDaS16_S17_SN_SS_EUlS16_E_NS1_11comp_targetILNS1_3genE9ELNS1_11target_archE1100ELNS1_3gpuE3ELNS1_3repE0EEENS1_47radix_sort_onesweep_sort_config_static_selectorELNS0_4arch9wavefront6targetE1EEEvSN_
; %bb.0:
	.section	.rodata,"a",@progbits
	.p2align	6, 0x0
	.amdhsa_kernel _ZN7rocprim17ROCPRIM_400000_NS6detail17trampoline_kernelINS0_14default_configENS1_35radix_sort_onesweep_config_selectorIjN6thrust23THRUST_200600_302600_NS5tupleIffNS6_9null_typeES8_S8_S8_S8_S8_S8_S8_EEEEZZNS1_29radix_sort_onesweep_iterationIS3_Lb0ENS6_6detail15normal_iteratorINS6_10device_ptrIjEEEESG_NSD_INSE_IS9_EEEESI_jNS0_19identity_decomposerENS1_16block_id_wrapperIjLb1EEEEE10hipError_tT1_PNSt15iterator_traitsISN_E10value_typeET2_T3_PNSO_IST_E10value_typeET4_T5_PSY_SZ_PNS1_23onesweep_lookback_stateEbbT6_jjT7_P12ihipStream_tbENKUlT_T0_SN_SS_E_clISG_SG_SI_SI_EEDaS16_S17_SN_SS_EUlS16_E_NS1_11comp_targetILNS1_3genE9ELNS1_11target_archE1100ELNS1_3gpuE3ELNS1_3repE0EEENS1_47radix_sort_onesweep_sort_config_static_selectorELNS0_4arch9wavefront6targetE1EEEvSN_
		.amdhsa_group_segment_fixed_size 0
		.amdhsa_private_segment_fixed_size 0
		.amdhsa_kernarg_size 88
		.amdhsa_user_sgpr_count 6
		.amdhsa_user_sgpr_private_segment_buffer 1
		.amdhsa_user_sgpr_dispatch_ptr 0
		.amdhsa_user_sgpr_queue_ptr 0
		.amdhsa_user_sgpr_kernarg_segment_ptr 1
		.amdhsa_user_sgpr_dispatch_id 0
		.amdhsa_user_sgpr_flat_scratch_init 0
		.amdhsa_user_sgpr_kernarg_preload_length 0
		.amdhsa_user_sgpr_kernarg_preload_offset 0
		.amdhsa_user_sgpr_private_segment_size 0
		.amdhsa_uses_dynamic_stack 0
		.amdhsa_system_sgpr_private_segment_wavefront_offset 0
		.amdhsa_system_sgpr_workgroup_id_x 1
		.amdhsa_system_sgpr_workgroup_id_y 0
		.amdhsa_system_sgpr_workgroup_id_z 0
		.amdhsa_system_sgpr_workgroup_info 0
		.amdhsa_system_vgpr_workitem_id 0
		.amdhsa_next_free_vgpr 1
		.amdhsa_next_free_sgpr 0
		.amdhsa_accum_offset 4
		.amdhsa_reserve_vcc 0
		.amdhsa_reserve_flat_scratch 0
		.amdhsa_float_round_mode_32 0
		.amdhsa_float_round_mode_16_64 0
		.amdhsa_float_denorm_mode_32 3
		.amdhsa_float_denorm_mode_16_64 3
		.amdhsa_dx10_clamp 1
		.amdhsa_ieee_mode 1
		.amdhsa_fp16_overflow 0
		.amdhsa_tg_split 0
		.amdhsa_exception_fp_ieee_invalid_op 0
		.amdhsa_exception_fp_denorm_src 0
		.amdhsa_exception_fp_ieee_div_zero 0
		.amdhsa_exception_fp_ieee_overflow 0
		.amdhsa_exception_fp_ieee_underflow 0
		.amdhsa_exception_fp_ieee_inexact 0
		.amdhsa_exception_int_div_zero 0
	.end_amdhsa_kernel
	.section	.text._ZN7rocprim17ROCPRIM_400000_NS6detail17trampoline_kernelINS0_14default_configENS1_35radix_sort_onesweep_config_selectorIjN6thrust23THRUST_200600_302600_NS5tupleIffNS6_9null_typeES8_S8_S8_S8_S8_S8_S8_EEEEZZNS1_29radix_sort_onesweep_iterationIS3_Lb0ENS6_6detail15normal_iteratorINS6_10device_ptrIjEEEESG_NSD_INSE_IS9_EEEESI_jNS0_19identity_decomposerENS1_16block_id_wrapperIjLb1EEEEE10hipError_tT1_PNSt15iterator_traitsISN_E10value_typeET2_T3_PNSO_IST_E10value_typeET4_T5_PSY_SZ_PNS1_23onesweep_lookback_stateEbbT6_jjT7_P12ihipStream_tbENKUlT_T0_SN_SS_E_clISG_SG_SI_SI_EEDaS16_S17_SN_SS_EUlS16_E_NS1_11comp_targetILNS1_3genE9ELNS1_11target_archE1100ELNS1_3gpuE3ELNS1_3repE0EEENS1_47radix_sort_onesweep_sort_config_static_selectorELNS0_4arch9wavefront6targetE1EEEvSN_,"axG",@progbits,_ZN7rocprim17ROCPRIM_400000_NS6detail17trampoline_kernelINS0_14default_configENS1_35radix_sort_onesweep_config_selectorIjN6thrust23THRUST_200600_302600_NS5tupleIffNS6_9null_typeES8_S8_S8_S8_S8_S8_S8_EEEEZZNS1_29radix_sort_onesweep_iterationIS3_Lb0ENS6_6detail15normal_iteratorINS6_10device_ptrIjEEEESG_NSD_INSE_IS9_EEEESI_jNS0_19identity_decomposerENS1_16block_id_wrapperIjLb1EEEEE10hipError_tT1_PNSt15iterator_traitsISN_E10value_typeET2_T3_PNSO_IST_E10value_typeET4_T5_PSY_SZ_PNS1_23onesweep_lookback_stateEbbT6_jjT7_P12ihipStream_tbENKUlT_T0_SN_SS_E_clISG_SG_SI_SI_EEDaS16_S17_SN_SS_EUlS16_E_NS1_11comp_targetILNS1_3genE9ELNS1_11target_archE1100ELNS1_3gpuE3ELNS1_3repE0EEENS1_47radix_sort_onesweep_sort_config_static_selectorELNS0_4arch9wavefront6targetE1EEEvSN_,comdat
.Lfunc_end182:
	.size	_ZN7rocprim17ROCPRIM_400000_NS6detail17trampoline_kernelINS0_14default_configENS1_35radix_sort_onesweep_config_selectorIjN6thrust23THRUST_200600_302600_NS5tupleIffNS6_9null_typeES8_S8_S8_S8_S8_S8_S8_EEEEZZNS1_29radix_sort_onesweep_iterationIS3_Lb0ENS6_6detail15normal_iteratorINS6_10device_ptrIjEEEESG_NSD_INSE_IS9_EEEESI_jNS0_19identity_decomposerENS1_16block_id_wrapperIjLb1EEEEE10hipError_tT1_PNSt15iterator_traitsISN_E10value_typeET2_T3_PNSO_IST_E10value_typeET4_T5_PSY_SZ_PNS1_23onesweep_lookback_stateEbbT6_jjT7_P12ihipStream_tbENKUlT_T0_SN_SS_E_clISG_SG_SI_SI_EEDaS16_S17_SN_SS_EUlS16_E_NS1_11comp_targetILNS1_3genE9ELNS1_11target_archE1100ELNS1_3gpuE3ELNS1_3repE0EEENS1_47radix_sort_onesweep_sort_config_static_selectorELNS0_4arch9wavefront6targetE1EEEvSN_, .Lfunc_end182-_ZN7rocprim17ROCPRIM_400000_NS6detail17trampoline_kernelINS0_14default_configENS1_35radix_sort_onesweep_config_selectorIjN6thrust23THRUST_200600_302600_NS5tupleIffNS6_9null_typeES8_S8_S8_S8_S8_S8_S8_EEEEZZNS1_29radix_sort_onesweep_iterationIS3_Lb0ENS6_6detail15normal_iteratorINS6_10device_ptrIjEEEESG_NSD_INSE_IS9_EEEESI_jNS0_19identity_decomposerENS1_16block_id_wrapperIjLb1EEEEE10hipError_tT1_PNSt15iterator_traitsISN_E10value_typeET2_T3_PNSO_IST_E10value_typeET4_T5_PSY_SZ_PNS1_23onesweep_lookback_stateEbbT6_jjT7_P12ihipStream_tbENKUlT_T0_SN_SS_E_clISG_SG_SI_SI_EEDaS16_S17_SN_SS_EUlS16_E_NS1_11comp_targetILNS1_3genE9ELNS1_11target_archE1100ELNS1_3gpuE3ELNS1_3repE0EEENS1_47radix_sort_onesweep_sort_config_static_selectorELNS0_4arch9wavefront6targetE1EEEvSN_
                                        ; -- End function
	.section	.AMDGPU.csdata,"",@progbits
; Kernel info:
; codeLenInByte = 0
; NumSgprs: 4
; NumVgprs: 0
; NumAgprs: 0
; TotalNumVgprs: 0
; ScratchSize: 0
; MemoryBound: 0
; FloatMode: 240
; IeeeMode: 1
; LDSByteSize: 0 bytes/workgroup (compile time only)
; SGPRBlocks: 0
; VGPRBlocks: 0
; NumSGPRsForWavesPerEU: 4
; NumVGPRsForWavesPerEU: 1
; AccumOffset: 4
; Occupancy: 8
; WaveLimiterHint : 0
; COMPUTE_PGM_RSRC2:SCRATCH_EN: 0
; COMPUTE_PGM_RSRC2:USER_SGPR: 6
; COMPUTE_PGM_RSRC2:TRAP_HANDLER: 0
; COMPUTE_PGM_RSRC2:TGID_X_EN: 1
; COMPUTE_PGM_RSRC2:TGID_Y_EN: 0
; COMPUTE_PGM_RSRC2:TGID_Z_EN: 0
; COMPUTE_PGM_RSRC2:TIDIG_COMP_CNT: 0
; COMPUTE_PGM_RSRC3_GFX90A:ACCUM_OFFSET: 0
; COMPUTE_PGM_RSRC3_GFX90A:TG_SPLIT: 0
	.section	.text._ZN7rocprim17ROCPRIM_400000_NS6detail17trampoline_kernelINS0_14default_configENS1_35radix_sort_onesweep_config_selectorIjN6thrust23THRUST_200600_302600_NS5tupleIffNS6_9null_typeES8_S8_S8_S8_S8_S8_S8_EEEEZZNS1_29radix_sort_onesweep_iterationIS3_Lb0ENS6_6detail15normal_iteratorINS6_10device_ptrIjEEEESG_NSD_INSE_IS9_EEEESI_jNS0_19identity_decomposerENS1_16block_id_wrapperIjLb1EEEEE10hipError_tT1_PNSt15iterator_traitsISN_E10value_typeET2_T3_PNSO_IST_E10value_typeET4_T5_PSY_SZ_PNS1_23onesweep_lookback_stateEbbT6_jjT7_P12ihipStream_tbENKUlT_T0_SN_SS_E_clISG_SG_SI_SI_EEDaS16_S17_SN_SS_EUlS16_E_NS1_11comp_targetILNS1_3genE8ELNS1_11target_archE1030ELNS1_3gpuE2ELNS1_3repE0EEENS1_47radix_sort_onesweep_sort_config_static_selectorELNS0_4arch9wavefront6targetE1EEEvSN_,"axG",@progbits,_ZN7rocprim17ROCPRIM_400000_NS6detail17trampoline_kernelINS0_14default_configENS1_35radix_sort_onesweep_config_selectorIjN6thrust23THRUST_200600_302600_NS5tupleIffNS6_9null_typeES8_S8_S8_S8_S8_S8_S8_EEEEZZNS1_29radix_sort_onesweep_iterationIS3_Lb0ENS6_6detail15normal_iteratorINS6_10device_ptrIjEEEESG_NSD_INSE_IS9_EEEESI_jNS0_19identity_decomposerENS1_16block_id_wrapperIjLb1EEEEE10hipError_tT1_PNSt15iterator_traitsISN_E10value_typeET2_T3_PNSO_IST_E10value_typeET4_T5_PSY_SZ_PNS1_23onesweep_lookback_stateEbbT6_jjT7_P12ihipStream_tbENKUlT_T0_SN_SS_E_clISG_SG_SI_SI_EEDaS16_S17_SN_SS_EUlS16_E_NS1_11comp_targetILNS1_3genE8ELNS1_11target_archE1030ELNS1_3gpuE2ELNS1_3repE0EEENS1_47radix_sort_onesweep_sort_config_static_selectorELNS0_4arch9wavefront6targetE1EEEvSN_,comdat
	.protected	_ZN7rocprim17ROCPRIM_400000_NS6detail17trampoline_kernelINS0_14default_configENS1_35radix_sort_onesweep_config_selectorIjN6thrust23THRUST_200600_302600_NS5tupleIffNS6_9null_typeES8_S8_S8_S8_S8_S8_S8_EEEEZZNS1_29radix_sort_onesweep_iterationIS3_Lb0ENS6_6detail15normal_iteratorINS6_10device_ptrIjEEEESG_NSD_INSE_IS9_EEEESI_jNS0_19identity_decomposerENS1_16block_id_wrapperIjLb1EEEEE10hipError_tT1_PNSt15iterator_traitsISN_E10value_typeET2_T3_PNSO_IST_E10value_typeET4_T5_PSY_SZ_PNS1_23onesweep_lookback_stateEbbT6_jjT7_P12ihipStream_tbENKUlT_T0_SN_SS_E_clISG_SG_SI_SI_EEDaS16_S17_SN_SS_EUlS16_E_NS1_11comp_targetILNS1_3genE8ELNS1_11target_archE1030ELNS1_3gpuE2ELNS1_3repE0EEENS1_47radix_sort_onesweep_sort_config_static_selectorELNS0_4arch9wavefront6targetE1EEEvSN_ ; -- Begin function _ZN7rocprim17ROCPRIM_400000_NS6detail17trampoline_kernelINS0_14default_configENS1_35radix_sort_onesweep_config_selectorIjN6thrust23THRUST_200600_302600_NS5tupleIffNS6_9null_typeES8_S8_S8_S8_S8_S8_S8_EEEEZZNS1_29radix_sort_onesweep_iterationIS3_Lb0ENS6_6detail15normal_iteratorINS6_10device_ptrIjEEEESG_NSD_INSE_IS9_EEEESI_jNS0_19identity_decomposerENS1_16block_id_wrapperIjLb1EEEEE10hipError_tT1_PNSt15iterator_traitsISN_E10value_typeET2_T3_PNSO_IST_E10value_typeET4_T5_PSY_SZ_PNS1_23onesweep_lookback_stateEbbT6_jjT7_P12ihipStream_tbENKUlT_T0_SN_SS_E_clISG_SG_SI_SI_EEDaS16_S17_SN_SS_EUlS16_E_NS1_11comp_targetILNS1_3genE8ELNS1_11target_archE1030ELNS1_3gpuE2ELNS1_3repE0EEENS1_47radix_sort_onesweep_sort_config_static_selectorELNS0_4arch9wavefront6targetE1EEEvSN_
	.globl	_ZN7rocprim17ROCPRIM_400000_NS6detail17trampoline_kernelINS0_14default_configENS1_35radix_sort_onesweep_config_selectorIjN6thrust23THRUST_200600_302600_NS5tupleIffNS6_9null_typeES8_S8_S8_S8_S8_S8_S8_EEEEZZNS1_29radix_sort_onesweep_iterationIS3_Lb0ENS6_6detail15normal_iteratorINS6_10device_ptrIjEEEESG_NSD_INSE_IS9_EEEESI_jNS0_19identity_decomposerENS1_16block_id_wrapperIjLb1EEEEE10hipError_tT1_PNSt15iterator_traitsISN_E10value_typeET2_T3_PNSO_IST_E10value_typeET4_T5_PSY_SZ_PNS1_23onesweep_lookback_stateEbbT6_jjT7_P12ihipStream_tbENKUlT_T0_SN_SS_E_clISG_SG_SI_SI_EEDaS16_S17_SN_SS_EUlS16_E_NS1_11comp_targetILNS1_3genE8ELNS1_11target_archE1030ELNS1_3gpuE2ELNS1_3repE0EEENS1_47radix_sort_onesweep_sort_config_static_selectorELNS0_4arch9wavefront6targetE1EEEvSN_
	.p2align	8
	.type	_ZN7rocprim17ROCPRIM_400000_NS6detail17trampoline_kernelINS0_14default_configENS1_35radix_sort_onesweep_config_selectorIjN6thrust23THRUST_200600_302600_NS5tupleIffNS6_9null_typeES8_S8_S8_S8_S8_S8_S8_EEEEZZNS1_29radix_sort_onesweep_iterationIS3_Lb0ENS6_6detail15normal_iteratorINS6_10device_ptrIjEEEESG_NSD_INSE_IS9_EEEESI_jNS0_19identity_decomposerENS1_16block_id_wrapperIjLb1EEEEE10hipError_tT1_PNSt15iterator_traitsISN_E10value_typeET2_T3_PNSO_IST_E10value_typeET4_T5_PSY_SZ_PNS1_23onesweep_lookback_stateEbbT6_jjT7_P12ihipStream_tbENKUlT_T0_SN_SS_E_clISG_SG_SI_SI_EEDaS16_S17_SN_SS_EUlS16_E_NS1_11comp_targetILNS1_3genE8ELNS1_11target_archE1030ELNS1_3gpuE2ELNS1_3repE0EEENS1_47radix_sort_onesweep_sort_config_static_selectorELNS0_4arch9wavefront6targetE1EEEvSN_,@function
_ZN7rocprim17ROCPRIM_400000_NS6detail17trampoline_kernelINS0_14default_configENS1_35radix_sort_onesweep_config_selectorIjN6thrust23THRUST_200600_302600_NS5tupleIffNS6_9null_typeES8_S8_S8_S8_S8_S8_S8_EEEEZZNS1_29radix_sort_onesweep_iterationIS3_Lb0ENS6_6detail15normal_iteratorINS6_10device_ptrIjEEEESG_NSD_INSE_IS9_EEEESI_jNS0_19identity_decomposerENS1_16block_id_wrapperIjLb1EEEEE10hipError_tT1_PNSt15iterator_traitsISN_E10value_typeET2_T3_PNSO_IST_E10value_typeET4_T5_PSY_SZ_PNS1_23onesweep_lookback_stateEbbT6_jjT7_P12ihipStream_tbENKUlT_T0_SN_SS_E_clISG_SG_SI_SI_EEDaS16_S17_SN_SS_EUlS16_E_NS1_11comp_targetILNS1_3genE8ELNS1_11target_archE1030ELNS1_3gpuE2ELNS1_3repE0EEENS1_47radix_sort_onesweep_sort_config_static_selectorELNS0_4arch9wavefront6targetE1EEEvSN_: ; @_ZN7rocprim17ROCPRIM_400000_NS6detail17trampoline_kernelINS0_14default_configENS1_35radix_sort_onesweep_config_selectorIjN6thrust23THRUST_200600_302600_NS5tupleIffNS6_9null_typeES8_S8_S8_S8_S8_S8_S8_EEEEZZNS1_29radix_sort_onesweep_iterationIS3_Lb0ENS6_6detail15normal_iteratorINS6_10device_ptrIjEEEESG_NSD_INSE_IS9_EEEESI_jNS0_19identity_decomposerENS1_16block_id_wrapperIjLb1EEEEE10hipError_tT1_PNSt15iterator_traitsISN_E10value_typeET2_T3_PNSO_IST_E10value_typeET4_T5_PSY_SZ_PNS1_23onesweep_lookback_stateEbbT6_jjT7_P12ihipStream_tbENKUlT_T0_SN_SS_E_clISG_SG_SI_SI_EEDaS16_S17_SN_SS_EUlS16_E_NS1_11comp_targetILNS1_3genE8ELNS1_11target_archE1030ELNS1_3gpuE2ELNS1_3repE0EEENS1_47radix_sort_onesweep_sort_config_static_selectorELNS0_4arch9wavefront6targetE1EEEvSN_
; %bb.0:
	.section	.rodata,"a",@progbits
	.p2align	6, 0x0
	.amdhsa_kernel _ZN7rocprim17ROCPRIM_400000_NS6detail17trampoline_kernelINS0_14default_configENS1_35radix_sort_onesweep_config_selectorIjN6thrust23THRUST_200600_302600_NS5tupleIffNS6_9null_typeES8_S8_S8_S8_S8_S8_S8_EEEEZZNS1_29radix_sort_onesweep_iterationIS3_Lb0ENS6_6detail15normal_iteratorINS6_10device_ptrIjEEEESG_NSD_INSE_IS9_EEEESI_jNS0_19identity_decomposerENS1_16block_id_wrapperIjLb1EEEEE10hipError_tT1_PNSt15iterator_traitsISN_E10value_typeET2_T3_PNSO_IST_E10value_typeET4_T5_PSY_SZ_PNS1_23onesweep_lookback_stateEbbT6_jjT7_P12ihipStream_tbENKUlT_T0_SN_SS_E_clISG_SG_SI_SI_EEDaS16_S17_SN_SS_EUlS16_E_NS1_11comp_targetILNS1_3genE8ELNS1_11target_archE1030ELNS1_3gpuE2ELNS1_3repE0EEENS1_47radix_sort_onesweep_sort_config_static_selectorELNS0_4arch9wavefront6targetE1EEEvSN_
		.amdhsa_group_segment_fixed_size 0
		.amdhsa_private_segment_fixed_size 0
		.amdhsa_kernarg_size 88
		.amdhsa_user_sgpr_count 6
		.amdhsa_user_sgpr_private_segment_buffer 1
		.amdhsa_user_sgpr_dispatch_ptr 0
		.amdhsa_user_sgpr_queue_ptr 0
		.amdhsa_user_sgpr_kernarg_segment_ptr 1
		.amdhsa_user_sgpr_dispatch_id 0
		.amdhsa_user_sgpr_flat_scratch_init 0
		.amdhsa_user_sgpr_kernarg_preload_length 0
		.amdhsa_user_sgpr_kernarg_preload_offset 0
		.amdhsa_user_sgpr_private_segment_size 0
		.amdhsa_uses_dynamic_stack 0
		.amdhsa_system_sgpr_private_segment_wavefront_offset 0
		.amdhsa_system_sgpr_workgroup_id_x 1
		.amdhsa_system_sgpr_workgroup_id_y 0
		.amdhsa_system_sgpr_workgroup_id_z 0
		.amdhsa_system_sgpr_workgroup_info 0
		.amdhsa_system_vgpr_workitem_id 0
		.amdhsa_next_free_vgpr 1
		.amdhsa_next_free_sgpr 0
		.amdhsa_accum_offset 4
		.amdhsa_reserve_vcc 0
		.amdhsa_reserve_flat_scratch 0
		.amdhsa_float_round_mode_32 0
		.amdhsa_float_round_mode_16_64 0
		.amdhsa_float_denorm_mode_32 3
		.amdhsa_float_denorm_mode_16_64 3
		.amdhsa_dx10_clamp 1
		.amdhsa_ieee_mode 1
		.amdhsa_fp16_overflow 0
		.amdhsa_tg_split 0
		.amdhsa_exception_fp_ieee_invalid_op 0
		.amdhsa_exception_fp_denorm_src 0
		.amdhsa_exception_fp_ieee_div_zero 0
		.amdhsa_exception_fp_ieee_overflow 0
		.amdhsa_exception_fp_ieee_underflow 0
		.amdhsa_exception_fp_ieee_inexact 0
		.amdhsa_exception_int_div_zero 0
	.end_amdhsa_kernel
	.section	.text._ZN7rocprim17ROCPRIM_400000_NS6detail17trampoline_kernelINS0_14default_configENS1_35radix_sort_onesweep_config_selectorIjN6thrust23THRUST_200600_302600_NS5tupleIffNS6_9null_typeES8_S8_S8_S8_S8_S8_S8_EEEEZZNS1_29radix_sort_onesweep_iterationIS3_Lb0ENS6_6detail15normal_iteratorINS6_10device_ptrIjEEEESG_NSD_INSE_IS9_EEEESI_jNS0_19identity_decomposerENS1_16block_id_wrapperIjLb1EEEEE10hipError_tT1_PNSt15iterator_traitsISN_E10value_typeET2_T3_PNSO_IST_E10value_typeET4_T5_PSY_SZ_PNS1_23onesweep_lookback_stateEbbT6_jjT7_P12ihipStream_tbENKUlT_T0_SN_SS_E_clISG_SG_SI_SI_EEDaS16_S17_SN_SS_EUlS16_E_NS1_11comp_targetILNS1_3genE8ELNS1_11target_archE1030ELNS1_3gpuE2ELNS1_3repE0EEENS1_47radix_sort_onesweep_sort_config_static_selectorELNS0_4arch9wavefront6targetE1EEEvSN_,"axG",@progbits,_ZN7rocprim17ROCPRIM_400000_NS6detail17trampoline_kernelINS0_14default_configENS1_35radix_sort_onesweep_config_selectorIjN6thrust23THRUST_200600_302600_NS5tupleIffNS6_9null_typeES8_S8_S8_S8_S8_S8_S8_EEEEZZNS1_29radix_sort_onesweep_iterationIS3_Lb0ENS6_6detail15normal_iteratorINS6_10device_ptrIjEEEESG_NSD_INSE_IS9_EEEESI_jNS0_19identity_decomposerENS1_16block_id_wrapperIjLb1EEEEE10hipError_tT1_PNSt15iterator_traitsISN_E10value_typeET2_T3_PNSO_IST_E10value_typeET4_T5_PSY_SZ_PNS1_23onesweep_lookback_stateEbbT6_jjT7_P12ihipStream_tbENKUlT_T0_SN_SS_E_clISG_SG_SI_SI_EEDaS16_S17_SN_SS_EUlS16_E_NS1_11comp_targetILNS1_3genE8ELNS1_11target_archE1030ELNS1_3gpuE2ELNS1_3repE0EEENS1_47radix_sort_onesweep_sort_config_static_selectorELNS0_4arch9wavefront6targetE1EEEvSN_,comdat
.Lfunc_end183:
	.size	_ZN7rocprim17ROCPRIM_400000_NS6detail17trampoline_kernelINS0_14default_configENS1_35radix_sort_onesweep_config_selectorIjN6thrust23THRUST_200600_302600_NS5tupleIffNS6_9null_typeES8_S8_S8_S8_S8_S8_S8_EEEEZZNS1_29radix_sort_onesweep_iterationIS3_Lb0ENS6_6detail15normal_iteratorINS6_10device_ptrIjEEEESG_NSD_INSE_IS9_EEEESI_jNS0_19identity_decomposerENS1_16block_id_wrapperIjLb1EEEEE10hipError_tT1_PNSt15iterator_traitsISN_E10value_typeET2_T3_PNSO_IST_E10value_typeET4_T5_PSY_SZ_PNS1_23onesweep_lookback_stateEbbT6_jjT7_P12ihipStream_tbENKUlT_T0_SN_SS_E_clISG_SG_SI_SI_EEDaS16_S17_SN_SS_EUlS16_E_NS1_11comp_targetILNS1_3genE8ELNS1_11target_archE1030ELNS1_3gpuE2ELNS1_3repE0EEENS1_47radix_sort_onesweep_sort_config_static_selectorELNS0_4arch9wavefront6targetE1EEEvSN_, .Lfunc_end183-_ZN7rocprim17ROCPRIM_400000_NS6detail17trampoline_kernelINS0_14default_configENS1_35radix_sort_onesweep_config_selectorIjN6thrust23THRUST_200600_302600_NS5tupleIffNS6_9null_typeES8_S8_S8_S8_S8_S8_S8_EEEEZZNS1_29radix_sort_onesweep_iterationIS3_Lb0ENS6_6detail15normal_iteratorINS6_10device_ptrIjEEEESG_NSD_INSE_IS9_EEEESI_jNS0_19identity_decomposerENS1_16block_id_wrapperIjLb1EEEEE10hipError_tT1_PNSt15iterator_traitsISN_E10value_typeET2_T3_PNSO_IST_E10value_typeET4_T5_PSY_SZ_PNS1_23onesweep_lookback_stateEbbT6_jjT7_P12ihipStream_tbENKUlT_T0_SN_SS_E_clISG_SG_SI_SI_EEDaS16_S17_SN_SS_EUlS16_E_NS1_11comp_targetILNS1_3genE8ELNS1_11target_archE1030ELNS1_3gpuE2ELNS1_3repE0EEENS1_47radix_sort_onesweep_sort_config_static_selectorELNS0_4arch9wavefront6targetE1EEEvSN_
                                        ; -- End function
	.section	.AMDGPU.csdata,"",@progbits
; Kernel info:
; codeLenInByte = 0
; NumSgprs: 4
; NumVgprs: 0
; NumAgprs: 0
; TotalNumVgprs: 0
; ScratchSize: 0
; MemoryBound: 0
; FloatMode: 240
; IeeeMode: 1
; LDSByteSize: 0 bytes/workgroup (compile time only)
; SGPRBlocks: 0
; VGPRBlocks: 0
; NumSGPRsForWavesPerEU: 4
; NumVGPRsForWavesPerEU: 1
; AccumOffset: 4
; Occupancy: 8
; WaveLimiterHint : 0
; COMPUTE_PGM_RSRC2:SCRATCH_EN: 0
; COMPUTE_PGM_RSRC2:USER_SGPR: 6
; COMPUTE_PGM_RSRC2:TRAP_HANDLER: 0
; COMPUTE_PGM_RSRC2:TGID_X_EN: 1
; COMPUTE_PGM_RSRC2:TGID_Y_EN: 0
; COMPUTE_PGM_RSRC2:TGID_Z_EN: 0
; COMPUTE_PGM_RSRC2:TIDIG_COMP_CNT: 0
; COMPUTE_PGM_RSRC3_GFX90A:ACCUM_OFFSET: 0
; COMPUTE_PGM_RSRC3_GFX90A:TG_SPLIT: 0
	.section	.text._ZN7rocprim17ROCPRIM_400000_NS6detail17trampoline_kernelINS0_14default_configENS1_35radix_sort_onesweep_config_selectorIjN6thrust23THRUST_200600_302600_NS5tupleIffNS6_9null_typeES8_S8_S8_S8_S8_S8_S8_EEEEZZNS1_29radix_sort_onesweep_iterationIS3_Lb0ENS6_6detail15normal_iteratorINS6_10device_ptrIjEEEESG_NSD_INSE_IS9_EEEESI_jNS0_19identity_decomposerENS1_16block_id_wrapperIjLb1EEEEE10hipError_tT1_PNSt15iterator_traitsISN_E10value_typeET2_T3_PNSO_IST_E10value_typeET4_T5_PSY_SZ_PNS1_23onesweep_lookback_stateEbbT6_jjT7_P12ihipStream_tbENKUlT_T0_SN_SS_E_clISG_PjSI_PS9_EEDaS16_S17_SN_SS_EUlS16_E_NS1_11comp_targetILNS1_3genE0ELNS1_11target_archE4294967295ELNS1_3gpuE0ELNS1_3repE0EEENS1_47radix_sort_onesweep_sort_config_static_selectorELNS0_4arch9wavefront6targetE1EEEvSN_,"axG",@progbits,_ZN7rocprim17ROCPRIM_400000_NS6detail17trampoline_kernelINS0_14default_configENS1_35radix_sort_onesweep_config_selectorIjN6thrust23THRUST_200600_302600_NS5tupleIffNS6_9null_typeES8_S8_S8_S8_S8_S8_S8_EEEEZZNS1_29radix_sort_onesweep_iterationIS3_Lb0ENS6_6detail15normal_iteratorINS6_10device_ptrIjEEEESG_NSD_INSE_IS9_EEEESI_jNS0_19identity_decomposerENS1_16block_id_wrapperIjLb1EEEEE10hipError_tT1_PNSt15iterator_traitsISN_E10value_typeET2_T3_PNSO_IST_E10value_typeET4_T5_PSY_SZ_PNS1_23onesweep_lookback_stateEbbT6_jjT7_P12ihipStream_tbENKUlT_T0_SN_SS_E_clISG_PjSI_PS9_EEDaS16_S17_SN_SS_EUlS16_E_NS1_11comp_targetILNS1_3genE0ELNS1_11target_archE4294967295ELNS1_3gpuE0ELNS1_3repE0EEENS1_47radix_sort_onesweep_sort_config_static_selectorELNS0_4arch9wavefront6targetE1EEEvSN_,comdat
	.protected	_ZN7rocprim17ROCPRIM_400000_NS6detail17trampoline_kernelINS0_14default_configENS1_35radix_sort_onesweep_config_selectorIjN6thrust23THRUST_200600_302600_NS5tupleIffNS6_9null_typeES8_S8_S8_S8_S8_S8_S8_EEEEZZNS1_29radix_sort_onesweep_iterationIS3_Lb0ENS6_6detail15normal_iteratorINS6_10device_ptrIjEEEESG_NSD_INSE_IS9_EEEESI_jNS0_19identity_decomposerENS1_16block_id_wrapperIjLb1EEEEE10hipError_tT1_PNSt15iterator_traitsISN_E10value_typeET2_T3_PNSO_IST_E10value_typeET4_T5_PSY_SZ_PNS1_23onesweep_lookback_stateEbbT6_jjT7_P12ihipStream_tbENKUlT_T0_SN_SS_E_clISG_PjSI_PS9_EEDaS16_S17_SN_SS_EUlS16_E_NS1_11comp_targetILNS1_3genE0ELNS1_11target_archE4294967295ELNS1_3gpuE0ELNS1_3repE0EEENS1_47radix_sort_onesweep_sort_config_static_selectorELNS0_4arch9wavefront6targetE1EEEvSN_ ; -- Begin function _ZN7rocprim17ROCPRIM_400000_NS6detail17trampoline_kernelINS0_14default_configENS1_35radix_sort_onesweep_config_selectorIjN6thrust23THRUST_200600_302600_NS5tupleIffNS6_9null_typeES8_S8_S8_S8_S8_S8_S8_EEEEZZNS1_29radix_sort_onesweep_iterationIS3_Lb0ENS6_6detail15normal_iteratorINS6_10device_ptrIjEEEESG_NSD_INSE_IS9_EEEESI_jNS0_19identity_decomposerENS1_16block_id_wrapperIjLb1EEEEE10hipError_tT1_PNSt15iterator_traitsISN_E10value_typeET2_T3_PNSO_IST_E10value_typeET4_T5_PSY_SZ_PNS1_23onesweep_lookback_stateEbbT6_jjT7_P12ihipStream_tbENKUlT_T0_SN_SS_E_clISG_PjSI_PS9_EEDaS16_S17_SN_SS_EUlS16_E_NS1_11comp_targetILNS1_3genE0ELNS1_11target_archE4294967295ELNS1_3gpuE0ELNS1_3repE0EEENS1_47radix_sort_onesweep_sort_config_static_selectorELNS0_4arch9wavefront6targetE1EEEvSN_
	.globl	_ZN7rocprim17ROCPRIM_400000_NS6detail17trampoline_kernelINS0_14default_configENS1_35radix_sort_onesweep_config_selectorIjN6thrust23THRUST_200600_302600_NS5tupleIffNS6_9null_typeES8_S8_S8_S8_S8_S8_S8_EEEEZZNS1_29radix_sort_onesweep_iterationIS3_Lb0ENS6_6detail15normal_iteratorINS6_10device_ptrIjEEEESG_NSD_INSE_IS9_EEEESI_jNS0_19identity_decomposerENS1_16block_id_wrapperIjLb1EEEEE10hipError_tT1_PNSt15iterator_traitsISN_E10value_typeET2_T3_PNSO_IST_E10value_typeET4_T5_PSY_SZ_PNS1_23onesweep_lookback_stateEbbT6_jjT7_P12ihipStream_tbENKUlT_T0_SN_SS_E_clISG_PjSI_PS9_EEDaS16_S17_SN_SS_EUlS16_E_NS1_11comp_targetILNS1_3genE0ELNS1_11target_archE4294967295ELNS1_3gpuE0ELNS1_3repE0EEENS1_47radix_sort_onesweep_sort_config_static_selectorELNS0_4arch9wavefront6targetE1EEEvSN_
	.p2align	8
	.type	_ZN7rocprim17ROCPRIM_400000_NS6detail17trampoline_kernelINS0_14default_configENS1_35radix_sort_onesweep_config_selectorIjN6thrust23THRUST_200600_302600_NS5tupleIffNS6_9null_typeES8_S8_S8_S8_S8_S8_S8_EEEEZZNS1_29radix_sort_onesweep_iterationIS3_Lb0ENS6_6detail15normal_iteratorINS6_10device_ptrIjEEEESG_NSD_INSE_IS9_EEEESI_jNS0_19identity_decomposerENS1_16block_id_wrapperIjLb1EEEEE10hipError_tT1_PNSt15iterator_traitsISN_E10value_typeET2_T3_PNSO_IST_E10value_typeET4_T5_PSY_SZ_PNS1_23onesweep_lookback_stateEbbT6_jjT7_P12ihipStream_tbENKUlT_T0_SN_SS_E_clISG_PjSI_PS9_EEDaS16_S17_SN_SS_EUlS16_E_NS1_11comp_targetILNS1_3genE0ELNS1_11target_archE4294967295ELNS1_3gpuE0ELNS1_3repE0EEENS1_47radix_sort_onesweep_sort_config_static_selectorELNS0_4arch9wavefront6targetE1EEEvSN_,@function
_ZN7rocprim17ROCPRIM_400000_NS6detail17trampoline_kernelINS0_14default_configENS1_35radix_sort_onesweep_config_selectorIjN6thrust23THRUST_200600_302600_NS5tupleIffNS6_9null_typeES8_S8_S8_S8_S8_S8_S8_EEEEZZNS1_29radix_sort_onesweep_iterationIS3_Lb0ENS6_6detail15normal_iteratorINS6_10device_ptrIjEEEESG_NSD_INSE_IS9_EEEESI_jNS0_19identity_decomposerENS1_16block_id_wrapperIjLb1EEEEE10hipError_tT1_PNSt15iterator_traitsISN_E10value_typeET2_T3_PNSO_IST_E10value_typeET4_T5_PSY_SZ_PNS1_23onesweep_lookback_stateEbbT6_jjT7_P12ihipStream_tbENKUlT_T0_SN_SS_E_clISG_PjSI_PS9_EEDaS16_S17_SN_SS_EUlS16_E_NS1_11comp_targetILNS1_3genE0ELNS1_11target_archE4294967295ELNS1_3gpuE0ELNS1_3repE0EEENS1_47radix_sort_onesweep_sort_config_static_selectorELNS0_4arch9wavefront6targetE1EEEvSN_: ; @_ZN7rocprim17ROCPRIM_400000_NS6detail17trampoline_kernelINS0_14default_configENS1_35radix_sort_onesweep_config_selectorIjN6thrust23THRUST_200600_302600_NS5tupleIffNS6_9null_typeES8_S8_S8_S8_S8_S8_S8_EEEEZZNS1_29radix_sort_onesweep_iterationIS3_Lb0ENS6_6detail15normal_iteratorINS6_10device_ptrIjEEEESG_NSD_INSE_IS9_EEEESI_jNS0_19identity_decomposerENS1_16block_id_wrapperIjLb1EEEEE10hipError_tT1_PNSt15iterator_traitsISN_E10value_typeET2_T3_PNSO_IST_E10value_typeET4_T5_PSY_SZ_PNS1_23onesweep_lookback_stateEbbT6_jjT7_P12ihipStream_tbENKUlT_T0_SN_SS_E_clISG_PjSI_PS9_EEDaS16_S17_SN_SS_EUlS16_E_NS1_11comp_targetILNS1_3genE0ELNS1_11target_archE4294967295ELNS1_3gpuE0ELNS1_3repE0EEENS1_47radix_sort_onesweep_sort_config_static_selectorELNS0_4arch9wavefront6targetE1EEEvSN_
; %bb.0:
	.section	.rodata,"a",@progbits
	.p2align	6, 0x0
	.amdhsa_kernel _ZN7rocprim17ROCPRIM_400000_NS6detail17trampoline_kernelINS0_14default_configENS1_35radix_sort_onesweep_config_selectorIjN6thrust23THRUST_200600_302600_NS5tupleIffNS6_9null_typeES8_S8_S8_S8_S8_S8_S8_EEEEZZNS1_29radix_sort_onesweep_iterationIS3_Lb0ENS6_6detail15normal_iteratorINS6_10device_ptrIjEEEESG_NSD_INSE_IS9_EEEESI_jNS0_19identity_decomposerENS1_16block_id_wrapperIjLb1EEEEE10hipError_tT1_PNSt15iterator_traitsISN_E10value_typeET2_T3_PNSO_IST_E10value_typeET4_T5_PSY_SZ_PNS1_23onesweep_lookback_stateEbbT6_jjT7_P12ihipStream_tbENKUlT_T0_SN_SS_E_clISG_PjSI_PS9_EEDaS16_S17_SN_SS_EUlS16_E_NS1_11comp_targetILNS1_3genE0ELNS1_11target_archE4294967295ELNS1_3gpuE0ELNS1_3repE0EEENS1_47radix_sort_onesweep_sort_config_static_selectorELNS0_4arch9wavefront6targetE1EEEvSN_
		.amdhsa_group_segment_fixed_size 0
		.amdhsa_private_segment_fixed_size 0
		.amdhsa_kernarg_size 88
		.amdhsa_user_sgpr_count 6
		.amdhsa_user_sgpr_private_segment_buffer 1
		.amdhsa_user_sgpr_dispatch_ptr 0
		.amdhsa_user_sgpr_queue_ptr 0
		.amdhsa_user_sgpr_kernarg_segment_ptr 1
		.amdhsa_user_sgpr_dispatch_id 0
		.amdhsa_user_sgpr_flat_scratch_init 0
		.amdhsa_user_sgpr_kernarg_preload_length 0
		.amdhsa_user_sgpr_kernarg_preload_offset 0
		.amdhsa_user_sgpr_private_segment_size 0
		.amdhsa_uses_dynamic_stack 0
		.amdhsa_system_sgpr_private_segment_wavefront_offset 0
		.amdhsa_system_sgpr_workgroup_id_x 1
		.amdhsa_system_sgpr_workgroup_id_y 0
		.amdhsa_system_sgpr_workgroup_id_z 0
		.amdhsa_system_sgpr_workgroup_info 0
		.amdhsa_system_vgpr_workitem_id 0
		.amdhsa_next_free_vgpr 1
		.amdhsa_next_free_sgpr 0
		.amdhsa_accum_offset 4
		.amdhsa_reserve_vcc 0
		.amdhsa_reserve_flat_scratch 0
		.amdhsa_float_round_mode_32 0
		.amdhsa_float_round_mode_16_64 0
		.amdhsa_float_denorm_mode_32 3
		.amdhsa_float_denorm_mode_16_64 3
		.amdhsa_dx10_clamp 1
		.amdhsa_ieee_mode 1
		.amdhsa_fp16_overflow 0
		.amdhsa_tg_split 0
		.amdhsa_exception_fp_ieee_invalid_op 0
		.amdhsa_exception_fp_denorm_src 0
		.amdhsa_exception_fp_ieee_div_zero 0
		.amdhsa_exception_fp_ieee_overflow 0
		.amdhsa_exception_fp_ieee_underflow 0
		.amdhsa_exception_fp_ieee_inexact 0
		.amdhsa_exception_int_div_zero 0
	.end_amdhsa_kernel
	.section	.text._ZN7rocprim17ROCPRIM_400000_NS6detail17trampoline_kernelINS0_14default_configENS1_35radix_sort_onesweep_config_selectorIjN6thrust23THRUST_200600_302600_NS5tupleIffNS6_9null_typeES8_S8_S8_S8_S8_S8_S8_EEEEZZNS1_29radix_sort_onesweep_iterationIS3_Lb0ENS6_6detail15normal_iteratorINS6_10device_ptrIjEEEESG_NSD_INSE_IS9_EEEESI_jNS0_19identity_decomposerENS1_16block_id_wrapperIjLb1EEEEE10hipError_tT1_PNSt15iterator_traitsISN_E10value_typeET2_T3_PNSO_IST_E10value_typeET4_T5_PSY_SZ_PNS1_23onesweep_lookback_stateEbbT6_jjT7_P12ihipStream_tbENKUlT_T0_SN_SS_E_clISG_PjSI_PS9_EEDaS16_S17_SN_SS_EUlS16_E_NS1_11comp_targetILNS1_3genE0ELNS1_11target_archE4294967295ELNS1_3gpuE0ELNS1_3repE0EEENS1_47radix_sort_onesweep_sort_config_static_selectorELNS0_4arch9wavefront6targetE1EEEvSN_,"axG",@progbits,_ZN7rocprim17ROCPRIM_400000_NS6detail17trampoline_kernelINS0_14default_configENS1_35radix_sort_onesweep_config_selectorIjN6thrust23THRUST_200600_302600_NS5tupleIffNS6_9null_typeES8_S8_S8_S8_S8_S8_S8_EEEEZZNS1_29radix_sort_onesweep_iterationIS3_Lb0ENS6_6detail15normal_iteratorINS6_10device_ptrIjEEEESG_NSD_INSE_IS9_EEEESI_jNS0_19identity_decomposerENS1_16block_id_wrapperIjLb1EEEEE10hipError_tT1_PNSt15iterator_traitsISN_E10value_typeET2_T3_PNSO_IST_E10value_typeET4_T5_PSY_SZ_PNS1_23onesweep_lookback_stateEbbT6_jjT7_P12ihipStream_tbENKUlT_T0_SN_SS_E_clISG_PjSI_PS9_EEDaS16_S17_SN_SS_EUlS16_E_NS1_11comp_targetILNS1_3genE0ELNS1_11target_archE4294967295ELNS1_3gpuE0ELNS1_3repE0EEENS1_47radix_sort_onesweep_sort_config_static_selectorELNS0_4arch9wavefront6targetE1EEEvSN_,comdat
.Lfunc_end184:
	.size	_ZN7rocprim17ROCPRIM_400000_NS6detail17trampoline_kernelINS0_14default_configENS1_35radix_sort_onesweep_config_selectorIjN6thrust23THRUST_200600_302600_NS5tupleIffNS6_9null_typeES8_S8_S8_S8_S8_S8_S8_EEEEZZNS1_29radix_sort_onesweep_iterationIS3_Lb0ENS6_6detail15normal_iteratorINS6_10device_ptrIjEEEESG_NSD_INSE_IS9_EEEESI_jNS0_19identity_decomposerENS1_16block_id_wrapperIjLb1EEEEE10hipError_tT1_PNSt15iterator_traitsISN_E10value_typeET2_T3_PNSO_IST_E10value_typeET4_T5_PSY_SZ_PNS1_23onesweep_lookback_stateEbbT6_jjT7_P12ihipStream_tbENKUlT_T0_SN_SS_E_clISG_PjSI_PS9_EEDaS16_S17_SN_SS_EUlS16_E_NS1_11comp_targetILNS1_3genE0ELNS1_11target_archE4294967295ELNS1_3gpuE0ELNS1_3repE0EEENS1_47radix_sort_onesweep_sort_config_static_selectorELNS0_4arch9wavefront6targetE1EEEvSN_, .Lfunc_end184-_ZN7rocprim17ROCPRIM_400000_NS6detail17trampoline_kernelINS0_14default_configENS1_35radix_sort_onesweep_config_selectorIjN6thrust23THRUST_200600_302600_NS5tupleIffNS6_9null_typeES8_S8_S8_S8_S8_S8_S8_EEEEZZNS1_29radix_sort_onesweep_iterationIS3_Lb0ENS6_6detail15normal_iteratorINS6_10device_ptrIjEEEESG_NSD_INSE_IS9_EEEESI_jNS0_19identity_decomposerENS1_16block_id_wrapperIjLb1EEEEE10hipError_tT1_PNSt15iterator_traitsISN_E10value_typeET2_T3_PNSO_IST_E10value_typeET4_T5_PSY_SZ_PNS1_23onesweep_lookback_stateEbbT6_jjT7_P12ihipStream_tbENKUlT_T0_SN_SS_E_clISG_PjSI_PS9_EEDaS16_S17_SN_SS_EUlS16_E_NS1_11comp_targetILNS1_3genE0ELNS1_11target_archE4294967295ELNS1_3gpuE0ELNS1_3repE0EEENS1_47radix_sort_onesweep_sort_config_static_selectorELNS0_4arch9wavefront6targetE1EEEvSN_
                                        ; -- End function
	.section	.AMDGPU.csdata,"",@progbits
; Kernel info:
; codeLenInByte = 0
; NumSgprs: 4
; NumVgprs: 0
; NumAgprs: 0
; TotalNumVgprs: 0
; ScratchSize: 0
; MemoryBound: 0
; FloatMode: 240
; IeeeMode: 1
; LDSByteSize: 0 bytes/workgroup (compile time only)
; SGPRBlocks: 0
; VGPRBlocks: 0
; NumSGPRsForWavesPerEU: 4
; NumVGPRsForWavesPerEU: 1
; AccumOffset: 4
; Occupancy: 8
; WaveLimiterHint : 0
; COMPUTE_PGM_RSRC2:SCRATCH_EN: 0
; COMPUTE_PGM_RSRC2:USER_SGPR: 6
; COMPUTE_PGM_RSRC2:TRAP_HANDLER: 0
; COMPUTE_PGM_RSRC2:TGID_X_EN: 1
; COMPUTE_PGM_RSRC2:TGID_Y_EN: 0
; COMPUTE_PGM_RSRC2:TGID_Z_EN: 0
; COMPUTE_PGM_RSRC2:TIDIG_COMP_CNT: 0
; COMPUTE_PGM_RSRC3_GFX90A:ACCUM_OFFSET: 0
; COMPUTE_PGM_RSRC3_GFX90A:TG_SPLIT: 0
	.section	.text._ZN7rocprim17ROCPRIM_400000_NS6detail17trampoline_kernelINS0_14default_configENS1_35radix_sort_onesweep_config_selectorIjN6thrust23THRUST_200600_302600_NS5tupleIffNS6_9null_typeES8_S8_S8_S8_S8_S8_S8_EEEEZZNS1_29radix_sort_onesweep_iterationIS3_Lb0ENS6_6detail15normal_iteratorINS6_10device_ptrIjEEEESG_NSD_INSE_IS9_EEEESI_jNS0_19identity_decomposerENS1_16block_id_wrapperIjLb1EEEEE10hipError_tT1_PNSt15iterator_traitsISN_E10value_typeET2_T3_PNSO_IST_E10value_typeET4_T5_PSY_SZ_PNS1_23onesweep_lookback_stateEbbT6_jjT7_P12ihipStream_tbENKUlT_T0_SN_SS_E_clISG_PjSI_PS9_EEDaS16_S17_SN_SS_EUlS16_E_NS1_11comp_targetILNS1_3genE6ELNS1_11target_archE950ELNS1_3gpuE13ELNS1_3repE0EEENS1_47radix_sort_onesweep_sort_config_static_selectorELNS0_4arch9wavefront6targetE1EEEvSN_,"axG",@progbits,_ZN7rocprim17ROCPRIM_400000_NS6detail17trampoline_kernelINS0_14default_configENS1_35radix_sort_onesweep_config_selectorIjN6thrust23THRUST_200600_302600_NS5tupleIffNS6_9null_typeES8_S8_S8_S8_S8_S8_S8_EEEEZZNS1_29radix_sort_onesweep_iterationIS3_Lb0ENS6_6detail15normal_iteratorINS6_10device_ptrIjEEEESG_NSD_INSE_IS9_EEEESI_jNS0_19identity_decomposerENS1_16block_id_wrapperIjLb1EEEEE10hipError_tT1_PNSt15iterator_traitsISN_E10value_typeET2_T3_PNSO_IST_E10value_typeET4_T5_PSY_SZ_PNS1_23onesweep_lookback_stateEbbT6_jjT7_P12ihipStream_tbENKUlT_T0_SN_SS_E_clISG_PjSI_PS9_EEDaS16_S17_SN_SS_EUlS16_E_NS1_11comp_targetILNS1_3genE6ELNS1_11target_archE950ELNS1_3gpuE13ELNS1_3repE0EEENS1_47radix_sort_onesweep_sort_config_static_selectorELNS0_4arch9wavefront6targetE1EEEvSN_,comdat
	.protected	_ZN7rocprim17ROCPRIM_400000_NS6detail17trampoline_kernelINS0_14default_configENS1_35radix_sort_onesweep_config_selectorIjN6thrust23THRUST_200600_302600_NS5tupleIffNS6_9null_typeES8_S8_S8_S8_S8_S8_S8_EEEEZZNS1_29radix_sort_onesweep_iterationIS3_Lb0ENS6_6detail15normal_iteratorINS6_10device_ptrIjEEEESG_NSD_INSE_IS9_EEEESI_jNS0_19identity_decomposerENS1_16block_id_wrapperIjLb1EEEEE10hipError_tT1_PNSt15iterator_traitsISN_E10value_typeET2_T3_PNSO_IST_E10value_typeET4_T5_PSY_SZ_PNS1_23onesweep_lookback_stateEbbT6_jjT7_P12ihipStream_tbENKUlT_T0_SN_SS_E_clISG_PjSI_PS9_EEDaS16_S17_SN_SS_EUlS16_E_NS1_11comp_targetILNS1_3genE6ELNS1_11target_archE950ELNS1_3gpuE13ELNS1_3repE0EEENS1_47radix_sort_onesweep_sort_config_static_selectorELNS0_4arch9wavefront6targetE1EEEvSN_ ; -- Begin function _ZN7rocprim17ROCPRIM_400000_NS6detail17trampoline_kernelINS0_14default_configENS1_35radix_sort_onesweep_config_selectorIjN6thrust23THRUST_200600_302600_NS5tupleIffNS6_9null_typeES8_S8_S8_S8_S8_S8_S8_EEEEZZNS1_29radix_sort_onesweep_iterationIS3_Lb0ENS6_6detail15normal_iteratorINS6_10device_ptrIjEEEESG_NSD_INSE_IS9_EEEESI_jNS0_19identity_decomposerENS1_16block_id_wrapperIjLb1EEEEE10hipError_tT1_PNSt15iterator_traitsISN_E10value_typeET2_T3_PNSO_IST_E10value_typeET4_T5_PSY_SZ_PNS1_23onesweep_lookback_stateEbbT6_jjT7_P12ihipStream_tbENKUlT_T0_SN_SS_E_clISG_PjSI_PS9_EEDaS16_S17_SN_SS_EUlS16_E_NS1_11comp_targetILNS1_3genE6ELNS1_11target_archE950ELNS1_3gpuE13ELNS1_3repE0EEENS1_47radix_sort_onesweep_sort_config_static_selectorELNS0_4arch9wavefront6targetE1EEEvSN_
	.globl	_ZN7rocprim17ROCPRIM_400000_NS6detail17trampoline_kernelINS0_14default_configENS1_35radix_sort_onesweep_config_selectorIjN6thrust23THRUST_200600_302600_NS5tupleIffNS6_9null_typeES8_S8_S8_S8_S8_S8_S8_EEEEZZNS1_29radix_sort_onesweep_iterationIS3_Lb0ENS6_6detail15normal_iteratorINS6_10device_ptrIjEEEESG_NSD_INSE_IS9_EEEESI_jNS0_19identity_decomposerENS1_16block_id_wrapperIjLb1EEEEE10hipError_tT1_PNSt15iterator_traitsISN_E10value_typeET2_T3_PNSO_IST_E10value_typeET4_T5_PSY_SZ_PNS1_23onesweep_lookback_stateEbbT6_jjT7_P12ihipStream_tbENKUlT_T0_SN_SS_E_clISG_PjSI_PS9_EEDaS16_S17_SN_SS_EUlS16_E_NS1_11comp_targetILNS1_3genE6ELNS1_11target_archE950ELNS1_3gpuE13ELNS1_3repE0EEENS1_47radix_sort_onesweep_sort_config_static_selectorELNS0_4arch9wavefront6targetE1EEEvSN_
	.p2align	8
	.type	_ZN7rocprim17ROCPRIM_400000_NS6detail17trampoline_kernelINS0_14default_configENS1_35radix_sort_onesweep_config_selectorIjN6thrust23THRUST_200600_302600_NS5tupleIffNS6_9null_typeES8_S8_S8_S8_S8_S8_S8_EEEEZZNS1_29radix_sort_onesweep_iterationIS3_Lb0ENS6_6detail15normal_iteratorINS6_10device_ptrIjEEEESG_NSD_INSE_IS9_EEEESI_jNS0_19identity_decomposerENS1_16block_id_wrapperIjLb1EEEEE10hipError_tT1_PNSt15iterator_traitsISN_E10value_typeET2_T3_PNSO_IST_E10value_typeET4_T5_PSY_SZ_PNS1_23onesweep_lookback_stateEbbT6_jjT7_P12ihipStream_tbENKUlT_T0_SN_SS_E_clISG_PjSI_PS9_EEDaS16_S17_SN_SS_EUlS16_E_NS1_11comp_targetILNS1_3genE6ELNS1_11target_archE950ELNS1_3gpuE13ELNS1_3repE0EEENS1_47radix_sort_onesweep_sort_config_static_selectorELNS0_4arch9wavefront6targetE1EEEvSN_,@function
_ZN7rocprim17ROCPRIM_400000_NS6detail17trampoline_kernelINS0_14default_configENS1_35radix_sort_onesweep_config_selectorIjN6thrust23THRUST_200600_302600_NS5tupleIffNS6_9null_typeES8_S8_S8_S8_S8_S8_S8_EEEEZZNS1_29radix_sort_onesweep_iterationIS3_Lb0ENS6_6detail15normal_iteratorINS6_10device_ptrIjEEEESG_NSD_INSE_IS9_EEEESI_jNS0_19identity_decomposerENS1_16block_id_wrapperIjLb1EEEEE10hipError_tT1_PNSt15iterator_traitsISN_E10value_typeET2_T3_PNSO_IST_E10value_typeET4_T5_PSY_SZ_PNS1_23onesweep_lookback_stateEbbT6_jjT7_P12ihipStream_tbENKUlT_T0_SN_SS_E_clISG_PjSI_PS9_EEDaS16_S17_SN_SS_EUlS16_E_NS1_11comp_targetILNS1_3genE6ELNS1_11target_archE950ELNS1_3gpuE13ELNS1_3repE0EEENS1_47radix_sort_onesweep_sort_config_static_selectorELNS0_4arch9wavefront6targetE1EEEvSN_: ; @_ZN7rocprim17ROCPRIM_400000_NS6detail17trampoline_kernelINS0_14default_configENS1_35radix_sort_onesweep_config_selectorIjN6thrust23THRUST_200600_302600_NS5tupleIffNS6_9null_typeES8_S8_S8_S8_S8_S8_S8_EEEEZZNS1_29radix_sort_onesweep_iterationIS3_Lb0ENS6_6detail15normal_iteratorINS6_10device_ptrIjEEEESG_NSD_INSE_IS9_EEEESI_jNS0_19identity_decomposerENS1_16block_id_wrapperIjLb1EEEEE10hipError_tT1_PNSt15iterator_traitsISN_E10value_typeET2_T3_PNSO_IST_E10value_typeET4_T5_PSY_SZ_PNS1_23onesweep_lookback_stateEbbT6_jjT7_P12ihipStream_tbENKUlT_T0_SN_SS_E_clISG_PjSI_PS9_EEDaS16_S17_SN_SS_EUlS16_E_NS1_11comp_targetILNS1_3genE6ELNS1_11target_archE950ELNS1_3gpuE13ELNS1_3repE0EEENS1_47radix_sort_onesweep_sort_config_static_selectorELNS0_4arch9wavefront6targetE1EEEvSN_
; %bb.0:
	.section	.rodata,"a",@progbits
	.p2align	6, 0x0
	.amdhsa_kernel _ZN7rocprim17ROCPRIM_400000_NS6detail17trampoline_kernelINS0_14default_configENS1_35radix_sort_onesweep_config_selectorIjN6thrust23THRUST_200600_302600_NS5tupleIffNS6_9null_typeES8_S8_S8_S8_S8_S8_S8_EEEEZZNS1_29radix_sort_onesweep_iterationIS3_Lb0ENS6_6detail15normal_iteratorINS6_10device_ptrIjEEEESG_NSD_INSE_IS9_EEEESI_jNS0_19identity_decomposerENS1_16block_id_wrapperIjLb1EEEEE10hipError_tT1_PNSt15iterator_traitsISN_E10value_typeET2_T3_PNSO_IST_E10value_typeET4_T5_PSY_SZ_PNS1_23onesweep_lookback_stateEbbT6_jjT7_P12ihipStream_tbENKUlT_T0_SN_SS_E_clISG_PjSI_PS9_EEDaS16_S17_SN_SS_EUlS16_E_NS1_11comp_targetILNS1_3genE6ELNS1_11target_archE950ELNS1_3gpuE13ELNS1_3repE0EEENS1_47radix_sort_onesweep_sort_config_static_selectorELNS0_4arch9wavefront6targetE1EEEvSN_
		.amdhsa_group_segment_fixed_size 0
		.amdhsa_private_segment_fixed_size 0
		.amdhsa_kernarg_size 88
		.amdhsa_user_sgpr_count 6
		.amdhsa_user_sgpr_private_segment_buffer 1
		.amdhsa_user_sgpr_dispatch_ptr 0
		.amdhsa_user_sgpr_queue_ptr 0
		.amdhsa_user_sgpr_kernarg_segment_ptr 1
		.amdhsa_user_sgpr_dispatch_id 0
		.amdhsa_user_sgpr_flat_scratch_init 0
		.amdhsa_user_sgpr_kernarg_preload_length 0
		.amdhsa_user_sgpr_kernarg_preload_offset 0
		.amdhsa_user_sgpr_private_segment_size 0
		.amdhsa_uses_dynamic_stack 0
		.amdhsa_system_sgpr_private_segment_wavefront_offset 0
		.amdhsa_system_sgpr_workgroup_id_x 1
		.amdhsa_system_sgpr_workgroup_id_y 0
		.amdhsa_system_sgpr_workgroup_id_z 0
		.amdhsa_system_sgpr_workgroup_info 0
		.amdhsa_system_vgpr_workitem_id 0
		.amdhsa_next_free_vgpr 1
		.amdhsa_next_free_sgpr 0
		.amdhsa_accum_offset 4
		.amdhsa_reserve_vcc 0
		.amdhsa_reserve_flat_scratch 0
		.amdhsa_float_round_mode_32 0
		.amdhsa_float_round_mode_16_64 0
		.amdhsa_float_denorm_mode_32 3
		.amdhsa_float_denorm_mode_16_64 3
		.amdhsa_dx10_clamp 1
		.amdhsa_ieee_mode 1
		.amdhsa_fp16_overflow 0
		.amdhsa_tg_split 0
		.amdhsa_exception_fp_ieee_invalid_op 0
		.amdhsa_exception_fp_denorm_src 0
		.amdhsa_exception_fp_ieee_div_zero 0
		.amdhsa_exception_fp_ieee_overflow 0
		.amdhsa_exception_fp_ieee_underflow 0
		.amdhsa_exception_fp_ieee_inexact 0
		.amdhsa_exception_int_div_zero 0
	.end_amdhsa_kernel
	.section	.text._ZN7rocprim17ROCPRIM_400000_NS6detail17trampoline_kernelINS0_14default_configENS1_35radix_sort_onesweep_config_selectorIjN6thrust23THRUST_200600_302600_NS5tupleIffNS6_9null_typeES8_S8_S8_S8_S8_S8_S8_EEEEZZNS1_29radix_sort_onesweep_iterationIS3_Lb0ENS6_6detail15normal_iteratorINS6_10device_ptrIjEEEESG_NSD_INSE_IS9_EEEESI_jNS0_19identity_decomposerENS1_16block_id_wrapperIjLb1EEEEE10hipError_tT1_PNSt15iterator_traitsISN_E10value_typeET2_T3_PNSO_IST_E10value_typeET4_T5_PSY_SZ_PNS1_23onesweep_lookback_stateEbbT6_jjT7_P12ihipStream_tbENKUlT_T0_SN_SS_E_clISG_PjSI_PS9_EEDaS16_S17_SN_SS_EUlS16_E_NS1_11comp_targetILNS1_3genE6ELNS1_11target_archE950ELNS1_3gpuE13ELNS1_3repE0EEENS1_47radix_sort_onesweep_sort_config_static_selectorELNS0_4arch9wavefront6targetE1EEEvSN_,"axG",@progbits,_ZN7rocprim17ROCPRIM_400000_NS6detail17trampoline_kernelINS0_14default_configENS1_35radix_sort_onesweep_config_selectorIjN6thrust23THRUST_200600_302600_NS5tupleIffNS6_9null_typeES8_S8_S8_S8_S8_S8_S8_EEEEZZNS1_29radix_sort_onesweep_iterationIS3_Lb0ENS6_6detail15normal_iteratorINS6_10device_ptrIjEEEESG_NSD_INSE_IS9_EEEESI_jNS0_19identity_decomposerENS1_16block_id_wrapperIjLb1EEEEE10hipError_tT1_PNSt15iterator_traitsISN_E10value_typeET2_T3_PNSO_IST_E10value_typeET4_T5_PSY_SZ_PNS1_23onesweep_lookback_stateEbbT6_jjT7_P12ihipStream_tbENKUlT_T0_SN_SS_E_clISG_PjSI_PS9_EEDaS16_S17_SN_SS_EUlS16_E_NS1_11comp_targetILNS1_3genE6ELNS1_11target_archE950ELNS1_3gpuE13ELNS1_3repE0EEENS1_47radix_sort_onesweep_sort_config_static_selectorELNS0_4arch9wavefront6targetE1EEEvSN_,comdat
.Lfunc_end185:
	.size	_ZN7rocprim17ROCPRIM_400000_NS6detail17trampoline_kernelINS0_14default_configENS1_35radix_sort_onesweep_config_selectorIjN6thrust23THRUST_200600_302600_NS5tupleIffNS6_9null_typeES8_S8_S8_S8_S8_S8_S8_EEEEZZNS1_29radix_sort_onesweep_iterationIS3_Lb0ENS6_6detail15normal_iteratorINS6_10device_ptrIjEEEESG_NSD_INSE_IS9_EEEESI_jNS0_19identity_decomposerENS1_16block_id_wrapperIjLb1EEEEE10hipError_tT1_PNSt15iterator_traitsISN_E10value_typeET2_T3_PNSO_IST_E10value_typeET4_T5_PSY_SZ_PNS1_23onesweep_lookback_stateEbbT6_jjT7_P12ihipStream_tbENKUlT_T0_SN_SS_E_clISG_PjSI_PS9_EEDaS16_S17_SN_SS_EUlS16_E_NS1_11comp_targetILNS1_3genE6ELNS1_11target_archE950ELNS1_3gpuE13ELNS1_3repE0EEENS1_47radix_sort_onesweep_sort_config_static_selectorELNS0_4arch9wavefront6targetE1EEEvSN_, .Lfunc_end185-_ZN7rocprim17ROCPRIM_400000_NS6detail17trampoline_kernelINS0_14default_configENS1_35radix_sort_onesweep_config_selectorIjN6thrust23THRUST_200600_302600_NS5tupleIffNS6_9null_typeES8_S8_S8_S8_S8_S8_S8_EEEEZZNS1_29radix_sort_onesweep_iterationIS3_Lb0ENS6_6detail15normal_iteratorINS6_10device_ptrIjEEEESG_NSD_INSE_IS9_EEEESI_jNS0_19identity_decomposerENS1_16block_id_wrapperIjLb1EEEEE10hipError_tT1_PNSt15iterator_traitsISN_E10value_typeET2_T3_PNSO_IST_E10value_typeET4_T5_PSY_SZ_PNS1_23onesweep_lookback_stateEbbT6_jjT7_P12ihipStream_tbENKUlT_T0_SN_SS_E_clISG_PjSI_PS9_EEDaS16_S17_SN_SS_EUlS16_E_NS1_11comp_targetILNS1_3genE6ELNS1_11target_archE950ELNS1_3gpuE13ELNS1_3repE0EEENS1_47radix_sort_onesweep_sort_config_static_selectorELNS0_4arch9wavefront6targetE1EEEvSN_
                                        ; -- End function
	.section	.AMDGPU.csdata,"",@progbits
; Kernel info:
; codeLenInByte = 0
; NumSgprs: 4
; NumVgprs: 0
; NumAgprs: 0
; TotalNumVgprs: 0
; ScratchSize: 0
; MemoryBound: 0
; FloatMode: 240
; IeeeMode: 1
; LDSByteSize: 0 bytes/workgroup (compile time only)
; SGPRBlocks: 0
; VGPRBlocks: 0
; NumSGPRsForWavesPerEU: 4
; NumVGPRsForWavesPerEU: 1
; AccumOffset: 4
; Occupancy: 8
; WaveLimiterHint : 0
; COMPUTE_PGM_RSRC2:SCRATCH_EN: 0
; COMPUTE_PGM_RSRC2:USER_SGPR: 6
; COMPUTE_PGM_RSRC2:TRAP_HANDLER: 0
; COMPUTE_PGM_RSRC2:TGID_X_EN: 1
; COMPUTE_PGM_RSRC2:TGID_Y_EN: 0
; COMPUTE_PGM_RSRC2:TGID_Z_EN: 0
; COMPUTE_PGM_RSRC2:TIDIG_COMP_CNT: 0
; COMPUTE_PGM_RSRC3_GFX90A:ACCUM_OFFSET: 0
; COMPUTE_PGM_RSRC3_GFX90A:TG_SPLIT: 0
	.section	.text._ZN7rocprim17ROCPRIM_400000_NS6detail17trampoline_kernelINS0_14default_configENS1_35radix_sort_onesweep_config_selectorIjN6thrust23THRUST_200600_302600_NS5tupleIffNS6_9null_typeES8_S8_S8_S8_S8_S8_S8_EEEEZZNS1_29radix_sort_onesweep_iterationIS3_Lb0ENS6_6detail15normal_iteratorINS6_10device_ptrIjEEEESG_NSD_INSE_IS9_EEEESI_jNS0_19identity_decomposerENS1_16block_id_wrapperIjLb1EEEEE10hipError_tT1_PNSt15iterator_traitsISN_E10value_typeET2_T3_PNSO_IST_E10value_typeET4_T5_PSY_SZ_PNS1_23onesweep_lookback_stateEbbT6_jjT7_P12ihipStream_tbENKUlT_T0_SN_SS_E_clISG_PjSI_PS9_EEDaS16_S17_SN_SS_EUlS16_E_NS1_11comp_targetILNS1_3genE5ELNS1_11target_archE942ELNS1_3gpuE9ELNS1_3repE0EEENS1_47radix_sort_onesweep_sort_config_static_selectorELNS0_4arch9wavefront6targetE1EEEvSN_,"axG",@progbits,_ZN7rocprim17ROCPRIM_400000_NS6detail17trampoline_kernelINS0_14default_configENS1_35radix_sort_onesweep_config_selectorIjN6thrust23THRUST_200600_302600_NS5tupleIffNS6_9null_typeES8_S8_S8_S8_S8_S8_S8_EEEEZZNS1_29radix_sort_onesweep_iterationIS3_Lb0ENS6_6detail15normal_iteratorINS6_10device_ptrIjEEEESG_NSD_INSE_IS9_EEEESI_jNS0_19identity_decomposerENS1_16block_id_wrapperIjLb1EEEEE10hipError_tT1_PNSt15iterator_traitsISN_E10value_typeET2_T3_PNSO_IST_E10value_typeET4_T5_PSY_SZ_PNS1_23onesweep_lookback_stateEbbT6_jjT7_P12ihipStream_tbENKUlT_T0_SN_SS_E_clISG_PjSI_PS9_EEDaS16_S17_SN_SS_EUlS16_E_NS1_11comp_targetILNS1_3genE5ELNS1_11target_archE942ELNS1_3gpuE9ELNS1_3repE0EEENS1_47radix_sort_onesweep_sort_config_static_selectorELNS0_4arch9wavefront6targetE1EEEvSN_,comdat
	.protected	_ZN7rocprim17ROCPRIM_400000_NS6detail17trampoline_kernelINS0_14default_configENS1_35radix_sort_onesweep_config_selectorIjN6thrust23THRUST_200600_302600_NS5tupleIffNS6_9null_typeES8_S8_S8_S8_S8_S8_S8_EEEEZZNS1_29radix_sort_onesweep_iterationIS3_Lb0ENS6_6detail15normal_iteratorINS6_10device_ptrIjEEEESG_NSD_INSE_IS9_EEEESI_jNS0_19identity_decomposerENS1_16block_id_wrapperIjLb1EEEEE10hipError_tT1_PNSt15iterator_traitsISN_E10value_typeET2_T3_PNSO_IST_E10value_typeET4_T5_PSY_SZ_PNS1_23onesweep_lookback_stateEbbT6_jjT7_P12ihipStream_tbENKUlT_T0_SN_SS_E_clISG_PjSI_PS9_EEDaS16_S17_SN_SS_EUlS16_E_NS1_11comp_targetILNS1_3genE5ELNS1_11target_archE942ELNS1_3gpuE9ELNS1_3repE0EEENS1_47radix_sort_onesweep_sort_config_static_selectorELNS0_4arch9wavefront6targetE1EEEvSN_ ; -- Begin function _ZN7rocprim17ROCPRIM_400000_NS6detail17trampoline_kernelINS0_14default_configENS1_35radix_sort_onesweep_config_selectorIjN6thrust23THRUST_200600_302600_NS5tupleIffNS6_9null_typeES8_S8_S8_S8_S8_S8_S8_EEEEZZNS1_29radix_sort_onesweep_iterationIS3_Lb0ENS6_6detail15normal_iteratorINS6_10device_ptrIjEEEESG_NSD_INSE_IS9_EEEESI_jNS0_19identity_decomposerENS1_16block_id_wrapperIjLb1EEEEE10hipError_tT1_PNSt15iterator_traitsISN_E10value_typeET2_T3_PNSO_IST_E10value_typeET4_T5_PSY_SZ_PNS1_23onesweep_lookback_stateEbbT6_jjT7_P12ihipStream_tbENKUlT_T0_SN_SS_E_clISG_PjSI_PS9_EEDaS16_S17_SN_SS_EUlS16_E_NS1_11comp_targetILNS1_3genE5ELNS1_11target_archE942ELNS1_3gpuE9ELNS1_3repE0EEENS1_47radix_sort_onesweep_sort_config_static_selectorELNS0_4arch9wavefront6targetE1EEEvSN_
	.globl	_ZN7rocprim17ROCPRIM_400000_NS6detail17trampoline_kernelINS0_14default_configENS1_35radix_sort_onesweep_config_selectorIjN6thrust23THRUST_200600_302600_NS5tupleIffNS6_9null_typeES8_S8_S8_S8_S8_S8_S8_EEEEZZNS1_29radix_sort_onesweep_iterationIS3_Lb0ENS6_6detail15normal_iteratorINS6_10device_ptrIjEEEESG_NSD_INSE_IS9_EEEESI_jNS0_19identity_decomposerENS1_16block_id_wrapperIjLb1EEEEE10hipError_tT1_PNSt15iterator_traitsISN_E10value_typeET2_T3_PNSO_IST_E10value_typeET4_T5_PSY_SZ_PNS1_23onesweep_lookback_stateEbbT6_jjT7_P12ihipStream_tbENKUlT_T0_SN_SS_E_clISG_PjSI_PS9_EEDaS16_S17_SN_SS_EUlS16_E_NS1_11comp_targetILNS1_3genE5ELNS1_11target_archE942ELNS1_3gpuE9ELNS1_3repE0EEENS1_47radix_sort_onesweep_sort_config_static_selectorELNS0_4arch9wavefront6targetE1EEEvSN_
	.p2align	8
	.type	_ZN7rocprim17ROCPRIM_400000_NS6detail17trampoline_kernelINS0_14default_configENS1_35radix_sort_onesweep_config_selectorIjN6thrust23THRUST_200600_302600_NS5tupleIffNS6_9null_typeES8_S8_S8_S8_S8_S8_S8_EEEEZZNS1_29radix_sort_onesweep_iterationIS3_Lb0ENS6_6detail15normal_iteratorINS6_10device_ptrIjEEEESG_NSD_INSE_IS9_EEEESI_jNS0_19identity_decomposerENS1_16block_id_wrapperIjLb1EEEEE10hipError_tT1_PNSt15iterator_traitsISN_E10value_typeET2_T3_PNSO_IST_E10value_typeET4_T5_PSY_SZ_PNS1_23onesweep_lookback_stateEbbT6_jjT7_P12ihipStream_tbENKUlT_T0_SN_SS_E_clISG_PjSI_PS9_EEDaS16_S17_SN_SS_EUlS16_E_NS1_11comp_targetILNS1_3genE5ELNS1_11target_archE942ELNS1_3gpuE9ELNS1_3repE0EEENS1_47radix_sort_onesweep_sort_config_static_selectorELNS0_4arch9wavefront6targetE1EEEvSN_,@function
_ZN7rocprim17ROCPRIM_400000_NS6detail17trampoline_kernelINS0_14default_configENS1_35radix_sort_onesweep_config_selectorIjN6thrust23THRUST_200600_302600_NS5tupleIffNS6_9null_typeES8_S8_S8_S8_S8_S8_S8_EEEEZZNS1_29radix_sort_onesweep_iterationIS3_Lb0ENS6_6detail15normal_iteratorINS6_10device_ptrIjEEEESG_NSD_INSE_IS9_EEEESI_jNS0_19identity_decomposerENS1_16block_id_wrapperIjLb1EEEEE10hipError_tT1_PNSt15iterator_traitsISN_E10value_typeET2_T3_PNSO_IST_E10value_typeET4_T5_PSY_SZ_PNS1_23onesweep_lookback_stateEbbT6_jjT7_P12ihipStream_tbENKUlT_T0_SN_SS_E_clISG_PjSI_PS9_EEDaS16_S17_SN_SS_EUlS16_E_NS1_11comp_targetILNS1_3genE5ELNS1_11target_archE942ELNS1_3gpuE9ELNS1_3repE0EEENS1_47radix_sort_onesweep_sort_config_static_selectorELNS0_4arch9wavefront6targetE1EEEvSN_: ; @_ZN7rocprim17ROCPRIM_400000_NS6detail17trampoline_kernelINS0_14default_configENS1_35radix_sort_onesweep_config_selectorIjN6thrust23THRUST_200600_302600_NS5tupleIffNS6_9null_typeES8_S8_S8_S8_S8_S8_S8_EEEEZZNS1_29radix_sort_onesweep_iterationIS3_Lb0ENS6_6detail15normal_iteratorINS6_10device_ptrIjEEEESG_NSD_INSE_IS9_EEEESI_jNS0_19identity_decomposerENS1_16block_id_wrapperIjLb1EEEEE10hipError_tT1_PNSt15iterator_traitsISN_E10value_typeET2_T3_PNSO_IST_E10value_typeET4_T5_PSY_SZ_PNS1_23onesweep_lookback_stateEbbT6_jjT7_P12ihipStream_tbENKUlT_T0_SN_SS_E_clISG_PjSI_PS9_EEDaS16_S17_SN_SS_EUlS16_E_NS1_11comp_targetILNS1_3genE5ELNS1_11target_archE942ELNS1_3gpuE9ELNS1_3repE0EEENS1_47radix_sort_onesweep_sort_config_static_selectorELNS0_4arch9wavefront6targetE1EEEvSN_
; %bb.0:
	.section	.rodata,"a",@progbits
	.p2align	6, 0x0
	.amdhsa_kernel _ZN7rocprim17ROCPRIM_400000_NS6detail17trampoline_kernelINS0_14default_configENS1_35radix_sort_onesweep_config_selectorIjN6thrust23THRUST_200600_302600_NS5tupleIffNS6_9null_typeES8_S8_S8_S8_S8_S8_S8_EEEEZZNS1_29radix_sort_onesweep_iterationIS3_Lb0ENS6_6detail15normal_iteratorINS6_10device_ptrIjEEEESG_NSD_INSE_IS9_EEEESI_jNS0_19identity_decomposerENS1_16block_id_wrapperIjLb1EEEEE10hipError_tT1_PNSt15iterator_traitsISN_E10value_typeET2_T3_PNSO_IST_E10value_typeET4_T5_PSY_SZ_PNS1_23onesweep_lookback_stateEbbT6_jjT7_P12ihipStream_tbENKUlT_T0_SN_SS_E_clISG_PjSI_PS9_EEDaS16_S17_SN_SS_EUlS16_E_NS1_11comp_targetILNS1_3genE5ELNS1_11target_archE942ELNS1_3gpuE9ELNS1_3repE0EEENS1_47radix_sort_onesweep_sort_config_static_selectorELNS0_4arch9wavefront6targetE1EEEvSN_
		.amdhsa_group_segment_fixed_size 0
		.amdhsa_private_segment_fixed_size 0
		.amdhsa_kernarg_size 88
		.amdhsa_user_sgpr_count 6
		.amdhsa_user_sgpr_private_segment_buffer 1
		.amdhsa_user_sgpr_dispatch_ptr 0
		.amdhsa_user_sgpr_queue_ptr 0
		.amdhsa_user_sgpr_kernarg_segment_ptr 1
		.amdhsa_user_sgpr_dispatch_id 0
		.amdhsa_user_sgpr_flat_scratch_init 0
		.amdhsa_user_sgpr_kernarg_preload_length 0
		.amdhsa_user_sgpr_kernarg_preload_offset 0
		.amdhsa_user_sgpr_private_segment_size 0
		.amdhsa_uses_dynamic_stack 0
		.amdhsa_system_sgpr_private_segment_wavefront_offset 0
		.amdhsa_system_sgpr_workgroup_id_x 1
		.amdhsa_system_sgpr_workgroup_id_y 0
		.amdhsa_system_sgpr_workgroup_id_z 0
		.amdhsa_system_sgpr_workgroup_info 0
		.amdhsa_system_vgpr_workitem_id 0
		.amdhsa_next_free_vgpr 1
		.amdhsa_next_free_sgpr 0
		.amdhsa_accum_offset 4
		.amdhsa_reserve_vcc 0
		.amdhsa_reserve_flat_scratch 0
		.amdhsa_float_round_mode_32 0
		.amdhsa_float_round_mode_16_64 0
		.amdhsa_float_denorm_mode_32 3
		.amdhsa_float_denorm_mode_16_64 3
		.amdhsa_dx10_clamp 1
		.amdhsa_ieee_mode 1
		.amdhsa_fp16_overflow 0
		.amdhsa_tg_split 0
		.amdhsa_exception_fp_ieee_invalid_op 0
		.amdhsa_exception_fp_denorm_src 0
		.amdhsa_exception_fp_ieee_div_zero 0
		.amdhsa_exception_fp_ieee_overflow 0
		.amdhsa_exception_fp_ieee_underflow 0
		.amdhsa_exception_fp_ieee_inexact 0
		.amdhsa_exception_int_div_zero 0
	.end_amdhsa_kernel
	.section	.text._ZN7rocprim17ROCPRIM_400000_NS6detail17trampoline_kernelINS0_14default_configENS1_35radix_sort_onesweep_config_selectorIjN6thrust23THRUST_200600_302600_NS5tupleIffNS6_9null_typeES8_S8_S8_S8_S8_S8_S8_EEEEZZNS1_29radix_sort_onesweep_iterationIS3_Lb0ENS6_6detail15normal_iteratorINS6_10device_ptrIjEEEESG_NSD_INSE_IS9_EEEESI_jNS0_19identity_decomposerENS1_16block_id_wrapperIjLb1EEEEE10hipError_tT1_PNSt15iterator_traitsISN_E10value_typeET2_T3_PNSO_IST_E10value_typeET4_T5_PSY_SZ_PNS1_23onesweep_lookback_stateEbbT6_jjT7_P12ihipStream_tbENKUlT_T0_SN_SS_E_clISG_PjSI_PS9_EEDaS16_S17_SN_SS_EUlS16_E_NS1_11comp_targetILNS1_3genE5ELNS1_11target_archE942ELNS1_3gpuE9ELNS1_3repE0EEENS1_47radix_sort_onesweep_sort_config_static_selectorELNS0_4arch9wavefront6targetE1EEEvSN_,"axG",@progbits,_ZN7rocprim17ROCPRIM_400000_NS6detail17trampoline_kernelINS0_14default_configENS1_35radix_sort_onesweep_config_selectorIjN6thrust23THRUST_200600_302600_NS5tupleIffNS6_9null_typeES8_S8_S8_S8_S8_S8_S8_EEEEZZNS1_29radix_sort_onesweep_iterationIS3_Lb0ENS6_6detail15normal_iteratorINS6_10device_ptrIjEEEESG_NSD_INSE_IS9_EEEESI_jNS0_19identity_decomposerENS1_16block_id_wrapperIjLb1EEEEE10hipError_tT1_PNSt15iterator_traitsISN_E10value_typeET2_T3_PNSO_IST_E10value_typeET4_T5_PSY_SZ_PNS1_23onesweep_lookback_stateEbbT6_jjT7_P12ihipStream_tbENKUlT_T0_SN_SS_E_clISG_PjSI_PS9_EEDaS16_S17_SN_SS_EUlS16_E_NS1_11comp_targetILNS1_3genE5ELNS1_11target_archE942ELNS1_3gpuE9ELNS1_3repE0EEENS1_47radix_sort_onesweep_sort_config_static_selectorELNS0_4arch9wavefront6targetE1EEEvSN_,comdat
.Lfunc_end186:
	.size	_ZN7rocprim17ROCPRIM_400000_NS6detail17trampoline_kernelINS0_14default_configENS1_35radix_sort_onesweep_config_selectorIjN6thrust23THRUST_200600_302600_NS5tupleIffNS6_9null_typeES8_S8_S8_S8_S8_S8_S8_EEEEZZNS1_29radix_sort_onesweep_iterationIS3_Lb0ENS6_6detail15normal_iteratorINS6_10device_ptrIjEEEESG_NSD_INSE_IS9_EEEESI_jNS0_19identity_decomposerENS1_16block_id_wrapperIjLb1EEEEE10hipError_tT1_PNSt15iterator_traitsISN_E10value_typeET2_T3_PNSO_IST_E10value_typeET4_T5_PSY_SZ_PNS1_23onesweep_lookback_stateEbbT6_jjT7_P12ihipStream_tbENKUlT_T0_SN_SS_E_clISG_PjSI_PS9_EEDaS16_S17_SN_SS_EUlS16_E_NS1_11comp_targetILNS1_3genE5ELNS1_11target_archE942ELNS1_3gpuE9ELNS1_3repE0EEENS1_47radix_sort_onesweep_sort_config_static_selectorELNS0_4arch9wavefront6targetE1EEEvSN_, .Lfunc_end186-_ZN7rocprim17ROCPRIM_400000_NS6detail17trampoline_kernelINS0_14default_configENS1_35radix_sort_onesweep_config_selectorIjN6thrust23THRUST_200600_302600_NS5tupleIffNS6_9null_typeES8_S8_S8_S8_S8_S8_S8_EEEEZZNS1_29radix_sort_onesweep_iterationIS3_Lb0ENS6_6detail15normal_iteratorINS6_10device_ptrIjEEEESG_NSD_INSE_IS9_EEEESI_jNS0_19identity_decomposerENS1_16block_id_wrapperIjLb1EEEEE10hipError_tT1_PNSt15iterator_traitsISN_E10value_typeET2_T3_PNSO_IST_E10value_typeET4_T5_PSY_SZ_PNS1_23onesweep_lookback_stateEbbT6_jjT7_P12ihipStream_tbENKUlT_T0_SN_SS_E_clISG_PjSI_PS9_EEDaS16_S17_SN_SS_EUlS16_E_NS1_11comp_targetILNS1_3genE5ELNS1_11target_archE942ELNS1_3gpuE9ELNS1_3repE0EEENS1_47radix_sort_onesweep_sort_config_static_selectorELNS0_4arch9wavefront6targetE1EEEvSN_
                                        ; -- End function
	.section	.AMDGPU.csdata,"",@progbits
; Kernel info:
; codeLenInByte = 0
; NumSgprs: 4
; NumVgprs: 0
; NumAgprs: 0
; TotalNumVgprs: 0
; ScratchSize: 0
; MemoryBound: 0
; FloatMode: 240
; IeeeMode: 1
; LDSByteSize: 0 bytes/workgroup (compile time only)
; SGPRBlocks: 0
; VGPRBlocks: 0
; NumSGPRsForWavesPerEU: 4
; NumVGPRsForWavesPerEU: 1
; AccumOffset: 4
; Occupancy: 8
; WaveLimiterHint : 0
; COMPUTE_PGM_RSRC2:SCRATCH_EN: 0
; COMPUTE_PGM_RSRC2:USER_SGPR: 6
; COMPUTE_PGM_RSRC2:TRAP_HANDLER: 0
; COMPUTE_PGM_RSRC2:TGID_X_EN: 1
; COMPUTE_PGM_RSRC2:TGID_Y_EN: 0
; COMPUTE_PGM_RSRC2:TGID_Z_EN: 0
; COMPUTE_PGM_RSRC2:TIDIG_COMP_CNT: 0
; COMPUTE_PGM_RSRC3_GFX90A:ACCUM_OFFSET: 0
; COMPUTE_PGM_RSRC3_GFX90A:TG_SPLIT: 0
	.section	.text._ZN7rocprim17ROCPRIM_400000_NS6detail17trampoline_kernelINS0_14default_configENS1_35radix_sort_onesweep_config_selectorIjN6thrust23THRUST_200600_302600_NS5tupleIffNS6_9null_typeES8_S8_S8_S8_S8_S8_S8_EEEEZZNS1_29radix_sort_onesweep_iterationIS3_Lb0ENS6_6detail15normal_iteratorINS6_10device_ptrIjEEEESG_NSD_INSE_IS9_EEEESI_jNS0_19identity_decomposerENS1_16block_id_wrapperIjLb1EEEEE10hipError_tT1_PNSt15iterator_traitsISN_E10value_typeET2_T3_PNSO_IST_E10value_typeET4_T5_PSY_SZ_PNS1_23onesweep_lookback_stateEbbT6_jjT7_P12ihipStream_tbENKUlT_T0_SN_SS_E_clISG_PjSI_PS9_EEDaS16_S17_SN_SS_EUlS16_E_NS1_11comp_targetILNS1_3genE2ELNS1_11target_archE906ELNS1_3gpuE6ELNS1_3repE0EEENS1_47radix_sort_onesweep_sort_config_static_selectorELNS0_4arch9wavefront6targetE1EEEvSN_,"axG",@progbits,_ZN7rocprim17ROCPRIM_400000_NS6detail17trampoline_kernelINS0_14default_configENS1_35radix_sort_onesweep_config_selectorIjN6thrust23THRUST_200600_302600_NS5tupleIffNS6_9null_typeES8_S8_S8_S8_S8_S8_S8_EEEEZZNS1_29radix_sort_onesweep_iterationIS3_Lb0ENS6_6detail15normal_iteratorINS6_10device_ptrIjEEEESG_NSD_INSE_IS9_EEEESI_jNS0_19identity_decomposerENS1_16block_id_wrapperIjLb1EEEEE10hipError_tT1_PNSt15iterator_traitsISN_E10value_typeET2_T3_PNSO_IST_E10value_typeET4_T5_PSY_SZ_PNS1_23onesweep_lookback_stateEbbT6_jjT7_P12ihipStream_tbENKUlT_T0_SN_SS_E_clISG_PjSI_PS9_EEDaS16_S17_SN_SS_EUlS16_E_NS1_11comp_targetILNS1_3genE2ELNS1_11target_archE906ELNS1_3gpuE6ELNS1_3repE0EEENS1_47radix_sort_onesweep_sort_config_static_selectorELNS0_4arch9wavefront6targetE1EEEvSN_,comdat
	.protected	_ZN7rocprim17ROCPRIM_400000_NS6detail17trampoline_kernelINS0_14default_configENS1_35radix_sort_onesweep_config_selectorIjN6thrust23THRUST_200600_302600_NS5tupleIffNS6_9null_typeES8_S8_S8_S8_S8_S8_S8_EEEEZZNS1_29radix_sort_onesweep_iterationIS3_Lb0ENS6_6detail15normal_iteratorINS6_10device_ptrIjEEEESG_NSD_INSE_IS9_EEEESI_jNS0_19identity_decomposerENS1_16block_id_wrapperIjLb1EEEEE10hipError_tT1_PNSt15iterator_traitsISN_E10value_typeET2_T3_PNSO_IST_E10value_typeET4_T5_PSY_SZ_PNS1_23onesweep_lookback_stateEbbT6_jjT7_P12ihipStream_tbENKUlT_T0_SN_SS_E_clISG_PjSI_PS9_EEDaS16_S17_SN_SS_EUlS16_E_NS1_11comp_targetILNS1_3genE2ELNS1_11target_archE906ELNS1_3gpuE6ELNS1_3repE0EEENS1_47radix_sort_onesweep_sort_config_static_selectorELNS0_4arch9wavefront6targetE1EEEvSN_ ; -- Begin function _ZN7rocprim17ROCPRIM_400000_NS6detail17trampoline_kernelINS0_14default_configENS1_35radix_sort_onesweep_config_selectorIjN6thrust23THRUST_200600_302600_NS5tupleIffNS6_9null_typeES8_S8_S8_S8_S8_S8_S8_EEEEZZNS1_29radix_sort_onesweep_iterationIS3_Lb0ENS6_6detail15normal_iteratorINS6_10device_ptrIjEEEESG_NSD_INSE_IS9_EEEESI_jNS0_19identity_decomposerENS1_16block_id_wrapperIjLb1EEEEE10hipError_tT1_PNSt15iterator_traitsISN_E10value_typeET2_T3_PNSO_IST_E10value_typeET4_T5_PSY_SZ_PNS1_23onesweep_lookback_stateEbbT6_jjT7_P12ihipStream_tbENKUlT_T0_SN_SS_E_clISG_PjSI_PS9_EEDaS16_S17_SN_SS_EUlS16_E_NS1_11comp_targetILNS1_3genE2ELNS1_11target_archE906ELNS1_3gpuE6ELNS1_3repE0EEENS1_47radix_sort_onesweep_sort_config_static_selectorELNS0_4arch9wavefront6targetE1EEEvSN_
	.globl	_ZN7rocprim17ROCPRIM_400000_NS6detail17trampoline_kernelINS0_14default_configENS1_35radix_sort_onesweep_config_selectorIjN6thrust23THRUST_200600_302600_NS5tupleIffNS6_9null_typeES8_S8_S8_S8_S8_S8_S8_EEEEZZNS1_29radix_sort_onesweep_iterationIS3_Lb0ENS6_6detail15normal_iteratorINS6_10device_ptrIjEEEESG_NSD_INSE_IS9_EEEESI_jNS0_19identity_decomposerENS1_16block_id_wrapperIjLb1EEEEE10hipError_tT1_PNSt15iterator_traitsISN_E10value_typeET2_T3_PNSO_IST_E10value_typeET4_T5_PSY_SZ_PNS1_23onesweep_lookback_stateEbbT6_jjT7_P12ihipStream_tbENKUlT_T0_SN_SS_E_clISG_PjSI_PS9_EEDaS16_S17_SN_SS_EUlS16_E_NS1_11comp_targetILNS1_3genE2ELNS1_11target_archE906ELNS1_3gpuE6ELNS1_3repE0EEENS1_47radix_sort_onesweep_sort_config_static_selectorELNS0_4arch9wavefront6targetE1EEEvSN_
	.p2align	8
	.type	_ZN7rocprim17ROCPRIM_400000_NS6detail17trampoline_kernelINS0_14default_configENS1_35radix_sort_onesweep_config_selectorIjN6thrust23THRUST_200600_302600_NS5tupleIffNS6_9null_typeES8_S8_S8_S8_S8_S8_S8_EEEEZZNS1_29radix_sort_onesweep_iterationIS3_Lb0ENS6_6detail15normal_iteratorINS6_10device_ptrIjEEEESG_NSD_INSE_IS9_EEEESI_jNS0_19identity_decomposerENS1_16block_id_wrapperIjLb1EEEEE10hipError_tT1_PNSt15iterator_traitsISN_E10value_typeET2_T3_PNSO_IST_E10value_typeET4_T5_PSY_SZ_PNS1_23onesweep_lookback_stateEbbT6_jjT7_P12ihipStream_tbENKUlT_T0_SN_SS_E_clISG_PjSI_PS9_EEDaS16_S17_SN_SS_EUlS16_E_NS1_11comp_targetILNS1_3genE2ELNS1_11target_archE906ELNS1_3gpuE6ELNS1_3repE0EEENS1_47radix_sort_onesweep_sort_config_static_selectorELNS0_4arch9wavefront6targetE1EEEvSN_,@function
_ZN7rocprim17ROCPRIM_400000_NS6detail17trampoline_kernelINS0_14default_configENS1_35radix_sort_onesweep_config_selectorIjN6thrust23THRUST_200600_302600_NS5tupleIffNS6_9null_typeES8_S8_S8_S8_S8_S8_S8_EEEEZZNS1_29radix_sort_onesweep_iterationIS3_Lb0ENS6_6detail15normal_iteratorINS6_10device_ptrIjEEEESG_NSD_INSE_IS9_EEEESI_jNS0_19identity_decomposerENS1_16block_id_wrapperIjLb1EEEEE10hipError_tT1_PNSt15iterator_traitsISN_E10value_typeET2_T3_PNSO_IST_E10value_typeET4_T5_PSY_SZ_PNS1_23onesweep_lookback_stateEbbT6_jjT7_P12ihipStream_tbENKUlT_T0_SN_SS_E_clISG_PjSI_PS9_EEDaS16_S17_SN_SS_EUlS16_E_NS1_11comp_targetILNS1_3genE2ELNS1_11target_archE906ELNS1_3gpuE6ELNS1_3repE0EEENS1_47radix_sort_onesweep_sort_config_static_selectorELNS0_4arch9wavefront6targetE1EEEvSN_: ; @_ZN7rocprim17ROCPRIM_400000_NS6detail17trampoline_kernelINS0_14default_configENS1_35radix_sort_onesweep_config_selectorIjN6thrust23THRUST_200600_302600_NS5tupleIffNS6_9null_typeES8_S8_S8_S8_S8_S8_S8_EEEEZZNS1_29radix_sort_onesweep_iterationIS3_Lb0ENS6_6detail15normal_iteratorINS6_10device_ptrIjEEEESG_NSD_INSE_IS9_EEEESI_jNS0_19identity_decomposerENS1_16block_id_wrapperIjLb1EEEEE10hipError_tT1_PNSt15iterator_traitsISN_E10value_typeET2_T3_PNSO_IST_E10value_typeET4_T5_PSY_SZ_PNS1_23onesweep_lookback_stateEbbT6_jjT7_P12ihipStream_tbENKUlT_T0_SN_SS_E_clISG_PjSI_PS9_EEDaS16_S17_SN_SS_EUlS16_E_NS1_11comp_targetILNS1_3genE2ELNS1_11target_archE906ELNS1_3gpuE6ELNS1_3repE0EEENS1_47radix_sort_onesweep_sort_config_static_selectorELNS0_4arch9wavefront6targetE1EEEvSN_
; %bb.0:
	.section	.rodata,"a",@progbits
	.p2align	6, 0x0
	.amdhsa_kernel _ZN7rocprim17ROCPRIM_400000_NS6detail17trampoline_kernelINS0_14default_configENS1_35radix_sort_onesweep_config_selectorIjN6thrust23THRUST_200600_302600_NS5tupleIffNS6_9null_typeES8_S8_S8_S8_S8_S8_S8_EEEEZZNS1_29radix_sort_onesweep_iterationIS3_Lb0ENS6_6detail15normal_iteratorINS6_10device_ptrIjEEEESG_NSD_INSE_IS9_EEEESI_jNS0_19identity_decomposerENS1_16block_id_wrapperIjLb1EEEEE10hipError_tT1_PNSt15iterator_traitsISN_E10value_typeET2_T3_PNSO_IST_E10value_typeET4_T5_PSY_SZ_PNS1_23onesweep_lookback_stateEbbT6_jjT7_P12ihipStream_tbENKUlT_T0_SN_SS_E_clISG_PjSI_PS9_EEDaS16_S17_SN_SS_EUlS16_E_NS1_11comp_targetILNS1_3genE2ELNS1_11target_archE906ELNS1_3gpuE6ELNS1_3repE0EEENS1_47radix_sort_onesweep_sort_config_static_selectorELNS0_4arch9wavefront6targetE1EEEvSN_
		.amdhsa_group_segment_fixed_size 0
		.amdhsa_private_segment_fixed_size 0
		.amdhsa_kernarg_size 88
		.amdhsa_user_sgpr_count 6
		.amdhsa_user_sgpr_private_segment_buffer 1
		.amdhsa_user_sgpr_dispatch_ptr 0
		.amdhsa_user_sgpr_queue_ptr 0
		.amdhsa_user_sgpr_kernarg_segment_ptr 1
		.amdhsa_user_sgpr_dispatch_id 0
		.amdhsa_user_sgpr_flat_scratch_init 0
		.amdhsa_user_sgpr_kernarg_preload_length 0
		.amdhsa_user_sgpr_kernarg_preload_offset 0
		.amdhsa_user_sgpr_private_segment_size 0
		.amdhsa_uses_dynamic_stack 0
		.amdhsa_system_sgpr_private_segment_wavefront_offset 0
		.amdhsa_system_sgpr_workgroup_id_x 1
		.amdhsa_system_sgpr_workgroup_id_y 0
		.amdhsa_system_sgpr_workgroup_id_z 0
		.amdhsa_system_sgpr_workgroup_info 0
		.amdhsa_system_vgpr_workitem_id 0
		.amdhsa_next_free_vgpr 1
		.amdhsa_next_free_sgpr 0
		.amdhsa_accum_offset 4
		.amdhsa_reserve_vcc 0
		.amdhsa_reserve_flat_scratch 0
		.amdhsa_float_round_mode_32 0
		.amdhsa_float_round_mode_16_64 0
		.amdhsa_float_denorm_mode_32 3
		.amdhsa_float_denorm_mode_16_64 3
		.amdhsa_dx10_clamp 1
		.amdhsa_ieee_mode 1
		.amdhsa_fp16_overflow 0
		.amdhsa_tg_split 0
		.amdhsa_exception_fp_ieee_invalid_op 0
		.amdhsa_exception_fp_denorm_src 0
		.amdhsa_exception_fp_ieee_div_zero 0
		.amdhsa_exception_fp_ieee_overflow 0
		.amdhsa_exception_fp_ieee_underflow 0
		.amdhsa_exception_fp_ieee_inexact 0
		.amdhsa_exception_int_div_zero 0
	.end_amdhsa_kernel
	.section	.text._ZN7rocprim17ROCPRIM_400000_NS6detail17trampoline_kernelINS0_14default_configENS1_35radix_sort_onesweep_config_selectorIjN6thrust23THRUST_200600_302600_NS5tupleIffNS6_9null_typeES8_S8_S8_S8_S8_S8_S8_EEEEZZNS1_29radix_sort_onesweep_iterationIS3_Lb0ENS6_6detail15normal_iteratorINS6_10device_ptrIjEEEESG_NSD_INSE_IS9_EEEESI_jNS0_19identity_decomposerENS1_16block_id_wrapperIjLb1EEEEE10hipError_tT1_PNSt15iterator_traitsISN_E10value_typeET2_T3_PNSO_IST_E10value_typeET4_T5_PSY_SZ_PNS1_23onesweep_lookback_stateEbbT6_jjT7_P12ihipStream_tbENKUlT_T0_SN_SS_E_clISG_PjSI_PS9_EEDaS16_S17_SN_SS_EUlS16_E_NS1_11comp_targetILNS1_3genE2ELNS1_11target_archE906ELNS1_3gpuE6ELNS1_3repE0EEENS1_47radix_sort_onesweep_sort_config_static_selectorELNS0_4arch9wavefront6targetE1EEEvSN_,"axG",@progbits,_ZN7rocprim17ROCPRIM_400000_NS6detail17trampoline_kernelINS0_14default_configENS1_35radix_sort_onesweep_config_selectorIjN6thrust23THRUST_200600_302600_NS5tupleIffNS6_9null_typeES8_S8_S8_S8_S8_S8_S8_EEEEZZNS1_29radix_sort_onesweep_iterationIS3_Lb0ENS6_6detail15normal_iteratorINS6_10device_ptrIjEEEESG_NSD_INSE_IS9_EEEESI_jNS0_19identity_decomposerENS1_16block_id_wrapperIjLb1EEEEE10hipError_tT1_PNSt15iterator_traitsISN_E10value_typeET2_T3_PNSO_IST_E10value_typeET4_T5_PSY_SZ_PNS1_23onesweep_lookback_stateEbbT6_jjT7_P12ihipStream_tbENKUlT_T0_SN_SS_E_clISG_PjSI_PS9_EEDaS16_S17_SN_SS_EUlS16_E_NS1_11comp_targetILNS1_3genE2ELNS1_11target_archE906ELNS1_3gpuE6ELNS1_3repE0EEENS1_47radix_sort_onesweep_sort_config_static_selectorELNS0_4arch9wavefront6targetE1EEEvSN_,comdat
.Lfunc_end187:
	.size	_ZN7rocprim17ROCPRIM_400000_NS6detail17trampoline_kernelINS0_14default_configENS1_35radix_sort_onesweep_config_selectorIjN6thrust23THRUST_200600_302600_NS5tupleIffNS6_9null_typeES8_S8_S8_S8_S8_S8_S8_EEEEZZNS1_29radix_sort_onesweep_iterationIS3_Lb0ENS6_6detail15normal_iteratorINS6_10device_ptrIjEEEESG_NSD_INSE_IS9_EEEESI_jNS0_19identity_decomposerENS1_16block_id_wrapperIjLb1EEEEE10hipError_tT1_PNSt15iterator_traitsISN_E10value_typeET2_T3_PNSO_IST_E10value_typeET4_T5_PSY_SZ_PNS1_23onesweep_lookback_stateEbbT6_jjT7_P12ihipStream_tbENKUlT_T0_SN_SS_E_clISG_PjSI_PS9_EEDaS16_S17_SN_SS_EUlS16_E_NS1_11comp_targetILNS1_3genE2ELNS1_11target_archE906ELNS1_3gpuE6ELNS1_3repE0EEENS1_47radix_sort_onesweep_sort_config_static_selectorELNS0_4arch9wavefront6targetE1EEEvSN_, .Lfunc_end187-_ZN7rocprim17ROCPRIM_400000_NS6detail17trampoline_kernelINS0_14default_configENS1_35radix_sort_onesweep_config_selectorIjN6thrust23THRUST_200600_302600_NS5tupleIffNS6_9null_typeES8_S8_S8_S8_S8_S8_S8_EEEEZZNS1_29radix_sort_onesweep_iterationIS3_Lb0ENS6_6detail15normal_iteratorINS6_10device_ptrIjEEEESG_NSD_INSE_IS9_EEEESI_jNS0_19identity_decomposerENS1_16block_id_wrapperIjLb1EEEEE10hipError_tT1_PNSt15iterator_traitsISN_E10value_typeET2_T3_PNSO_IST_E10value_typeET4_T5_PSY_SZ_PNS1_23onesweep_lookback_stateEbbT6_jjT7_P12ihipStream_tbENKUlT_T0_SN_SS_E_clISG_PjSI_PS9_EEDaS16_S17_SN_SS_EUlS16_E_NS1_11comp_targetILNS1_3genE2ELNS1_11target_archE906ELNS1_3gpuE6ELNS1_3repE0EEENS1_47radix_sort_onesweep_sort_config_static_selectorELNS0_4arch9wavefront6targetE1EEEvSN_
                                        ; -- End function
	.section	.AMDGPU.csdata,"",@progbits
; Kernel info:
; codeLenInByte = 0
; NumSgprs: 4
; NumVgprs: 0
; NumAgprs: 0
; TotalNumVgprs: 0
; ScratchSize: 0
; MemoryBound: 0
; FloatMode: 240
; IeeeMode: 1
; LDSByteSize: 0 bytes/workgroup (compile time only)
; SGPRBlocks: 0
; VGPRBlocks: 0
; NumSGPRsForWavesPerEU: 4
; NumVGPRsForWavesPerEU: 1
; AccumOffset: 4
; Occupancy: 8
; WaveLimiterHint : 0
; COMPUTE_PGM_RSRC2:SCRATCH_EN: 0
; COMPUTE_PGM_RSRC2:USER_SGPR: 6
; COMPUTE_PGM_RSRC2:TRAP_HANDLER: 0
; COMPUTE_PGM_RSRC2:TGID_X_EN: 1
; COMPUTE_PGM_RSRC2:TGID_Y_EN: 0
; COMPUTE_PGM_RSRC2:TGID_Z_EN: 0
; COMPUTE_PGM_RSRC2:TIDIG_COMP_CNT: 0
; COMPUTE_PGM_RSRC3_GFX90A:ACCUM_OFFSET: 0
; COMPUTE_PGM_RSRC3_GFX90A:TG_SPLIT: 0
	.section	.text._ZN7rocprim17ROCPRIM_400000_NS6detail17trampoline_kernelINS0_14default_configENS1_35radix_sort_onesweep_config_selectorIjN6thrust23THRUST_200600_302600_NS5tupleIffNS6_9null_typeES8_S8_S8_S8_S8_S8_S8_EEEEZZNS1_29radix_sort_onesweep_iterationIS3_Lb0ENS6_6detail15normal_iteratorINS6_10device_ptrIjEEEESG_NSD_INSE_IS9_EEEESI_jNS0_19identity_decomposerENS1_16block_id_wrapperIjLb1EEEEE10hipError_tT1_PNSt15iterator_traitsISN_E10value_typeET2_T3_PNSO_IST_E10value_typeET4_T5_PSY_SZ_PNS1_23onesweep_lookback_stateEbbT6_jjT7_P12ihipStream_tbENKUlT_T0_SN_SS_E_clISG_PjSI_PS9_EEDaS16_S17_SN_SS_EUlS16_E_NS1_11comp_targetILNS1_3genE4ELNS1_11target_archE910ELNS1_3gpuE8ELNS1_3repE0EEENS1_47radix_sort_onesweep_sort_config_static_selectorELNS0_4arch9wavefront6targetE1EEEvSN_,"axG",@progbits,_ZN7rocprim17ROCPRIM_400000_NS6detail17trampoline_kernelINS0_14default_configENS1_35radix_sort_onesweep_config_selectorIjN6thrust23THRUST_200600_302600_NS5tupleIffNS6_9null_typeES8_S8_S8_S8_S8_S8_S8_EEEEZZNS1_29radix_sort_onesweep_iterationIS3_Lb0ENS6_6detail15normal_iteratorINS6_10device_ptrIjEEEESG_NSD_INSE_IS9_EEEESI_jNS0_19identity_decomposerENS1_16block_id_wrapperIjLb1EEEEE10hipError_tT1_PNSt15iterator_traitsISN_E10value_typeET2_T3_PNSO_IST_E10value_typeET4_T5_PSY_SZ_PNS1_23onesweep_lookback_stateEbbT6_jjT7_P12ihipStream_tbENKUlT_T0_SN_SS_E_clISG_PjSI_PS9_EEDaS16_S17_SN_SS_EUlS16_E_NS1_11comp_targetILNS1_3genE4ELNS1_11target_archE910ELNS1_3gpuE8ELNS1_3repE0EEENS1_47radix_sort_onesweep_sort_config_static_selectorELNS0_4arch9wavefront6targetE1EEEvSN_,comdat
	.protected	_ZN7rocprim17ROCPRIM_400000_NS6detail17trampoline_kernelINS0_14default_configENS1_35radix_sort_onesweep_config_selectorIjN6thrust23THRUST_200600_302600_NS5tupleIffNS6_9null_typeES8_S8_S8_S8_S8_S8_S8_EEEEZZNS1_29radix_sort_onesweep_iterationIS3_Lb0ENS6_6detail15normal_iteratorINS6_10device_ptrIjEEEESG_NSD_INSE_IS9_EEEESI_jNS0_19identity_decomposerENS1_16block_id_wrapperIjLb1EEEEE10hipError_tT1_PNSt15iterator_traitsISN_E10value_typeET2_T3_PNSO_IST_E10value_typeET4_T5_PSY_SZ_PNS1_23onesweep_lookback_stateEbbT6_jjT7_P12ihipStream_tbENKUlT_T0_SN_SS_E_clISG_PjSI_PS9_EEDaS16_S17_SN_SS_EUlS16_E_NS1_11comp_targetILNS1_3genE4ELNS1_11target_archE910ELNS1_3gpuE8ELNS1_3repE0EEENS1_47radix_sort_onesweep_sort_config_static_selectorELNS0_4arch9wavefront6targetE1EEEvSN_ ; -- Begin function _ZN7rocprim17ROCPRIM_400000_NS6detail17trampoline_kernelINS0_14default_configENS1_35radix_sort_onesweep_config_selectorIjN6thrust23THRUST_200600_302600_NS5tupleIffNS6_9null_typeES8_S8_S8_S8_S8_S8_S8_EEEEZZNS1_29radix_sort_onesweep_iterationIS3_Lb0ENS6_6detail15normal_iteratorINS6_10device_ptrIjEEEESG_NSD_INSE_IS9_EEEESI_jNS0_19identity_decomposerENS1_16block_id_wrapperIjLb1EEEEE10hipError_tT1_PNSt15iterator_traitsISN_E10value_typeET2_T3_PNSO_IST_E10value_typeET4_T5_PSY_SZ_PNS1_23onesweep_lookback_stateEbbT6_jjT7_P12ihipStream_tbENKUlT_T0_SN_SS_E_clISG_PjSI_PS9_EEDaS16_S17_SN_SS_EUlS16_E_NS1_11comp_targetILNS1_3genE4ELNS1_11target_archE910ELNS1_3gpuE8ELNS1_3repE0EEENS1_47radix_sort_onesweep_sort_config_static_selectorELNS0_4arch9wavefront6targetE1EEEvSN_
	.globl	_ZN7rocprim17ROCPRIM_400000_NS6detail17trampoline_kernelINS0_14default_configENS1_35radix_sort_onesweep_config_selectorIjN6thrust23THRUST_200600_302600_NS5tupleIffNS6_9null_typeES8_S8_S8_S8_S8_S8_S8_EEEEZZNS1_29radix_sort_onesweep_iterationIS3_Lb0ENS6_6detail15normal_iteratorINS6_10device_ptrIjEEEESG_NSD_INSE_IS9_EEEESI_jNS0_19identity_decomposerENS1_16block_id_wrapperIjLb1EEEEE10hipError_tT1_PNSt15iterator_traitsISN_E10value_typeET2_T3_PNSO_IST_E10value_typeET4_T5_PSY_SZ_PNS1_23onesweep_lookback_stateEbbT6_jjT7_P12ihipStream_tbENKUlT_T0_SN_SS_E_clISG_PjSI_PS9_EEDaS16_S17_SN_SS_EUlS16_E_NS1_11comp_targetILNS1_3genE4ELNS1_11target_archE910ELNS1_3gpuE8ELNS1_3repE0EEENS1_47radix_sort_onesweep_sort_config_static_selectorELNS0_4arch9wavefront6targetE1EEEvSN_
	.p2align	8
	.type	_ZN7rocprim17ROCPRIM_400000_NS6detail17trampoline_kernelINS0_14default_configENS1_35radix_sort_onesweep_config_selectorIjN6thrust23THRUST_200600_302600_NS5tupleIffNS6_9null_typeES8_S8_S8_S8_S8_S8_S8_EEEEZZNS1_29radix_sort_onesweep_iterationIS3_Lb0ENS6_6detail15normal_iteratorINS6_10device_ptrIjEEEESG_NSD_INSE_IS9_EEEESI_jNS0_19identity_decomposerENS1_16block_id_wrapperIjLb1EEEEE10hipError_tT1_PNSt15iterator_traitsISN_E10value_typeET2_T3_PNSO_IST_E10value_typeET4_T5_PSY_SZ_PNS1_23onesweep_lookback_stateEbbT6_jjT7_P12ihipStream_tbENKUlT_T0_SN_SS_E_clISG_PjSI_PS9_EEDaS16_S17_SN_SS_EUlS16_E_NS1_11comp_targetILNS1_3genE4ELNS1_11target_archE910ELNS1_3gpuE8ELNS1_3repE0EEENS1_47radix_sort_onesweep_sort_config_static_selectorELNS0_4arch9wavefront6targetE1EEEvSN_,@function
_ZN7rocprim17ROCPRIM_400000_NS6detail17trampoline_kernelINS0_14default_configENS1_35radix_sort_onesweep_config_selectorIjN6thrust23THRUST_200600_302600_NS5tupleIffNS6_9null_typeES8_S8_S8_S8_S8_S8_S8_EEEEZZNS1_29radix_sort_onesweep_iterationIS3_Lb0ENS6_6detail15normal_iteratorINS6_10device_ptrIjEEEESG_NSD_INSE_IS9_EEEESI_jNS0_19identity_decomposerENS1_16block_id_wrapperIjLb1EEEEE10hipError_tT1_PNSt15iterator_traitsISN_E10value_typeET2_T3_PNSO_IST_E10value_typeET4_T5_PSY_SZ_PNS1_23onesweep_lookback_stateEbbT6_jjT7_P12ihipStream_tbENKUlT_T0_SN_SS_E_clISG_PjSI_PS9_EEDaS16_S17_SN_SS_EUlS16_E_NS1_11comp_targetILNS1_3genE4ELNS1_11target_archE910ELNS1_3gpuE8ELNS1_3repE0EEENS1_47radix_sort_onesweep_sort_config_static_selectorELNS0_4arch9wavefront6targetE1EEEvSN_: ; @_ZN7rocprim17ROCPRIM_400000_NS6detail17trampoline_kernelINS0_14default_configENS1_35radix_sort_onesweep_config_selectorIjN6thrust23THRUST_200600_302600_NS5tupleIffNS6_9null_typeES8_S8_S8_S8_S8_S8_S8_EEEEZZNS1_29radix_sort_onesweep_iterationIS3_Lb0ENS6_6detail15normal_iteratorINS6_10device_ptrIjEEEESG_NSD_INSE_IS9_EEEESI_jNS0_19identity_decomposerENS1_16block_id_wrapperIjLb1EEEEE10hipError_tT1_PNSt15iterator_traitsISN_E10value_typeET2_T3_PNSO_IST_E10value_typeET4_T5_PSY_SZ_PNS1_23onesweep_lookback_stateEbbT6_jjT7_P12ihipStream_tbENKUlT_T0_SN_SS_E_clISG_PjSI_PS9_EEDaS16_S17_SN_SS_EUlS16_E_NS1_11comp_targetILNS1_3genE4ELNS1_11target_archE910ELNS1_3gpuE8ELNS1_3repE0EEENS1_47radix_sort_onesweep_sort_config_static_selectorELNS0_4arch9wavefront6targetE1EEEvSN_
; %bb.0:
	s_load_dwordx4 s[52:55], s[4:5], 0x28
	s_load_dwordx2 s[42:43], s[4:5], 0x38
	s_load_dwordx4 s[56:59], s[4:5], 0x44
	v_and_b32_e32 v18, 0x3ff, v0
	v_cmp_eq_u32_e64 s[0:1], 0, v18
	s_and_saveexec_b64 s[2:3], s[0:1]
	s_cbranch_execz .LBB188_4
; %bb.1:
	s_mov_b64 s[10:11], exec
	v_mbcnt_lo_u32_b32 v1, s10, 0
	v_mbcnt_hi_u32_b32 v1, s11, v1
	v_cmp_eq_u32_e32 vcc, 0, v1
                                        ; implicit-def: $vgpr2
	s_and_saveexec_b64 s[8:9], vcc
	s_cbranch_execz .LBB188_3
; %bb.2:
	s_load_dwordx2 s[12:13], s[4:5], 0x50
	s_bcnt1_i32_b64 s7, s[10:11]
	v_mov_b32_e32 v2, 0
	v_mov_b32_e32 v3, s7
	s_waitcnt lgkmcnt(0)
	global_atomic_add v2, v2, v3, s[12:13] glc
.LBB188_3:
	s_or_b64 exec, exec, s[8:9]
	s_waitcnt vmcnt(0)
	v_readfirstlane_b32 s7, v2
	v_add_u32_e32 v1, s7, v1
	v_mov_b32_e32 v2, 0
	ds_write_b32 v2, v1 offset:10272
.LBB188_4:
	s_or_b64 exec, exec, s[2:3]
	v_mov_b32_e32 v1, 0
	s_load_dwordx8 s[44:51], s[4:5], 0x0
	s_load_dword s2, s[4:5], 0x20
	s_waitcnt lgkmcnt(0)
	s_barrier
	ds_read_b32 v1, v1 offset:10272
	v_mbcnt_lo_u32_b32 v19, -1, 0
	s_waitcnt lgkmcnt(0)
	s_barrier
	v_cmp_le_u32_e32 vcc, s58, v1
	v_readfirstlane_b32 s33, v1
	v_lshlrev_b32_e32 v1, 4, v18
	s_cbranch_vccz .LBB188_99
; %bb.5:
	s_lshl_b32 s3, s58, 13
	s_lshl_b32 s58, s33, 13
	s_mov_b32 s59, 0
	s_sub_i32 s7, s2, s3
	s_lshl_b64 s[2:3], s[58:59], 2
	v_mbcnt_hi_u32_b32 v6, -1, v19
	s_add_u32 s2, s44, s2
	v_and_b32_e32 v23, 63, v6
	s_addc_u32 s3, s45, s3
	v_lshlrev_b32_e32 v2, 2, v23
	v_and_b32_e32 v22, 0x3c00, v1
	v_mov_b32_e32 v3, s3
	v_add_co_u32_e32 v2, vcc, s2, v2
	v_addc_co_u32_e32 v3, vcc, 0, v3, vcc
	v_lshlrev_b32_e32 v4, 2, v22
	v_add_co_u32_e32 v2, vcc, v2, v4
	v_or_b32_e32 v4, v23, v22
	v_addc_co_u32_e32 v3, vcc, 0, v3, vcc
	v_cmp_gt_u32_e64 s[34:35], s7, v4
	v_mov_b32_e32 v24, -1
	v_mov_b32_e32 v25, -1
	s_and_saveexec_b64 s[2:3], s[34:35]
	s_cbranch_execz .LBB188_7
; %bb.6:
	global_load_dword v25, v[2:3], off
.LBB188_7:
	s_or_b64 exec, exec, s[2:3]
	v_or_b32_e32 v5, 64, v4
	v_cmp_gt_u32_e64 s[30:31], s7, v5
	v_mov_b32_e32 v26, -1
	s_and_saveexec_b64 s[2:3], s[30:31]
	s_cbranch_execz .LBB188_9
; %bb.8:
	global_load_dword v26, v[2:3], off offset:256
.LBB188_9:
	s_or_b64 exec, exec, s[2:3]
	v_or_b32_e32 v5, 0x80, v4
	v_cmp_gt_u32_e64 s[28:29], s7, v5
	s_and_saveexec_b64 s[2:3], s[28:29]
	s_cbranch_execz .LBB188_11
; %bb.10:
	global_load_dword v24, v[2:3], off offset:512
.LBB188_11:
	s_or_b64 exec, exec, s[2:3]
	v_or_b32_e32 v5, 0xc0, v4
	v_cmp_gt_u32_e64 s[26:27], s7, v5
	v_mov_b32_e32 v27, -1
	v_mov_b32_e32 v28, -1
	s_and_saveexec_b64 s[2:3], s[26:27]
	s_cbranch_execz .LBB188_13
; %bb.12:
	global_load_dword v28, v[2:3], off offset:768
.LBB188_13:
	s_or_b64 exec, exec, s[2:3]
	v_or_b32_e32 v5, 0x100, v4
	v_cmp_gt_u32_e64 s[24:25], s7, v5
	s_and_saveexec_b64 s[2:3], s[24:25]
	s_cbranch_execz .LBB188_15
; %bb.14:
	global_load_dword v27, v[2:3], off offset:1024
.LBB188_15:
	s_or_b64 exec, exec, s[2:3]
	v_or_b32_e32 v5, 0x140, v4
	v_cmp_gt_u32_e64 s[22:23], s7, v5
	v_mov_b32_e32 v29, -1
	;; [unrolled: 18-line block ×3, first 2 shown]
	v_mov_b32_e32 v32, -1
	s_and_saveexec_b64 s[2:3], s[18:19]
	s_cbranch_execz .LBB188_21
; %bb.20:
	global_load_dword v32, v[2:3], off offset:1792
.LBB188_21:
	s_or_b64 exec, exec, s[2:3]
	v_or_b32_e32 v5, 0x200, v4
	v_cmp_gt_u32_e32 vcc, s7, v5
	s_and_saveexec_b64 s[2:3], vcc
	s_cbranch_execz .LBB188_23
; %bb.22:
	global_load_dword v31, v[2:3], off offset:2048
.LBB188_23:
	s_or_b64 exec, exec, s[2:3]
	v_or_b32_e32 v5, 0x240, v4
	v_cmp_gt_u32_e64 s[16:17], s7, v5
	v_mov_b32_e32 v33, -1
	v_mov_b32_e32 v34, -1
	s_and_saveexec_b64 s[2:3], s[16:17]
	s_cbranch_execz .LBB188_25
; %bb.24:
	global_load_dword v34, v[2:3], off offset:2304
.LBB188_25:
	s_or_b64 exec, exec, s[2:3]
	v_or_b32_e32 v5, 0x280, v4
	v_cmp_gt_u32_e64 s[14:15], s7, v5
	s_and_saveexec_b64 s[2:3], s[14:15]
	s_cbranch_execz .LBB188_27
; %bb.26:
	global_load_dword v33, v[2:3], off offset:2560
.LBB188_27:
	s_or_b64 exec, exec, s[2:3]
	v_or_b32_e32 v5, 0x2c0, v4
	v_cmp_gt_u32_e64 s[12:13], s7, v5
	v_mov_b32_e32 v35, -1
	v_mov_b32_e32 v36, -1
	s_and_saveexec_b64 s[2:3], s[12:13]
	s_cbranch_execz .LBB188_29
; %bb.28:
	global_load_dword v36, v[2:3], off offset:2816
.LBB188_29:
	s_or_b64 exec, exec, s[2:3]
	v_or_b32_e32 v5, 0x300, v4
	v_cmp_gt_u32_e64 s[10:11], s7, v5
	s_and_saveexec_b64 s[2:3], s[10:11]
	;; [unrolled: 18-line block ×3, first 2 shown]
	s_cbranch_execz .LBB188_35
; %bb.34:
	global_load_dword v37, v[2:3], off offset:3584
.LBB188_35:
	s_or_b64 exec, exec, s[2:3]
	v_or_b32_e32 v4, 0x3c0, v4
	v_cmp_gt_u32_e64 s[2:3], s7, v4
	v_mov_b32_e32 v39, -1
	s_and_saveexec_b64 s[36:37], s[2:3]
	s_cbranch_execz .LBB188_37
; %bb.36:
	global_load_dword v39, v[2:3], off offset:3840
.LBB188_37:
	s_or_b64 exec, exec, s[36:37]
	s_load_dword s36, s[4:5], 0x64
	s_load_dword s68, s[4:5], 0x58
	s_add_u32 s37, s4, 0x58
	s_addc_u32 s40, s5, 0
	v_mov_b32_e32 v2, 0
	s_waitcnt lgkmcnt(0)
	s_lshr_b32 s41, s36, 16
	s_cmp_lt_u32 s6, s68
	s_cselect_b32 s36, 12, 18
	s_add_u32 s36, s37, s36
	s_addc_u32 s37, s40, 0
	global_load_ushort v4, v2, s[36:37]
	s_lshl_b32 s36, -1, s57
	s_waitcnt vmcnt(1)
	v_lshrrev_b32_e32 v8, s56, v25
	s_not_b32 s69, s36
	v_and_b32_e32 v8, s69, v8
	v_and_b32_e32 v10, 1, v8
	v_bfe_u32 v3, v0, 10, 10
	v_bfe_u32 v5, v0, 20, 10
	v_add_co_u32_e64 v11, s[36:37], -1, v10
	v_mad_u32_u24 v5, v5, s41, v3
	v_lshlrev_b32_e32 v3, 30, v8
	v_addc_co_u32_e64 v12, s[36:37], 0, -1, s[36:37]
	v_cmp_ne_u32_e64 s[36:37], 0, v10
	v_cmp_gt_i64_e64 s[40:41], 0, v[2:3]
	v_not_b32_e32 v10, v3
	v_lshlrev_b32_e32 v3, 29, v8
	v_xor_b32_e32 v12, s37, v12
	v_xor_b32_e32 v11, s36, v11
	v_ashrrev_i32_e32 v10, 31, v10
	v_cmp_gt_i64_e64 s[36:37], 0, v[2:3]
	v_not_b32_e32 v13, v3
	v_lshlrev_b32_e32 v3, 28, v8
	v_and_b32_e32 v12, exec_hi, v12
	v_and_b32_e32 v11, exec_lo, v11
	v_xor_b32_e32 v14, s41, v10
	v_xor_b32_e32 v10, s40, v10
	v_ashrrev_i32_e32 v13, 31, v13
	v_cmp_gt_i64_e64 s[40:41], 0, v[2:3]
	v_not_b32_e32 v15, v3
	v_lshlrev_b32_e32 v3, 27, v8
	v_and_b32_e32 v12, v12, v14
	v_and_b32_e32 v10, v11, v10
	v_xor_b32_e32 v11, s37, v13
	v_xor_b32_e32 v13, s36, v13
	v_ashrrev_i32_e32 v14, 31, v15
	v_cmp_gt_i64_e64 s[36:37], 0, v[2:3]
	v_not_b32_e32 v15, v3
	v_lshlrev_b32_e32 v3, 26, v8
	v_and_b32_e32 v11, v12, v11
	v_and_b32_e32 v10, v10, v13
	;; [unrolled: 8-line block ×3, first 2 shown]
	v_xor_b32_e32 v12, s37, v14
	v_xor_b32_e32 v13, s36, v14
	v_ashrrev_i32_e32 v14, 31, v15
	v_cmp_gt_i64_e64 s[36:37], 0, v[2:3]
	v_not_b32_e32 v15, v3
	v_lshlrev_b32_e32 v3, 24, v8
	v_lshl_add_u32 v9, v8, 3, v8
	v_and_b32_e32 v8, v11, v12
	v_and_b32_e32 v10, v10, v13
	v_xor_b32_e32 v11, s41, v14
	v_xor_b32_e32 v12, s40, v14
	v_ashrrev_i32_e32 v13, 31, v15
	v_cmp_gt_i64_e64 s[40:41], 0, v[2:3]
	v_not_b32_e32 v3, v3
	v_and_b32_e32 v8, v8, v11
	v_and_b32_e32 v10, v10, v12
	v_xor_b32_e32 v11, s37, v13
	v_xor_b32_e32 v12, s36, v13
	v_ashrrev_i32_e32 v3, 31, v3
	v_and_b32_e32 v8, v8, v11
	v_and_b32_e32 v10, v10, v12
	v_mul_u32_u24_e32 v7, 5, v18
	v_lshlrev_b32_e32 v7, 2, v7
	ds_write2_b32 v7, v2, v2 offset0:8 offset1:9
	ds_write2_b32 v7, v2, v2 offset0:10 offset1:11
	ds_write_b32 v7, v2 offset:48
	s_waitcnt lgkmcnt(0)
	s_barrier
	s_waitcnt lgkmcnt(0)
	; wave barrier
	s_waitcnt vmcnt(0)
	v_mad_u64_u32 v[4:5], s[36:37], v5, v4, v[18:19]
	v_lshrrev_b32_e32 v21, 6, v4
	v_xor_b32_e32 v4, s41, v3
	v_xor_b32_e32 v3, s40, v3
	v_and_b32_e32 v5, v8, v4
	v_and_b32_e32 v4, v10, v3
	v_mbcnt_lo_u32_b32 v3, v4, 0
	v_mbcnt_hi_u32_b32 v8, v5, v3
	v_cmp_eq_u32_e64 s[36:37], 0, v8
	v_cmp_ne_u64_e64 s[40:41], 0, v[4:5]
	v_add_lshl_u32 v12, v21, v9, 2
	s_and_b64 s[40:41], s[40:41], s[36:37]
	s_and_saveexec_b64 s[36:37], s[40:41]
	s_cbranch_execz .LBB188_39
; %bb.38:
	v_bcnt_u32_b32 v3, v4, 0
	v_bcnt_u32_b32 v3, v5, v3
	ds_write_b32 v12, v3 offset:32
.LBB188_39:
	s_or_b64 exec, exec, s[36:37]
	v_lshrrev_b32_e32 v3, s56, v26
	v_and_b32_e32 v4, s69, v3
	v_lshl_add_u32 v3, v4, 3, v4
	v_add_lshl_u32 v13, v21, v3, 2
	v_and_b32_e32 v3, 1, v4
	v_add_co_u32_e64 v5, s[36:37], -1, v3
	v_addc_co_u32_e64 v10, s[36:37], 0, -1, s[36:37]
	v_cmp_ne_u32_e64 s[36:37], 0, v3
	v_xor_b32_e32 v3, s37, v10
	v_and_b32_e32 v10, exec_hi, v3
	v_lshlrev_b32_e32 v3, 30, v4
	v_xor_b32_e32 v5, s36, v5
	v_cmp_gt_i64_e64 s[36:37], 0, v[2:3]
	v_not_b32_e32 v3, v3
	v_ashrrev_i32_e32 v3, 31, v3
	v_and_b32_e32 v5, exec_lo, v5
	v_xor_b32_e32 v11, s37, v3
	v_xor_b32_e32 v3, s36, v3
	v_and_b32_e32 v5, v5, v3
	v_lshlrev_b32_e32 v3, 29, v4
	v_cmp_gt_i64_e64 s[36:37], 0, v[2:3]
	v_not_b32_e32 v3, v3
	v_ashrrev_i32_e32 v3, 31, v3
	v_and_b32_e32 v10, v10, v11
	v_xor_b32_e32 v11, s37, v3
	v_xor_b32_e32 v3, s36, v3
	v_and_b32_e32 v5, v5, v3
	v_lshlrev_b32_e32 v3, 28, v4
	v_cmp_gt_i64_e64 s[36:37], 0, v[2:3]
	v_not_b32_e32 v3, v3
	v_ashrrev_i32_e32 v3, 31, v3
	v_and_b32_e32 v10, v10, v11
	;; [unrolled: 8-line block ×5, first 2 shown]
	v_xor_b32_e32 v11, s37, v3
	v_xor_b32_e32 v3, s36, v3
	v_and_b32_e32 v5, v5, v3
	v_lshlrev_b32_e32 v3, 24, v4
	v_cmp_gt_i64_e64 s[36:37], 0, v[2:3]
	v_not_b32_e32 v2, v3
	v_ashrrev_i32_e32 v2, 31, v2
	v_xor_b32_e32 v3, s37, v2
	v_xor_b32_e32 v2, s36, v2
	; wave barrier
	ds_read_b32 v9, v13 offset:32
	v_and_b32_e32 v10, v10, v11
	v_and_b32_e32 v2, v5, v2
	;; [unrolled: 1-line block ×3, first 2 shown]
	v_mbcnt_lo_u32_b32 v4, v2, 0
	v_mbcnt_hi_u32_b32 v10, v3, v4
	v_cmp_eq_u32_e64 s[36:37], 0, v10
	v_cmp_ne_u64_e64 s[40:41], 0, v[2:3]
	s_and_b64 s[40:41], s[40:41], s[36:37]
	; wave barrier
	s_and_saveexec_b64 s[36:37], s[40:41]
	s_cbranch_execz .LBB188_41
; %bb.40:
	v_bcnt_u32_b32 v2, v2, 0
	v_bcnt_u32_b32 v2, v3, v2
	s_waitcnt lgkmcnt(0)
	v_add_u32_e32 v2, v9, v2
	ds_write_b32 v13, v2 offset:32
.LBB188_41:
	s_or_b64 exec, exec, s[36:37]
	v_lshrrev_b32_e32 v2, s56, v24
	v_and_b32_e32 v4, s69, v2
	v_and_b32_e32 v3, 1, v4
	v_add_co_u32_e64 v5, s[36:37], -1, v3
	v_addc_co_u32_e64 v14, s[36:37], 0, -1, s[36:37]
	v_cmp_ne_u32_e64 s[36:37], 0, v3
	v_lshl_add_u32 v2, v4, 3, v4
	v_xor_b32_e32 v3, s37, v14
	v_add_lshl_u32 v16, v21, v2, 2
	v_mov_b32_e32 v2, 0
	v_and_b32_e32 v14, exec_hi, v3
	v_lshlrev_b32_e32 v3, 30, v4
	v_xor_b32_e32 v5, s36, v5
	v_cmp_gt_i64_e64 s[36:37], 0, v[2:3]
	v_not_b32_e32 v3, v3
	v_ashrrev_i32_e32 v3, 31, v3
	v_and_b32_e32 v5, exec_lo, v5
	v_xor_b32_e32 v15, s37, v3
	v_xor_b32_e32 v3, s36, v3
	v_and_b32_e32 v5, v5, v3
	v_lshlrev_b32_e32 v3, 29, v4
	v_cmp_gt_i64_e64 s[36:37], 0, v[2:3]
	v_not_b32_e32 v3, v3
	v_ashrrev_i32_e32 v3, 31, v3
	v_and_b32_e32 v14, v14, v15
	v_xor_b32_e32 v15, s37, v3
	v_xor_b32_e32 v3, s36, v3
	v_and_b32_e32 v5, v5, v3
	v_lshlrev_b32_e32 v3, 28, v4
	v_cmp_gt_i64_e64 s[36:37], 0, v[2:3]
	v_not_b32_e32 v3, v3
	v_ashrrev_i32_e32 v3, 31, v3
	v_and_b32_e32 v14, v14, v15
	;; [unrolled: 8-line block ×5, first 2 shown]
	v_xor_b32_e32 v15, s37, v3
	v_xor_b32_e32 v3, s36, v3
	v_and_b32_e32 v14, v14, v15
	v_and_b32_e32 v15, v5, v3
	v_lshlrev_b32_e32 v3, 24, v4
	v_cmp_gt_i64_e64 s[36:37], 0, v[2:3]
	v_not_b32_e32 v3, v3
	v_ashrrev_i32_e32 v3, 31, v3
	v_xor_b32_e32 v4, s37, v3
	v_xor_b32_e32 v3, s36, v3
	; wave barrier
	ds_read_b32 v11, v16 offset:32
	v_and_b32_e32 v5, v14, v4
	v_and_b32_e32 v4, v15, v3
	v_mbcnt_lo_u32_b32 v3, v4, 0
	v_mbcnt_hi_u32_b32 v14, v5, v3
	v_cmp_eq_u32_e64 s[36:37], 0, v14
	v_cmp_ne_u64_e64 s[40:41], 0, v[4:5]
	s_and_b64 s[40:41], s[40:41], s[36:37]
	; wave barrier
	s_and_saveexec_b64 s[36:37], s[40:41]
	s_cbranch_execz .LBB188_43
; %bb.42:
	v_bcnt_u32_b32 v3, v4, 0
	v_bcnt_u32_b32 v3, v5, v3
	s_waitcnt lgkmcnt(0)
	v_add_u32_e32 v3, v11, v3
	ds_write_b32 v16, v3 offset:32
.LBB188_43:
	s_or_b64 exec, exec, s[36:37]
	v_lshrrev_b32_e32 v3, s56, v28
	v_and_b32_e32 v4, s69, v3
	v_lshl_add_u32 v3, v4, 3, v4
	v_add_lshl_u32 v40, v21, v3, 2
	v_and_b32_e32 v3, 1, v4
	v_add_co_u32_e64 v5, s[36:37], -1, v3
	v_addc_co_u32_e64 v17, s[36:37], 0, -1, s[36:37]
	v_cmp_ne_u32_e64 s[36:37], 0, v3
	v_xor_b32_e32 v3, s37, v17
	v_and_b32_e32 v17, exec_hi, v3
	v_lshlrev_b32_e32 v3, 30, v4
	v_xor_b32_e32 v5, s36, v5
	v_cmp_gt_i64_e64 s[36:37], 0, v[2:3]
	v_not_b32_e32 v3, v3
	v_ashrrev_i32_e32 v3, 31, v3
	v_and_b32_e32 v5, exec_lo, v5
	v_xor_b32_e32 v20, s37, v3
	v_xor_b32_e32 v3, s36, v3
	v_and_b32_e32 v5, v5, v3
	v_lshlrev_b32_e32 v3, 29, v4
	v_cmp_gt_i64_e64 s[36:37], 0, v[2:3]
	v_not_b32_e32 v3, v3
	v_ashrrev_i32_e32 v3, 31, v3
	v_and_b32_e32 v17, v17, v20
	v_xor_b32_e32 v20, s37, v3
	v_xor_b32_e32 v3, s36, v3
	v_and_b32_e32 v5, v5, v3
	v_lshlrev_b32_e32 v3, 28, v4
	v_cmp_gt_i64_e64 s[36:37], 0, v[2:3]
	v_not_b32_e32 v3, v3
	v_ashrrev_i32_e32 v3, 31, v3
	v_and_b32_e32 v17, v17, v20
	;; [unrolled: 8-line block ×5, first 2 shown]
	v_xor_b32_e32 v20, s37, v3
	v_xor_b32_e32 v3, s36, v3
	v_and_b32_e32 v5, v5, v3
	v_lshlrev_b32_e32 v3, 24, v4
	v_cmp_gt_i64_e64 s[36:37], 0, v[2:3]
	v_not_b32_e32 v2, v3
	v_ashrrev_i32_e32 v2, 31, v2
	v_xor_b32_e32 v3, s37, v2
	v_xor_b32_e32 v2, s36, v2
	; wave barrier
	ds_read_b32 v15, v40 offset:32
	v_and_b32_e32 v17, v17, v20
	v_and_b32_e32 v2, v5, v2
	;; [unrolled: 1-line block ×3, first 2 shown]
	v_mbcnt_lo_u32_b32 v4, v2, 0
	v_mbcnt_hi_u32_b32 v17, v3, v4
	v_cmp_eq_u32_e64 s[36:37], 0, v17
	v_cmp_ne_u64_e64 s[40:41], 0, v[2:3]
	s_and_b64 s[40:41], s[40:41], s[36:37]
	; wave barrier
	s_and_saveexec_b64 s[36:37], s[40:41]
	s_cbranch_execz .LBB188_45
; %bb.44:
	v_bcnt_u32_b32 v2, v2, 0
	v_bcnt_u32_b32 v2, v3, v2
	s_waitcnt lgkmcnt(0)
	v_add_u32_e32 v2, v15, v2
	ds_write_b32 v40, v2 offset:32
.LBB188_45:
	s_or_b64 exec, exec, s[36:37]
	v_lshrrev_b32_e32 v2, s56, v27
	v_and_b32_e32 v4, s69, v2
	v_and_b32_e32 v3, 1, v4
	v_add_co_u32_e64 v5, s[36:37], -1, v3
	v_addc_co_u32_e64 v41, s[36:37], 0, -1, s[36:37]
	v_cmp_ne_u32_e64 s[36:37], 0, v3
	v_lshl_add_u32 v2, v4, 3, v4
	v_xor_b32_e32 v3, s37, v41
	v_add_lshl_u32 v43, v21, v2, 2
	v_mov_b32_e32 v2, 0
	v_and_b32_e32 v41, exec_hi, v3
	v_lshlrev_b32_e32 v3, 30, v4
	v_xor_b32_e32 v5, s36, v5
	v_cmp_gt_i64_e64 s[36:37], 0, v[2:3]
	v_not_b32_e32 v3, v3
	v_ashrrev_i32_e32 v3, 31, v3
	v_and_b32_e32 v5, exec_lo, v5
	v_xor_b32_e32 v42, s37, v3
	v_xor_b32_e32 v3, s36, v3
	v_and_b32_e32 v5, v5, v3
	v_lshlrev_b32_e32 v3, 29, v4
	v_cmp_gt_i64_e64 s[36:37], 0, v[2:3]
	v_not_b32_e32 v3, v3
	v_ashrrev_i32_e32 v3, 31, v3
	v_and_b32_e32 v41, v41, v42
	v_xor_b32_e32 v42, s37, v3
	v_xor_b32_e32 v3, s36, v3
	v_and_b32_e32 v5, v5, v3
	v_lshlrev_b32_e32 v3, 28, v4
	v_cmp_gt_i64_e64 s[36:37], 0, v[2:3]
	v_not_b32_e32 v3, v3
	v_ashrrev_i32_e32 v3, 31, v3
	v_and_b32_e32 v41, v41, v42
	;; [unrolled: 8-line block ×5, first 2 shown]
	v_xor_b32_e32 v42, s37, v3
	v_xor_b32_e32 v3, s36, v3
	v_and_b32_e32 v41, v41, v42
	v_and_b32_e32 v42, v5, v3
	v_lshlrev_b32_e32 v3, 24, v4
	v_cmp_gt_i64_e64 s[36:37], 0, v[2:3]
	v_not_b32_e32 v3, v3
	v_ashrrev_i32_e32 v3, 31, v3
	v_xor_b32_e32 v4, s37, v3
	v_xor_b32_e32 v3, s36, v3
	; wave barrier
	ds_read_b32 v20, v43 offset:32
	v_and_b32_e32 v5, v41, v4
	v_and_b32_e32 v4, v42, v3
	v_mbcnt_lo_u32_b32 v3, v4, 0
	v_mbcnt_hi_u32_b32 v41, v5, v3
	v_cmp_eq_u32_e64 s[36:37], 0, v41
	v_cmp_ne_u64_e64 s[40:41], 0, v[4:5]
	s_and_b64 s[40:41], s[40:41], s[36:37]
	; wave barrier
	s_and_saveexec_b64 s[36:37], s[40:41]
	s_cbranch_execz .LBB188_47
; %bb.46:
	v_bcnt_u32_b32 v3, v4, 0
	v_bcnt_u32_b32 v3, v5, v3
	s_waitcnt lgkmcnt(0)
	v_add_u32_e32 v3, v20, v3
	ds_write_b32 v43, v3 offset:32
.LBB188_47:
	s_or_b64 exec, exec, s[36:37]
	v_lshrrev_b32_e32 v3, s56, v30
	v_and_b32_e32 v4, s69, v3
	v_lshl_add_u32 v3, v4, 3, v4
	v_add_lshl_u32 v46, v21, v3, 2
	v_and_b32_e32 v3, 1, v4
	v_add_co_u32_e64 v5, s[36:37], -1, v3
	v_addc_co_u32_e64 v44, s[36:37], 0, -1, s[36:37]
	v_cmp_ne_u32_e64 s[36:37], 0, v3
	v_xor_b32_e32 v3, s37, v44
	v_and_b32_e32 v44, exec_hi, v3
	v_lshlrev_b32_e32 v3, 30, v4
	v_xor_b32_e32 v5, s36, v5
	v_cmp_gt_i64_e64 s[36:37], 0, v[2:3]
	v_not_b32_e32 v3, v3
	v_ashrrev_i32_e32 v3, 31, v3
	v_and_b32_e32 v5, exec_lo, v5
	v_xor_b32_e32 v45, s37, v3
	v_xor_b32_e32 v3, s36, v3
	v_and_b32_e32 v5, v5, v3
	v_lshlrev_b32_e32 v3, 29, v4
	v_cmp_gt_i64_e64 s[36:37], 0, v[2:3]
	v_not_b32_e32 v3, v3
	v_ashrrev_i32_e32 v3, 31, v3
	v_and_b32_e32 v44, v44, v45
	v_xor_b32_e32 v45, s37, v3
	v_xor_b32_e32 v3, s36, v3
	v_and_b32_e32 v5, v5, v3
	v_lshlrev_b32_e32 v3, 28, v4
	v_cmp_gt_i64_e64 s[36:37], 0, v[2:3]
	v_not_b32_e32 v3, v3
	v_ashrrev_i32_e32 v3, 31, v3
	v_and_b32_e32 v44, v44, v45
	;; [unrolled: 8-line block ×5, first 2 shown]
	v_xor_b32_e32 v45, s37, v3
	v_xor_b32_e32 v3, s36, v3
	v_and_b32_e32 v5, v5, v3
	v_lshlrev_b32_e32 v3, 24, v4
	v_cmp_gt_i64_e64 s[36:37], 0, v[2:3]
	v_not_b32_e32 v2, v3
	v_ashrrev_i32_e32 v2, 31, v2
	v_xor_b32_e32 v3, s37, v2
	v_xor_b32_e32 v2, s36, v2
	; wave barrier
	ds_read_b32 v42, v46 offset:32
	v_and_b32_e32 v44, v44, v45
	v_and_b32_e32 v2, v5, v2
	;; [unrolled: 1-line block ×3, first 2 shown]
	v_mbcnt_lo_u32_b32 v4, v2, 0
	v_mbcnt_hi_u32_b32 v44, v3, v4
	v_cmp_eq_u32_e64 s[36:37], 0, v44
	v_cmp_ne_u64_e64 s[40:41], 0, v[2:3]
	s_and_b64 s[40:41], s[40:41], s[36:37]
	; wave barrier
	s_and_saveexec_b64 s[36:37], s[40:41]
	s_cbranch_execz .LBB188_49
; %bb.48:
	v_bcnt_u32_b32 v2, v2, 0
	v_bcnt_u32_b32 v2, v3, v2
	s_waitcnt lgkmcnt(0)
	v_add_u32_e32 v2, v42, v2
	ds_write_b32 v46, v2 offset:32
.LBB188_49:
	s_or_b64 exec, exec, s[36:37]
	v_lshrrev_b32_e32 v2, s56, v29
	v_and_b32_e32 v4, s69, v2
	v_and_b32_e32 v3, 1, v4
	v_add_co_u32_e64 v5, s[36:37], -1, v3
	v_addc_co_u32_e64 v47, s[36:37], 0, -1, s[36:37]
	v_cmp_ne_u32_e64 s[36:37], 0, v3
	v_lshl_add_u32 v2, v4, 3, v4
	v_xor_b32_e32 v3, s37, v47
	v_add_lshl_u32 v49, v21, v2, 2
	v_mov_b32_e32 v2, 0
	v_and_b32_e32 v47, exec_hi, v3
	v_lshlrev_b32_e32 v3, 30, v4
	v_xor_b32_e32 v5, s36, v5
	v_cmp_gt_i64_e64 s[36:37], 0, v[2:3]
	v_not_b32_e32 v3, v3
	v_ashrrev_i32_e32 v3, 31, v3
	v_and_b32_e32 v5, exec_lo, v5
	v_xor_b32_e32 v48, s37, v3
	v_xor_b32_e32 v3, s36, v3
	v_and_b32_e32 v5, v5, v3
	v_lshlrev_b32_e32 v3, 29, v4
	v_cmp_gt_i64_e64 s[36:37], 0, v[2:3]
	v_not_b32_e32 v3, v3
	v_ashrrev_i32_e32 v3, 31, v3
	v_and_b32_e32 v47, v47, v48
	v_xor_b32_e32 v48, s37, v3
	v_xor_b32_e32 v3, s36, v3
	v_and_b32_e32 v5, v5, v3
	v_lshlrev_b32_e32 v3, 28, v4
	v_cmp_gt_i64_e64 s[36:37], 0, v[2:3]
	v_not_b32_e32 v3, v3
	v_ashrrev_i32_e32 v3, 31, v3
	v_and_b32_e32 v47, v47, v48
	;; [unrolled: 8-line block ×5, first 2 shown]
	v_xor_b32_e32 v48, s37, v3
	v_xor_b32_e32 v3, s36, v3
	v_and_b32_e32 v47, v47, v48
	v_and_b32_e32 v48, v5, v3
	v_lshlrev_b32_e32 v3, 24, v4
	v_cmp_gt_i64_e64 s[36:37], 0, v[2:3]
	v_not_b32_e32 v3, v3
	v_ashrrev_i32_e32 v3, 31, v3
	v_xor_b32_e32 v4, s37, v3
	v_xor_b32_e32 v3, s36, v3
	; wave barrier
	ds_read_b32 v45, v49 offset:32
	v_and_b32_e32 v5, v47, v4
	v_and_b32_e32 v4, v48, v3
	v_mbcnt_lo_u32_b32 v3, v4, 0
	v_mbcnt_hi_u32_b32 v47, v5, v3
	v_cmp_eq_u32_e64 s[36:37], 0, v47
	v_cmp_ne_u64_e64 s[40:41], 0, v[4:5]
	s_and_b64 s[40:41], s[40:41], s[36:37]
	; wave barrier
	s_and_saveexec_b64 s[36:37], s[40:41]
	s_cbranch_execz .LBB188_51
; %bb.50:
	v_bcnt_u32_b32 v3, v4, 0
	v_bcnt_u32_b32 v3, v5, v3
	s_waitcnt lgkmcnt(0)
	v_add_u32_e32 v3, v45, v3
	ds_write_b32 v49, v3 offset:32
.LBB188_51:
	s_or_b64 exec, exec, s[36:37]
	v_lshrrev_b32_e32 v3, s56, v32
	v_and_b32_e32 v4, s69, v3
	v_lshl_add_u32 v3, v4, 3, v4
	v_add_lshl_u32 v52, v21, v3, 2
	v_and_b32_e32 v3, 1, v4
	v_add_co_u32_e64 v5, s[36:37], -1, v3
	v_addc_co_u32_e64 v50, s[36:37], 0, -1, s[36:37]
	v_cmp_ne_u32_e64 s[36:37], 0, v3
	v_xor_b32_e32 v3, s37, v50
	v_and_b32_e32 v50, exec_hi, v3
	v_lshlrev_b32_e32 v3, 30, v4
	v_xor_b32_e32 v5, s36, v5
	v_cmp_gt_i64_e64 s[36:37], 0, v[2:3]
	v_not_b32_e32 v3, v3
	v_ashrrev_i32_e32 v3, 31, v3
	v_and_b32_e32 v5, exec_lo, v5
	v_xor_b32_e32 v51, s37, v3
	v_xor_b32_e32 v3, s36, v3
	v_and_b32_e32 v5, v5, v3
	v_lshlrev_b32_e32 v3, 29, v4
	v_cmp_gt_i64_e64 s[36:37], 0, v[2:3]
	v_not_b32_e32 v3, v3
	v_ashrrev_i32_e32 v3, 31, v3
	v_and_b32_e32 v50, v50, v51
	v_xor_b32_e32 v51, s37, v3
	v_xor_b32_e32 v3, s36, v3
	v_and_b32_e32 v5, v5, v3
	v_lshlrev_b32_e32 v3, 28, v4
	v_cmp_gt_i64_e64 s[36:37], 0, v[2:3]
	v_not_b32_e32 v3, v3
	v_ashrrev_i32_e32 v3, 31, v3
	v_and_b32_e32 v50, v50, v51
	;; [unrolled: 8-line block ×5, first 2 shown]
	v_xor_b32_e32 v51, s37, v3
	v_xor_b32_e32 v3, s36, v3
	v_and_b32_e32 v5, v5, v3
	v_lshlrev_b32_e32 v3, 24, v4
	v_cmp_gt_i64_e64 s[36:37], 0, v[2:3]
	v_not_b32_e32 v2, v3
	v_ashrrev_i32_e32 v2, 31, v2
	v_xor_b32_e32 v3, s37, v2
	v_xor_b32_e32 v2, s36, v2
	; wave barrier
	ds_read_b32 v48, v52 offset:32
	v_and_b32_e32 v50, v50, v51
	v_and_b32_e32 v2, v5, v2
	v_and_b32_e32 v3, v50, v3
	v_mbcnt_lo_u32_b32 v4, v2, 0
	v_mbcnt_hi_u32_b32 v50, v3, v4
	v_cmp_eq_u32_e64 s[36:37], 0, v50
	v_cmp_ne_u64_e64 s[40:41], 0, v[2:3]
	s_and_b64 s[40:41], s[40:41], s[36:37]
	; wave barrier
	s_and_saveexec_b64 s[36:37], s[40:41]
	s_cbranch_execz .LBB188_53
; %bb.52:
	v_bcnt_u32_b32 v2, v2, 0
	v_bcnt_u32_b32 v2, v3, v2
	s_waitcnt lgkmcnt(0)
	v_add_u32_e32 v2, v48, v2
	ds_write_b32 v52, v2 offset:32
.LBB188_53:
	s_or_b64 exec, exec, s[36:37]
	v_lshrrev_b32_e32 v2, s56, v31
	v_and_b32_e32 v4, s69, v2
	v_and_b32_e32 v3, 1, v4
	v_add_co_u32_e64 v5, s[36:37], -1, v3
	v_addc_co_u32_e64 v53, s[36:37], 0, -1, s[36:37]
	v_cmp_ne_u32_e64 s[36:37], 0, v3
	v_lshl_add_u32 v2, v4, 3, v4
	v_xor_b32_e32 v3, s37, v53
	v_add_lshl_u32 v55, v21, v2, 2
	v_mov_b32_e32 v2, 0
	v_and_b32_e32 v53, exec_hi, v3
	v_lshlrev_b32_e32 v3, 30, v4
	v_xor_b32_e32 v5, s36, v5
	v_cmp_gt_i64_e64 s[36:37], 0, v[2:3]
	v_not_b32_e32 v3, v3
	v_ashrrev_i32_e32 v3, 31, v3
	v_and_b32_e32 v5, exec_lo, v5
	v_xor_b32_e32 v54, s37, v3
	v_xor_b32_e32 v3, s36, v3
	v_and_b32_e32 v5, v5, v3
	v_lshlrev_b32_e32 v3, 29, v4
	v_cmp_gt_i64_e64 s[36:37], 0, v[2:3]
	v_not_b32_e32 v3, v3
	v_ashrrev_i32_e32 v3, 31, v3
	v_and_b32_e32 v53, v53, v54
	v_xor_b32_e32 v54, s37, v3
	v_xor_b32_e32 v3, s36, v3
	v_and_b32_e32 v5, v5, v3
	v_lshlrev_b32_e32 v3, 28, v4
	v_cmp_gt_i64_e64 s[36:37], 0, v[2:3]
	v_not_b32_e32 v3, v3
	v_ashrrev_i32_e32 v3, 31, v3
	v_and_b32_e32 v53, v53, v54
	;; [unrolled: 8-line block ×5, first 2 shown]
	v_xor_b32_e32 v54, s37, v3
	v_xor_b32_e32 v3, s36, v3
	v_and_b32_e32 v53, v53, v54
	v_and_b32_e32 v54, v5, v3
	v_lshlrev_b32_e32 v3, 24, v4
	v_cmp_gt_i64_e64 s[36:37], 0, v[2:3]
	v_not_b32_e32 v3, v3
	v_ashrrev_i32_e32 v3, 31, v3
	v_xor_b32_e32 v4, s37, v3
	v_xor_b32_e32 v3, s36, v3
	; wave barrier
	ds_read_b32 v51, v55 offset:32
	v_and_b32_e32 v5, v53, v4
	v_and_b32_e32 v4, v54, v3
	v_mbcnt_lo_u32_b32 v3, v4, 0
	v_mbcnt_hi_u32_b32 v53, v5, v3
	v_cmp_eq_u32_e64 s[36:37], 0, v53
	v_cmp_ne_u64_e64 s[40:41], 0, v[4:5]
	s_and_b64 s[40:41], s[40:41], s[36:37]
	; wave barrier
	s_and_saveexec_b64 s[36:37], s[40:41]
	s_cbranch_execz .LBB188_55
; %bb.54:
	v_bcnt_u32_b32 v3, v4, 0
	v_bcnt_u32_b32 v3, v5, v3
	s_waitcnt lgkmcnt(0)
	v_add_u32_e32 v3, v51, v3
	ds_write_b32 v55, v3 offset:32
.LBB188_55:
	s_or_b64 exec, exec, s[36:37]
	v_lshrrev_b32_e32 v3, s56, v34
	v_and_b32_e32 v4, s69, v3
	v_lshl_add_u32 v3, v4, 3, v4
	v_add_lshl_u32 v58, v21, v3, 2
	v_and_b32_e32 v3, 1, v4
	v_add_co_u32_e64 v5, s[36:37], -1, v3
	v_addc_co_u32_e64 v56, s[36:37], 0, -1, s[36:37]
	v_cmp_ne_u32_e64 s[36:37], 0, v3
	v_xor_b32_e32 v3, s37, v56
	v_and_b32_e32 v56, exec_hi, v3
	v_lshlrev_b32_e32 v3, 30, v4
	v_xor_b32_e32 v5, s36, v5
	v_cmp_gt_i64_e64 s[36:37], 0, v[2:3]
	v_not_b32_e32 v3, v3
	v_ashrrev_i32_e32 v3, 31, v3
	v_and_b32_e32 v5, exec_lo, v5
	v_xor_b32_e32 v57, s37, v3
	v_xor_b32_e32 v3, s36, v3
	v_and_b32_e32 v5, v5, v3
	v_lshlrev_b32_e32 v3, 29, v4
	v_cmp_gt_i64_e64 s[36:37], 0, v[2:3]
	v_not_b32_e32 v3, v3
	v_ashrrev_i32_e32 v3, 31, v3
	v_and_b32_e32 v56, v56, v57
	v_xor_b32_e32 v57, s37, v3
	v_xor_b32_e32 v3, s36, v3
	v_and_b32_e32 v5, v5, v3
	v_lshlrev_b32_e32 v3, 28, v4
	v_cmp_gt_i64_e64 s[36:37], 0, v[2:3]
	v_not_b32_e32 v3, v3
	v_ashrrev_i32_e32 v3, 31, v3
	v_and_b32_e32 v56, v56, v57
	;; [unrolled: 8-line block ×5, first 2 shown]
	v_xor_b32_e32 v57, s37, v3
	v_xor_b32_e32 v3, s36, v3
	v_and_b32_e32 v5, v5, v3
	v_lshlrev_b32_e32 v3, 24, v4
	v_cmp_gt_i64_e64 s[36:37], 0, v[2:3]
	v_not_b32_e32 v2, v3
	v_ashrrev_i32_e32 v2, 31, v2
	v_xor_b32_e32 v3, s37, v2
	v_xor_b32_e32 v2, s36, v2
	; wave barrier
	ds_read_b32 v54, v58 offset:32
	v_and_b32_e32 v56, v56, v57
	v_and_b32_e32 v2, v5, v2
	;; [unrolled: 1-line block ×3, first 2 shown]
	v_mbcnt_lo_u32_b32 v4, v2, 0
	v_mbcnt_hi_u32_b32 v56, v3, v4
	v_cmp_eq_u32_e64 s[36:37], 0, v56
	v_cmp_ne_u64_e64 s[40:41], 0, v[2:3]
	s_and_b64 s[40:41], s[40:41], s[36:37]
	; wave barrier
	s_and_saveexec_b64 s[36:37], s[40:41]
	s_cbranch_execz .LBB188_57
; %bb.56:
	v_bcnt_u32_b32 v2, v2, 0
	v_bcnt_u32_b32 v2, v3, v2
	s_waitcnt lgkmcnt(0)
	v_add_u32_e32 v2, v54, v2
	ds_write_b32 v58, v2 offset:32
.LBB188_57:
	s_or_b64 exec, exec, s[36:37]
	v_lshrrev_b32_e32 v2, s56, v33
	v_and_b32_e32 v4, s69, v2
	v_and_b32_e32 v3, 1, v4
	v_add_co_u32_e64 v5, s[36:37], -1, v3
	v_addc_co_u32_e64 v59, s[36:37], 0, -1, s[36:37]
	v_cmp_ne_u32_e64 s[36:37], 0, v3
	v_lshl_add_u32 v2, v4, 3, v4
	v_xor_b32_e32 v3, s37, v59
	v_add_lshl_u32 v61, v21, v2, 2
	v_mov_b32_e32 v2, 0
	v_and_b32_e32 v59, exec_hi, v3
	v_lshlrev_b32_e32 v3, 30, v4
	v_xor_b32_e32 v5, s36, v5
	v_cmp_gt_i64_e64 s[36:37], 0, v[2:3]
	v_not_b32_e32 v3, v3
	v_ashrrev_i32_e32 v3, 31, v3
	v_and_b32_e32 v5, exec_lo, v5
	v_xor_b32_e32 v60, s37, v3
	v_xor_b32_e32 v3, s36, v3
	v_and_b32_e32 v5, v5, v3
	v_lshlrev_b32_e32 v3, 29, v4
	v_cmp_gt_i64_e64 s[36:37], 0, v[2:3]
	v_not_b32_e32 v3, v3
	v_ashrrev_i32_e32 v3, 31, v3
	v_and_b32_e32 v59, v59, v60
	v_xor_b32_e32 v60, s37, v3
	v_xor_b32_e32 v3, s36, v3
	v_and_b32_e32 v5, v5, v3
	v_lshlrev_b32_e32 v3, 28, v4
	v_cmp_gt_i64_e64 s[36:37], 0, v[2:3]
	v_not_b32_e32 v3, v3
	v_ashrrev_i32_e32 v3, 31, v3
	v_and_b32_e32 v59, v59, v60
	;; [unrolled: 8-line block ×5, first 2 shown]
	v_xor_b32_e32 v60, s37, v3
	v_xor_b32_e32 v3, s36, v3
	v_and_b32_e32 v59, v59, v60
	v_and_b32_e32 v60, v5, v3
	v_lshlrev_b32_e32 v3, 24, v4
	v_cmp_gt_i64_e64 s[36:37], 0, v[2:3]
	v_not_b32_e32 v3, v3
	v_ashrrev_i32_e32 v3, 31, v3
	v_xor_b32_e32 v4, s37, v3
	v_xor_b32_e32 v3, s36, v3
	; wave barrier
	ds_read_b32 v57, v61 offset:32
	v_and_b32_e32 v5, v59, v4
	v_and_b32_e32 v4, v60, v3
	v_mbcnt_lo_u32_b32 v3, v4, 0
	v_mbcnt_hi_u32_b32 v59, v5, v3
	v_cmp_eq_u32_e64 s[36:37], 0, v59
	v_cmp_ne_u64_e64 s[40:41], 0, v[4:5]
	s_and_b64 s[40:41], s[40:41], s[36:37]
	; wave barrier
	s_and_saveexec_b64 s[36:37], s[40:41]
	s_cbranch_execz .LBB188_59
; %bb.58:
	v_bcnt_u32_b32 v3, v4, 0
	v_bcnt_u32_b32 v3, v5, v3
	s_waitcnt lgkmcnt(0)
	v_add_u32_e32 v3, v57, v3
	ds_write_b32 v61, v3 offset:32
.LBB188_59:
	s_or_b64 exec, exec, s[36:37]
	v_lshrrev_b32_e32 v3, s56, v36
	v_and_b32_e32 v4, s69, v3
	v_lshl_add_u32 v3, v4, 3, v4
	v_add_lshl_u32 v62, v21, v3, 2
	v_and_b32_e32 v3, 1, v4
	v_add_co_u32_e64 v5, s[36:37], -1, v3
	v_addc_co_u32_e64 v63, s[36:37], 0, -1, s[36:37]
	v_cmp_ne_u32_e64 s[36:37], 0, v3
	v_xor_b32_e32 v3, s37, v63
	v_and_b32_e32 v63, exec_hi, v3
	v_lshlrev_b32_e32 v3, 30, v4
	v_xor_b32_e32 v5, s36, v5
	v_cmp_gt_i64_e64 s[36:37], 0, v[2:3]
	v_not_b32_e32 v3, v3
	v_ashrrev_i32_e32 v3, 31, v3
	v_and_b32_e32 v5, exec_lo, v5
	v_xor_b32_e32 v64, s37, v3
	v_xor_b32_e32 v3, s36, v3
	v_and_b32_e32 v5, v5, v3
	v_lshlrev_b32_e32 v3, 29, v4
	v_cmp_gt_i64_e64 s[36:37], 0, v[2:3]
	v_not_b32_e32 v3, v3
	v_ashrrev_i32_e32 v3, 31, v3
	v_and_b32_e32 v63, v63, v64
	v_xor_b32_e32 v64, s37, v3
	v_xor_b32_e32 v3, s36, v3
	v_and_b32_e32 v5, v5, v3
	v_lshlrev_b32_e32 v3, 28, v4
	v_cmp_gt_i64_e64 s[36:37], 0, v[2:3]
	v_not_b32_e32 v3, v3
	v_ashrrev_i32_e32 v3, 31, v3
	v_and_b32_e32 v63, v63, v64
	v_xor_b32_e32 v64, s37, v3
	v_xor_b32_e32 v3, s36, v3
	v_and_b32_e32 v5, v5, v3
	v_lshlrev_b32_e32 v3, 27, v4
	v_cmp_gt_i64_e64 s[36:37], 0, v[2:3]
	v_not_b32_e32 v3, v3
	v_ashrrev_i32_e32 v3, 31, v3
	v_and_b32_e32 v63, v63, v64
	v_xor_b32_e32 v64, s37, v3
	v_xor_b32_e32 v3, s36, v3
	v_and_b32_e32 v5, v5, v3
	v_lshlrev_b32_e32 v3, 26, v4
	v_cmp_gt_i64_e64 s[36:37], 0, v[2:3]
	v_not_b32_e32 v3, v3
	v_ashrrev_i32_e32 v3, 31, v3
	v_and_b32_e32 v63, v63, v64
	v_xor_b32_e32 v64, s37, v3
	v_xor_b32_e32 v3, s36, v3
	v_and_b32_e32 v5, v5, v3
	v_lshlrev_b32_e32 v3, 25, v4
	v_cmp_gt_i64_e64 s[36:37], 0, v[2:3]
	v_not_b32_e32 v3, v3
	v_ashrrev_i32_e32 v3, 31, v3
	v_and_b32_e32 v63, v63, v64
	v_xor_b32_e32 v64, s37, v3
	v_xor_b32_e32 v3, s36, v3
	v_and_b32_e32 v5, v5, v3
	v_lshlrev_b32_e32 v3, 24, v4
	v_cmp_gt_i64_e64 s[36:37], 0, v[2:3]
	v_not_b32_e32 v2, v3
	v_ashrrev_i32_e32 v2, 31, v2
	v_xor_b32_e32 v3, s37, v2
	v_xor_b32_e32 v2, s36, v2
	; wave barrier
	ds_read_b32 v60, v62 offset:32
	v_and_b32_e32 v63, v63, v64
	v_and_b32_e32 v2, v5, v2
	;; [unrolled: 1-line block ×3, first 2 shown]
	v_mbcnt_lo_u32_b32 v4, v2, 0
	v_mbcnt_hi_u32_b32 v66, v3, v4
	v_cmp_eq_u32_e64 s[36:37], 0, v66
	v_cmp_ne_u64_e64 s[40:41], 0, v[2:3]
	s_and_b64 s[40:41], s[40:41], s[36:37]
	; wave barrier
	s_and_saveexec_b64 s[36:37], s[40:41]
	s_cbranch_execz .LBB188_61
; %bb.60:
	v_bcnt_u32_b32 v2, v2, 0
	v_bcnt_u32_b32 v2, v3, v2
	s_waitcnt lgkmcnt(0)
	v_add_u32_e32 v2, v60, v2
	ds_write_b32 v62, v2 offset:32
.LBB188_61:
	s_or_b64 exec, exec, s[36:37]
	v_lshrrev_b32_e32 v2, s56, v35
	v_and_b32_e32 v4, s69, v2
	v_and_b32_e32 v3, 1, v4
	v_add_co_u32_e64 v5, s[36:37], -1, v3
	v_addc_co_u32_e64 v64, s[36:37], 0, -1, s[36:37]
	v_cmp_ne_u32_e64 s[36:37], 0, v3
	v_lshl_add_u32 v2, v4, 3, v4
	v_xor_b32_e32 v3, s37, v64
	v_add_lshl_u32 v63, v21, v2, 2
	v_mov_b32_e32 v2, 0
	v_and_b32_e32 v64, exec_hi, v3
	v_lshlrev_b32_e32 v3, 30, v4
	v_xor_b32_e32 v5, s36, v5
	v_cmp_gt_i64_e64 s[36:37], 0, v[2:3]
	v_not_b32_e32 v3, v3
	v_ashrrev_i32_e32 v3, 31, v3
	v_and_b32_e32 v5, exec_lo, v5
	v_xor_b32_e32 v67, s37, v3
	v_xor_b32_e32 v3, s36, v3
	v_and_b32_e32 v5, v5, v3
	v_lshlrev_b32_e32 v3, 29, v4
	v_cmp_gt_i64_e64 s[36:37], 0, v[2:3]
	v_not_b32_e32 v3, v3
	v_ashrrev_i32_e32 v3, 31, v3
	v_and_b32_e32 v64, v64, v67
	v_xor_b32_e32 v67, s37, v3
	v_xor_b32_e32 v3, s36, v3
	v_and_b32_e32 v5, v5, v3
	v_lshlrev_b32_e32 v3, 28, v4
	v_cmp_gt_i64_e64 s[36:37], 0, v[2:3]
	v_not_b32_e32 v3, v3
	v_ashrrev_i32_e32 v3, 31, v3
	v_and_b32_e32 v64, v64, v67
	;; [unrolled: 8-line block ×5, first 2 shown]
	v_xor_b32_e32 v67, s37, v3
	v_xor_b32_e32 v3, s36, v3
	v_and_b32_e32 v64, v64, v67
	v_and_b32_e32 v67, v5, v3
	v_lshlrev_b32_e32 v3, 24, v4
	v_cmp_gt_i64_e64 s[36:37], 0, v[2:3]
	v_not_b32_e32 v3, v3
	v_ashrrev_i32_e32 v3, 31, v3
	v_xor_b32_e32 v4, s37, v3
	v_xor_b32_e32 v3, s36, v3
	; wave barrier
	ds_read_b32 v65, v63 offset:32
	v_and_b32_e32 v5, v64, v4
	v_and_b32_e32 v4, v67, v3
	v_mbcnt_lo_u32_b32 v3, v4, 0
	v_mbcnt_hi_u32_b32 v67, v5, v3
	v_cmp_eq_u32_e64 s[36:37], 0, v67
	v_cmp_ne_u64_e64 s[40:41], 0, v[4:5]
	s_and_b64 s[40:41], s[40:41], s[36:37]
	; wave barrier
	s_and_saveexec_b64 s[36:37], s[40:41]
	s_cbranch_execz .LBB188_63
; %bb.62:
	v_bcnt_u32_b32 v3, v4, 0
	v_bcnt_u32_b32 v3, v5, v3
	s_waitcnt lgkmcnt(0)
	v_add_u32_e32 v3, v65, v3
	ds_write_b32 v63, v3 offset:32
.LBB188_63:
	s_or_b64 exec, exec, s[36:37]
	v_lshrrev_b32_e32 v3, s56, v38
	v_and_b32_e32 v4, s69, v3
	v_lshl_add_u32 v3, v4, 3, v4
	v_add_lshl_u32 v70, v21, v3, 2
	v_and_b32_e32 v3, 1, v4
	v_add_co_u32_e64 v5, s[36:37], -1, v3
	v_addc_co_u32_e64 v68, s[36:37], 0, -1, s[36:37]
	v_cmp_ne_u32_e64 s[36:37], 0, v3
	v_xor_b32_e32 v3, s37, v68
	v_and_b32_e32 v68, exec_hi, v3
	v_lshlrev_b32_e32 v3, 30, v4
	v_xor_b32_e32 v5, s36, v5
	v_cmp_gt_i64_e64 s[36:37], 0, v[2:3]
	v_not_b32_e32 v3, v3
	v_ashrrev_i32_e32 v3, 31, v3
	v_and_b32_e32 v5, exec_lo, v5
	v_xor_b32_e32 v69, s37, v3
	v_xor_b32_e32 v3, s36, v3
	v_and_b32_e32 v5, v5, v3
	v_lshlrev_b32_e32 v3, 29, v4
	v_cmp_gt_i64_e64 s[36:37], 0, v[2:3]
	v_not_b32_e32 v3, v3
	v_ashrrev_i32_e32 v3, 31, v3
	v_and_b32_e32 v68, v68, v69
	v_xor_b32_e32 v69, s37, v3
	v_xor_b32_e32 v3, s36, v3
	v_and_b32_e32 v5, v5, v3
	v_lshlrev_b32_e32 v3, 28, v4
	v_cmp_gt_i64_e64 s[36:37], 0, v[2:3]
	v_not_b32_e32 v3, v3
	v_ashrrev_i32_e32 v3, 31, v3
	v_and_b32_e32 v68, v68, v69
	;; [unrolled: 8-line block ×5, first 2 shown]
	v_xor_b32_e32 v69, s37, v3
	v_xor_b32_e32 v3, s36, v3
	v_and_b32_e32 v5, v5, v3
	v_lshlrev_b32_e32 v3, 24, v4
	v_cmp_gt_i64_e64 s[36:37], 0, v[2:3]
	v_not_b32_e32 v2, v3
	v_ashrrev_i32_e32 v2, 31, v2
	v_xor_b32_e32 v3, s37, v2
	v_xor_b32_e32 v2, s36, v2
	; wave barrier
	ds_read_b32 v64, v70 offset:32
	v_and_b32_e32 v68, v68, v69
	v_and_b32_e32 v2, v5, v2
	;; [unrolled: 1-line block ×3, first 2 shown]
	v_mbcnt_lo_u32_b32 v4, v2, 0
	v_mbcnt_hi_u32_b32 v68, v3, v4
	v_cmp_eq_u32_e64 s[36:37], 0, v68
	v_cmp_ne_u64_e64 s[40:41], 0, v[2:3]
	s_and_b64 s[40:41], s[40:41], s[36:37]
	; wave barrier
	s_and_saveexec_b64 s[36:37], s[40:41]
	s_cbranch_execz .LBB188_65
; %bb.64:
	v_bcnt_u32_b32 v2, v2, 0
	v_bcnt_u32_b32 v2, v3, v2
	s_waitcnt lgkmcnt(0)
	v_add_u32_e32 v2, v64, v2
	ds_write_b32 v70, v2 offset:32
.LBB188_65:
	s_or_b64 exec, exec, s[36:37]
	v_lshrrev_b32_e32 v2, s56, v37
	v_and_b32_e32 v4, s69, v2
	v_and_b32_e32 v3, 1, v4
	v_add_co_u32_e64 v5, s[36:37], -1, v3
	v_addc_co_u32_e64 v71, s[36:37], 0, -1, s[36:37]
	v_cmp_ne_u32_e64 s[36:37], 0, v3
	v_lshl_add_u32 v2, v4, 3, v4
	v_xor_b32_e32 v3, s37, v71
	v_add_lshl_u32 v72, v21, v2, 2
	v_mov_b32_e32 v2, 0
	v_and_b32_e32 v71, exec_hi, v3
	v_lshlrev_b32_e32 v3, 30, v4
	v_xor_b32_e32 v5, s36, v5
	v_cmp_gt_i64_e64 s[36:37], 0, v[2:3]
	v_not_b32_e32 v3, v3
	v_ashrrev_i32_e32 v3, 31, v3
	v_and_b32_e32 v5, exec_lo, v5
	v_xor_b32_e32 v73, s37, v3
	v_xor_b32_e32 v3, s36, v3
	v_and_b32_e32 v5, v5, v3
	v_lshlrev_b32_e32 v3, 29, v4
	v_cmp_gt_i64_e64 s[36:37], 0, v[2:3]
	v_not_b32_e32 v3, v3
	v_ashrrev_i32_e32 v3, 31, v3
	v_and_b32_e32 v71, v71, v73
	v_xor_b32_e32 v73, s37, v3
	v_xor_b32_e32 v3, s36, v3
	v_and_b32_e32 v5, v5, v3
	v_lshlrev_b32_e32 v3, 28, v4
	v_cmp_gt_i64_e64 s[36:37], 0, v[2:3]
	v_not_b32_e32 v3, v3
	v_ashrrev_i32_e32 v3, 31, v3
	v_and_b32_e32 v71, v71, v73
	;; [unrolled: 8-line block ×5, first 2 shown]
	v_xor_b32_e32 v73, s37, v3
	v_xor_b32_e32 v3, s36, v3
	v_and_b32_e32 v71, v71, v73
	v_and_b32_e32 v73, v5, v3
	v_lshlrev_b32_e32 v3, 24, v4
	v_cmp_gt_i64_e64 s[36:37], 0, v[2:3]
	v_not_b32_e32 v3, v3
	v_ashrrev_i32_e32 v3, 31, v3
	v_xor_b32_e32 v4, s37, v3
	v_xor_b32_e32 v3, s36, v3
	; wave barrier
	ds_read_b32 v69, v72 offset:32
	v_and_b32_e32 v5, v71, v4
	v_and_b32_e32 v4, v73, v3
	v_mbcnt_lo_u32_b32 v3, v4, 0
	v_mbcnt_hi_u32_b32 v71, v5, v3
	v_cmp_eq_u32_e64 s[36:37], 0, v71
	v_cmp_ne_u64_e64 s[40:41], 0, v[4:5]
	s_and_b64 s[40:41], s[40:41], s[36:37]
	; wave barrier
	s_and_saveexec_b64 s[36:37], s[40:41]
	s_cbranch_execz .LBB188_67
; %bb.66:
	v_bcnt_u32_b32 v3, v4, 0
	v_bcnt_u32_b32 v3, v5, v3
	s_waitcnt lgkmcnt(0)
	v_add_u32_e32 v3, v69, v3
	ds_write_b32 v72, v3 offset:32
.LBB188_67:
	s_or_b64 exec, exec, s[36:37]
	v_lshrrev_b32_e32 v3, s56, v39
	v_and_b32_e32 v4, s69, v3
	v_lshl_add_u32 v3, v4, 3, v4
	v_add_lshl_u32 v74, v21, v3, 2
	v_and_b32_e32 v3, 1, v4
	v_add_co_u32_e64 v5, s[36:37], -1, v3
	v_addc_co_u32_e64 v73, s[36:37], 0, -1, s[36:37]
	v_cmp_ne_u32_e64 s[36:37], 0, v3
	v_xor_b32_e32 v3, s37, v73
	v_and_b32_e32 v73, exec_hi, v3
	v_lshlrev_b32_e32 v3, 30, v4
	v_xor_b32_e32 v5, s36, v5
	v_cmp_gt_i64_e64 s[36:37], 0, v[2:3]
	v_not_b32_e32 v3, v3
	v_ashrrev_i32_e32 v3, 31, v3
	v_and_b32_e32 v5, exec_lo, v5
	v_xor_b32_e32 v76, s37, v3
	v_xor_b32_e32 v3, s36, v3
	v_and_b32_e32 v5, v5, v3
	v_lshlrev_b32_e32 v3, 29, v4
	v_cmp_gt_i64_e64 s[36:37], 0, v[2:3]
	v_not_b32_e32 v3, v3
	v_ashrrev_i32_e32 v3, 31, v3
	v_and_b32_e32 v73, v73, v76
	v_xor_b32_e32 v76, s37, v3
	v_xor_b32_e32 v3, s36, v3
	v_and_b32_e32 v5, v5, v3
	v_lshlrev_b32_e32 v3, 28, v4
	v_cmp_gt_i64_e64 s[36:37], 0, v[2:3]
	v_not_b32_e32 v3, v3
	v_ashrrev_i32_e32 v3, 31, v3
	v_and_b32_e32 v73, v73, v76
	;; [unrolled: 8-line block ×5, first 2 shown]
	v_xor_b32_e32 v76, s37, v3
	v_xor_b32_e32 v3, s36, v3
	v_and_b32_e32 v5, v5, v3
	v_lshlrev_b32_e32 v3, 24, v4
	v_cmp_gt_i64_e64 s[36:37], 0, v[2:3]
	v_not_b32_e32 v2, v3
	v_ashrrev_i32_e32 v2, 31, v2
	v_xor_b32_e32 v3, s37, v2
	v_xor_b32_e32 v2, s36, v2
	; wave barrier
	ds_read_b32 v21, v74 offset:32
	v_and_b32_e32 v73, v73, v76
	v_and_b32_e32 v2, v5, v2
	v_and_b32_e32 v3, v73, v3
	v_mbcnt_lo_u32_b32 v4, v2, 0
	v_mbcnt_hi_u32_b32 v73, v3, v4
	v_cmp_eq_u32_e64 s[36:37], 0, v73
	v_cmp_ne_u64_e64 s[40:41], 0, v[2:3]
	v_add_u32_e32 v75, 32, v7
	s_and_b64 s[40:41], s[40:41], s[36:37]
	; wave barrier
	s_and_saveexec_b64 s[36:37], s[40:41]
	s_cbranch_execz .LBB188_69
; %bb.68:
	v_bcnt_u32_b32 v2, v2, 0
	v_bcnt_u32_b32 v2, v3, v2
	s_waitcnt lgkmcnt(0)
	v_add_u32_e32 v2, v21, v2
	ds_write_b32 v74, v2 offset:32
.LBB188_69:
	s_or_b64 exec, exec, s[36:37]
	; wave barrier
	s_waitcnt lgkmcnt(0)
	s_barrier
	ds_read2_b32 v[4:5], v7 offset0:8 offset1:9
	ds_read2_b32 v[2:3], v75 offset0:2 offset1:3
	ds_read_b32 v76, v75 offset:16
	s_waitcnt lgkmcnt(1)
	v_add3_u32 v77, v5, v4, v2
	s_waitcnt lgkmcnt(0)
	v_add3_u32 v76, v77, v3, v76
	v_and_b32_e32 v77, 15, v6
	v_cmp_ne_u32_e64 s[36:37], 0, v77
	v_mov_b32_dpp v78, v76 row_shr:1 row_mask:0xf bank_mask:0xf
	v_cndmask_b32_e64 v78, 0, v78, s[36:37]
	v_add_u32_e32 v76, v78, v76
	v_cmp_lt_u32_e64 s[36:37], 1, v77
	s_nop 0
	v_mov_b32_dpp v78, v76 row_shr:2 row_mask:0xf bank_mask:0xf
	v_cndmask_b32_e64 v78, 0, v78, s[36:37]
	v_add_u32_e32 v76, v76, v78
	v_cmp_lt_u32_e64 s[36:37], 3, v77
	s_nop 0
	;; [unrolled: 5-line block ×3, first 2 shown]
	v_mov_b32_dpp v78, v76 row_shr:8 row_mask:0xf bank_mask:0xf
	v_cndmask_b32_e64 v77, 0, v78, s[36:37]
	v_add_u32_e32 v76, v76, v77
	v_bfe_i32 v78, v6, 4, 1
	v_cmp_lt_u32_e64 s[36:37], 31, v6
	v_mov_b32_dpp v77, v76 row_bcast:15 row_mask:0xf bank_mask:0xf
	v_and_b32_e32 v77, v78, v77
	v_add_u32_e32 v76, v76, v77
	v_and_b32_e32 v78, 0x3c0, v18
	v_min_u32_e32 v78, 0x1c0, v78
	v_mov_b32_dpp v77, v76 row_bcast:31 row_mask:0xf bank_mask:0xf
	v_cndmask_b32_e64 v77, 0, v77, s[36:37]
	v_or_b32_e32 v78, 63, v78
	v_add_u32_e32 v76, v76, v77
	v_lshrrev_b32_e32 v77, 6, v18
	v_cmp_eq_u32_e64 s[36:37], v78, v18
	s_and_saveexec_b64 s[40:41], s[36:37]
	s_cbranch_execz .LBB188_71
; %bb.70:
	v_lshlrev_b32_e32 v78, 2, v77
	ds_write_b32 v78, v76
.LBB188_71:
	s_or_b64 exec, exec, s[40:41]
	v_cmp_gt_u32_e64 s[36:37], 8, v18
	s_waitcnt lgkmcnt(0)
	s_barrier
	s_and_saveexec_b64 s[60:61], s[36:37]
	s_cbranch_execz .LBB188_73
; %bb.72:
	v_lshlrev_b32_e32 v78, 2, v18
	ds_read_b32 v79, v78
	v_and_b32_e32 v80, 7, v6
	v_cmp_ne_u32_e64 s[36:37], 0, v80
	v_cmp_lt_u32_e64 s[40:41], 1, v80
	s_waitcnt lgkmcnt(0)
	v_mov_b32_dpp v81, v79 row_shr:1 row_mask:0xf bank_mask:0xf
	v_cndmask_b32_e64 v81, 0, v81, s[36:37]
	v_add_u32_e32 v79, v81, v79
	v_cmp_lt_u32_e64 s[36:37], 3, v80
	s_nop 0
	v_mov_b32_dpp v81, v79 row_shr:2 row_mask:0xf bank_mask:0xf
	v_cndmask_b32_e64 v81, 0, v81, s[40:41]
	v_add_u32_e32 v79, v79, v81
	s_nop 1
	v_mov_b32_dpp v81, v79 row_shr:4 row_mask:0xf bank_mask:0xf
	v_cndmask_b32_e64 v80, 0, v81, s[36:37]
	v_add_u32_e32 v79, v79, v80
	ds_write_b32 v78, v79
.LBB188_73:
	s_or_b64 exec, exec, s[60:61]
	v_cmp_lt_u32_e64 s[36:37], 63, v18
	v_mov_b32_e32 v78, 0
	s_waitcnt lgkmcnt(0)
	s_barrier
	s_and_saveexec_b64 s[40:41], s[36:37]
	s_cbranch_execz .LBB188_75
; %bb.74:
	v_lshl_add_u32 v77, v77, 2, -4
	ds_read_b32 v78, v77
.LBB188_75:
	s_or_b64 exec, exec, s[40:41]
	v_add_u32_e32 v77, -1, v6
	v_and_b32_e32 v79, 64, v6
	v_cmp_lt_i32_e64 s[36:37], v77, v79
	v_cndmask_b32_e64 v77, v77, v6, s[36:37]
	s_waitcnt lgkmcnt(0)
	v_add_u32_e32 v76, v78, v76
	v_lshlrev_b32_e32 v77, 2, v77
	ds_bpermute_b32 v76, v77, v76
	v_cmp_eq_u32_e64 s[36:37], 0, v6
	s_waitcnt lgkmcnt(0)
	v_cndmask_b32_e64 v6, v76, v78, s[36:37]
	v_cndmask_b32_e64 v6, v6, 0, s[0:1]
	v_add_u32_e32 v4, v6, v4
	v_add_u32_e32 v5, v4, v5
	;; [unrolled: 1-line block ×4, first 2 shown]
	ds_write2_b32 v7, v6, v4 offset0:8 offset1:9
	ds_write2_b32 v75, v5, v2 offset0:2 offset1:3
	ds_write_b32 v75, v3 offset:16
	s_waitcnt lgkmcnt(0)
	s_barrier
	ds_read_b32 v78, v12 offset:32
	ds_read_b32 v12, v13 offset:32
	;; [unrolled: 1-line block ×16, first 2 shown]
	s_movk_i32 s36, 0x100
	v_cmp_gt_u32_e64 s[36:37], s36, v18
                                        ; implicit-def: $vgpr55
                                        ; implicit-def: $vgpr58
	s_and_saveexec_b64 s[60:61], s[36:37]
	s_cbranch_execz .LBB188_79
; %bb.76:
	v_mul_u32_u24_e32 v2, 9, v18
	v_lshlrev_b32_e32 v3, 2, v2
	ds_read_b32 v55, v3 offset:32
	s_movk_i32 s40, 0xff
	v_cmp_ne_u32_e64 s[40:41], s40, v18
	v_mov_b32_e32 v2, 0x2000
	s_and_saveexec_b64 s[62:63], s[40:41]
	s_cbranch_execz .LBB188_78
; %bb.77:
	ds_read_b32 v2, v3 offset:68
.LBB188_78:
	s_or_b64 exec, exec, s[62:63]
	s_waitcnt lgkmcnt(0)
	v_sub_u32_e32 v58, v2, v55
.LBB188_79:
	s_or_b64 exec, exec, s[60:61]
	s_waitcnt lgkmcnt(0)
	s_barrier
	s_and_saveexec_b64 s[60:61], s[36:37]
	s_cbranch_execz .LBB188_89
; %bb.80:
	v_lshl_or_b32 v2, s33, 8, v18
	v_mov_b32_e32 v3, 0
	v_lshlrev_b64 v[4:5], 2, v[2:3]
	v_mov_b32_e32 v40, s43
	v_add_co_u32_e64 v4, s[40:41], s42, v4
	v_addc_co_u32_e64 v5, s[40:41], v40, v5, s[40:41]
	v_or_b32_e32 v2, 2.0, v58
	s_mov_b64 s[62:63], 0
	s_brev_b32 s70, 1
	s_mov_b32 s71, s33
	v_mov_b32_e32 v43, 0
	global_store_dword v[4:5], v2, off
                                        ; implicit-def: $sgpr40_sgpr41
	s_branch .LBB188_82
.LBB188_81:                             ;   in Loop: Header=BB188_82 Depth=1
	s_or_b64 exec, exec, s[64:65]
	v_and_b32_e32 v6, 0x3fffffff, v61
	v_add_u32_e32 v43, v6, v43
	v_cmp_eq_u32_e64 s[40:41], s70, v2
	s_and_b64 s[64:65], exec, s[40:41]
	s_or_b64 s[62:63], s[64:65], s[62:63]
	s_andn2_b64 exec, exec, s[62:63]
	s_cbranch_execz .LBB188_88
.LBB188_82:                             ; =>This Loop Header: Depth=1
                                        ;     Child Loop BB188_85 Depth 2
	s_or_b64 s[40:41], s[40:41], exec
	s_cmp_eq_u32 s71, 0
	s_cbranch_scc1 .LBB188_87
; %bb.83:                               ;   in Loop: Header=BB188_82 Depth=1
	s_add_i32 s71, s71, -1
	v_lshl_or_b32 v2, s71, 8, v18
	v_lshlrev_b64 v[6:7], 2, v[2:3]
	v_add_co_u32_e64 v6, s[40:41], s42, v6
	v_addc_co_u32_e64 v7, s[40:41], v40, v7, s[40:41]
	global_load_dword v61, v[6:7], off glc
	s_waitcnt vmcnt(0)
	v_and_b32_e32 v2, -2.0, v61
	v_cmp_eq_u32_e64 s[40:41], 0, v2
	s_and_saveexec_b64 s[64:65], s[40:41]
	s_cbranch_execz .LBB188_81
; %bb.84:                               ;   in Loop: Header=BB188_82 Depth=1
	s_mov_b64 s[66:67], 0
.LBB188_85:                             ;   Parent Loop BB188_82 Depth=1
                                        ; =>  This Inner Loop Header: Depth=2
	global_load_dword v61, v[6:7], off glc
	s_waitcnt vmcnt(0)
	v_and_b32_e32 v2, -2.0, v61
	v_cmp_ne_u32_e64 s[40:41], 0, v2
	s_or_b64 s[66:67], s[40:41], s[66:67]
	s_andn2_b64 exec, exec, s[66:67]
	s_cbranch_execnz .LBB188_85
; %bb.86:                               ;   in Loop: Header=BB188_82 Depth=1
	s_or_b64 exec, exec, s[66:67]
	s_branch .LBB188_81
.LBB188_87:                             ;   in Loop: Header=BB188_82 Depth=1
                                        ; implicit-def: $sgpr71
	s_and_b64 s[64:65], exec, s[40:41]
	s_or_b64 s[62:63], s[64:65], s[62:63]
	s_andn2_b64 exec, exec, s[62:63]
	s_cbranch_execnz .LBB188_82
.LBB188_88:
	s_or_b64 exec, exec, s[62:63]
	v_add_u32_e32 v2, v43, v58
	v_or_b32_e32 v2, 0x80000000, v2
	global_store_dword v[4:5], v2, off
	v_lshlrev_b32_e32 v2, 2, v18
	global_load_dword v3, v2, s[52:53]
	v_sub_u32_e32 v4, v43, v55
	s_waitcnt vmcnt(0)
	v_add_u32_e32 v3, v4, v3
	ds_write_b32 v2, v3
.LBB188_89:
	s_or_b64 exec, exec, s[60:61]
	v_lshlrev_b32_e32 v40, 2, v18
	v_add_u32_e32 v61, v78, v8
	s_movk_i32 s62, 0x400
	v_add_u32_e32 v43, 0x400, v40
	v_add3_u32 v62, v73, v62, v21
	v_add3_u32 v63, v71, v63, v69
	;; [unrolled: 1-line block ×15, first 2 shown]
	s_mov_b32 s63, 0
	v_mov_b32_e32 v21, 0
	s_movk_i32 s64, 0x200
	s_movk_i32 s65, 0x600
	v_mov_b32_e32 v41, v18
	s_mov_b32 s66, 0
                                        ; implicit-def: $vgpr2_vgpr3_vgpr4_vgpr5_vgpr6_vgpr7_vgpr8_vgpr9_vgpr10_vgpr11_vgpr12_vgpr13_vgpr14_vgpr15_vgpr16_vgpr17
	s_branch .LBB188_91
.LBB188_90:                             ;   in Loop: Header=BB188_91 Depth=1
	s_or_b64 exec, exec, s[60:61]
	s_addk_i32 s66, 0xf800
	s_add_i32 s63, s63, 4
	s_cmpk_eq_i32 s66, 0xe000
	v_add_u32_e32 v41, 0x800, v41
	s_barrier
	s_cbranch_scc1 .LBB188_100
.LBB188_91:                             ; =>This Inner Loop Header: Depth=1
	v_add_u32_e32 v20, s66, v61
	v_min_u32_e32 v20, 0x800, v20
	v_lshlrev_b32_e32 v20, 2, v20
	ds_write_b32 v20, v25 offset:1024
	v_add_u32_e32 v20, s66, v71
	v_min_u32_e32 v20, 0x800, v20
	v_lshlrev_b32_e32 v20, 2, v20
	ds_write_b32 v20, v26 offset:1024
	;; [unrolled: 4-line block ×15, first 2 shown]
	v_add_u32_e32 v20, s66, v62
	v_min_u32_e32 v20, 0x800, v20
	v_lshlrev_b32_e32 v20, 2, v20
	v_cmp_gt_u32_e64 s[40:41], s7, v41
	ds_write_b32 v20, v39 offset:1024
	s_waitcnt lgkmcnt(0)
	s_barrier
	s_and_saveexec_b64 s[60:61], s[40:41]
	s_cbranch_execz .LBB188_93
; %bb.92:                               ;   in Loop: Header=BB188_91 Depth=1
	ds_read_b32 v42, v40 offset:1024
	v_mov_b32_e32 v47, s47
	s_waitcnt lgkmcnt(0)
	v_lshrrev_b32_e32 v20, s56, v42
	v_and_b32_e32 v46, s69, v20
	v_lshlrev_b32_e32 v20, 2, v46
	ds_read_b32 v20, v20
	s_waitcnt lgkmcnt(0)
	v_add_u32_e32 v20, v41, v20
	v_lshlrev_b64 v[44:45], 2, v[20:21]
	v_add_co_u32_e64 v44, s[40:41], s46, v44
	v_addc_co_u32_e64 v45, s[40:41], v47, v45, s[40:41]
	global_store_dword v[44:45], v42, off
	s_set_gpr_idx_on s63, gpr_idx(DST)
	v_mov_b32_e32 v2, v46
	s_set_gpr_idx_off
.LBB188_93:                             ;   in Loop: Header=BB188_91 Depth=1
	s_or_b64 exec, exec, s[60:61]
	v_add_u32_e32 v20, 0x200, v41
	v_cmp_gt_u32_e64 s[40:41], s7, v20
	s_and_saveexec_b64 s[60:61], s[40:41]
	s_cbranch_execz .LBB188_95
; %bb.94:                               ;   in Loop: Header=BB188_91 Depth=1
	ds_read_b32 v42, v43 offset:2048
	v_mov_b32_e32 v47, s47
	s_add_i32 s67, s63, 1
	s_waitcnt lgkmcnt(0)
	v_lshrrev_b32_e32 v20, s56, v42
	v_and_b32_e32 v46, s69, v20
	v_lshlrev_b32_e32 v20, 2, v46
	ds_read_b32 v20, v20
	s_waitcnt lgkmcnt(0)
	v_add3_u32 v20, v41, v20, s64
	v_lshlrev_b64 v[44:45], 2, v[20:21]
	v_add_co_u32_e64 v44, s[40:41], s46, v44
	v_addc_co_u32_e64 v45, s[40:41], v47, v45, s[40:41]
	global_store_dword v[44:45], v42, off
	s_set_gpr_idx_on s67, gpr_idx(DST)
	v_mov_b32_e32 v2, v46
	s_set_gpr_idx_off
.LBB188_95:                             ;   in Loop: Header=BB188_91 Depth=1
	s_or_b64 exec, exec, s[60:61]
	v_add_u32_e32 v20, 0x400, v41
	v_cmp_gt_u32_e64 s[40:41], s7, v20
	s_and_saveexec_b64 s[60:61], s[40:41]
	s_cbranch_execz .LBB188_97
; %bb.96:                               ;   in Loop: Header=BB188_91 Depth=1
	ds_read_b32 v42, v43 offset:4096
	v_mov_b32_e32 v47, s47
	s_add_i32 s67, s63, 2
	s_waitcnt lgkmcnt(0)
	v_lshrrev_b32_e32 v20, s56, v42
	v_and_b32_e32 v46, s69, v20
	v_lshlrev_b32_e32 v20, 2, v46
	ds_read_b32 v20, v20
	s_waitcnt lgkmcnt(0)
	v_add3_u32 v20, v41, v20, s62
	v_lshlrev_b64 v[44:45], 2, v[20:21]
	v_add_co_u32_e64 v44, s[40:41], s46, v44
	v_addc_co_u32_e64 v45, s[40:41], v47, v45, s[40:41]
	global_store_dword v[44:45], v42, off
	s_set_gpr_idx_on s67, gpr_idx(DST)
	v_mov_b32_e32 v2, v46
	s_set_gpr_idx_off
.LBB188_97:                             ;   in Loop: Header=BB188_91 Depth=1
	s_or_b64 exec, exec, s[60:61]
	v_add_u32_e32 v20, 0x600, v41
	v_cmp_gt_u32_e64 s[40:41], s7, v20
	s_and_saveexec_b64 s[60:61], s[40:41]
	s_cbranch_execz .LBB188_90
; %bb.98:                               ;   in Loop: Header=BB188_91 Depth=1
	ds_read_b32 v42, v43 offset:6144
	v_mov_b32_e32 v47, s47
	s_add_i32 s67, s63, 3
	s_waitcnt lgkmcnt(0)
	v_lshrrev_b32_e32 v20, s56, v42
	v_and_b32_e32 v46, s69, v20
	v_lshlrev_b32_e32 v20, 2, v46
	ds_read_b32 v20, v20
	s_waitcnt lgkmcnt(0)
	v_add3_u32 v20, v41, v20, s65
	v_lshlrev_b64 v[44:45], 2, v[20:21]
	v_add_co_u32_e64 v44, s[40:41], s46, v44
	v_addc_co_u32_e64 v45, s[40:41], v47, v45, s[40:41]
	global_store_dword v[44:45], v42, off
	s_set_gpr_idx_on s67, gpr_idx(DST)
	v_mov_b32_e32 v2, v46
	s_set_gpr_idx_off
	s_branch .LBB188_90
.LBB188_99:
	s_mov_b64 s[8:9], 0
                                        ; implicit-def: $vgpr2
	s_cbranch_execnz .LBB188_141
	s_branch .LBB188_200
.LBB188_100:
	s_lshl_b64 s[40:41], s[58:59], 3
	s_add_u32 s40, s48, s40
	s_addc_u32 s41, s49, s41
	v_lshlrev_b32_e32 v20, 3, v23
	v_mov_b32_e32 v21, s41
	v_add_co_u32_e64 v20, s[40:41], s40, v20
	v_addc_co_u32_e64 v21, s[40:41], 0, v21, s[40:41]
	v_lshlrev_b32_e32 v22, 3, v22
	v_add_co_u32_e64 v40, s[40:41], v20, v22
	v_addc_co_u32_e64 v41, s[40:41], 0, v21, s[40:41]
	v_mov_b32_e32 v20, 0
	v_mov_b32_e32 v22, 0
	;; [unrolled: 1-line block ×3, first 2 shown]
	s_and_saveexec_b64 s[40:41], s[34:35]
	s_cbranch_execz .LBB188_102
; %bb.101:
	global_load_dwordx2 v[22:23], v[40:41], off
.LBB188_102:
	s_or_b64 exec, exec, s[40:41]
	v_mov_b32_e32 v21, 0
	s_and_saveexec_b64 s[34:35], s[30:31]
	s_cbranch_execz .LBB188_104
; %bb.103:
	global_load_dwordx2 v[20:21], v[40:41], off offset:512
.LBB188_104:
	s_or_b64 exec, exec, s[34:35]
	v_mov_b32_e32 v24, 0
	v_mov_b32_e32 v26, 0
	v_mov_b32_e32 v27, 0
	s_and_saveexec_b64 s[30:31], s[28:29]
	s_cbranch_execz .LBB188_106
; %bb.105:
	global_load_dwordx2 v[26:27], v[40:41], off offset:1024
.LBB188_106:
	s_or_b64 exec, exec, s[30:31]
	v_mov_b32_e32 v25, 0
	s_and_saveexec_b64 s[28:29], s[26:27]
	s_cbranch_execz .LBB188_108
; %bb.107:
	global_load_dwordx2 v[24:25], v[40:41], off offset:1536
.LBB188_108:
	s_or_b64 exec, exec, s[28:29]
	v_mov_b32_e32 v28, 0
	v_mov_b32_e32 v30, 0
	v_mov_b32_e32 v31, 0
	s_and_saveexec_b64 s[26:27], s[24:25]
	s_cbranch_execz .LBB188_110
; %bb.109:
	global_load_dwordx2 v[30:31], v[40:41], off offset:2048
.LBB188_110:
	;; [unrolled: 16-line block ×3, first 2 shown]
	s_or_b64 exec, exec, s[22:23]
	v_mov_b32_e32 v33, 0
	s_and_saveexec_b64 s[20:21], s[18:19]
	s_cbranch_execz .LBB188_116
; %bb.115:
	global_load_dwordx2 v[32:33], v[40:41], off offset:3584
.LBB188_116:
	s_or_b64 exec, exec, s[20:21]
	v_mov_b32_e32 v36, 0
	v_mov_b32_e32 v38, 0
	;; [unrolled: 1-line block ×3, first 2 shown]
	s_and_saveexec_b64 s[18:19], vcc
	s_cbranch_execz .LBB188_118
; %bb.117:
	v_add_co_u32_e32 v38, vcc, 0x1000, v40
	v_addc_co_u32_e32 v39, vcc, 0, v41, vcc
	global_load_dwordx2 v[38:39], v[38:39], off
.LBB188_118:
	s_or_b64 exec, exec, s[18:19]
	v_mov_b32_e32 v37, 0
	s_and_saveexec_b64 s[18:19], s[16:17]
	s_cbranch_execz .LBB188_120
; %bb.119:
	v_add_co_u32_e32 v36, vcc, 0x1000, v40
	v_addc_co_u32_e32 v37, vcc, 0, v41, vcc
	global_load_dwordx2 v[36:37], v[36:37], off offset:512
.LBB188_120:
	s_or_b64 exec, exec, s[18:19]
	v_mov_b32_e32 v42, 0
	v_mov_b32_e32 v44, 0
	v_mov_b32_e32 v45, 0
	s_and_saveexec_b64 s[16:17], s[14:15]
	s_cbranch_execz .LBB188_122
; %bb.121:
	v_add_co_u32_e32 v44, vcc, 0x1000, v40
	v_addc_co_u32_e32 v45, vcc, 0, v41, vcc
	global_load_dwordx2 v[44:45], v[44:45], off offset:1024
.LBB188_122:
	s_or_b64 exec, exec, s[16:17]
	v_mov_b32_e32 v43, 0
	s_and_saveexec_b64 s[14:15], s[12:13]
	s_cbranch_execz .LBB188_124
; %bb.123:
	v_add_co_u32_e32 v42, vcc, 0x1000, v40
	v_addc_co_u32_e32 v43, vcc, 0, v41, vcc
	global_load_dwordx2 v[42:43], v[42:43], off offset:1536
.LBB188_124:
	s_or_b64 exec, exec, s[14:15]
	v_mov_b32_e32 v46, 0
	v_mov_b32_e32 v48, 0
	v_mov_b32_e32 v49, 0
	s_and_saveexec_b64 s[12:13], s[10:11]
	s_cbranch_execz .LBB188_126
; %bb.125:
	v_add_co_u32_e32 v48, vcc, 0x1000, v40
	v_addc_co_u32_e32 v49, vcc, 0, v41, vcc
	global_load_dwordx2 v[48:49], v[48:49], off offset:2048
.LBB188_126:
	;; [unrolled: 20-line block ×3, first 2 shown]
	s_or_b64 exec, exec, s[8:9]
	s_mov_b32 s10, 0
	v_mov_b32_e32 v51, 0
	s_and_saveexec_b64 s[8:9], s[2:3]
	s_cbranch_execz .LBB188_132
; %bb.131:
	v_add_co_u32_e32 v40, vcc, 0x1000, v40
	v_addc_co_u32_e32 v41, vcc, 0, v41, vcc
	global_load_dwordx2 v[50:51], v[40:41], off offset:3584
.LBB188_132:
	s_or_b64 exec, exec, s[8:9]
	v_lshlrev_b32_e32 v72, 3, v18
	v_add_u32_e32 v73, 0x400, v72
	v_mov_b32_e32 v41, 0
	s_movk_i32 s8, 0x200
	s_mov_b32 s9, 0
	v_mov_b32_e32 v74, v18
	s_waitcnt vmcnt(0)
	s_branch .LBB188_134
.LBB188_133:                            ;   in Loop: Header=BB188_134 Depth=1
	s_or_b64 exec, exec, s[2:3]
	s_addk_i32 s9, 0xfc00
	s_add_i32 s10, s10, 2
	s_cmpk_eq_i32 s9, 0xe000
	v_add_u32_e32 v74, 0x400, v74
	s_barrier
	s_cbranch_scc1 .LBB188_138
.LBB188_134:                            ; =>This Inner Loop Header: Depth=1
	v_add_u32_e32 v40, s9, v61
	v_min_u32_e32 v40, 0x400, v40
	v_lshlrev_b32_e32 v40, 3, v40
	ds_write_b64 v40, v[22:23] offset:1024
	v_add_u32_e32 v40, s9, v71
	v_min_u32_e32 v40, 0x400, v40
	v_lshlrev_b32_e32 v40, 3, v40
	ds_write_b64 v40, v[20:21] offset:1024
	;; [unrolled: 4-line block ×15, first 2 shown]
	v_add_u32_e32 v40, s9, v62
	v_min_u32_e32 v40, 0x400, v40
	v_lshlrev_b32_e32 v40, 3, v40
	v_cmp_gt_u32_e32 vcc, s7, v74
	ds_write_b64 v40, v[50:51] offset:1024
	s_waitcnt lgkmcnt(0)
	s_barrier
	s_and_saveexec_b64 s[2:3], vcc
	s_cbranch_execz .LBB188_136
; %bb.135:                              ;   in Loop: Header=BB188_134 Depth=1
	s_set_gpr_idx_on s10, gpr_idx(SRC0)
	v_mov_b32_e32 v40, v2
	s_set_gpr_idx_off
	v_lshlrev_b32_e32 v40, 2, v40
	ds_read_b32 v40, v40
	ds_read_b64 v[76:77], v72 offset:1024
	v_mov_b32_e32 v75, s51
	s_waitcnt lgkmcnt(1)
	v_add_u32_e32 v40, v74, v40
	v_lshlrev_b64 v[78:79], 3, v[40:41]
	v_add_co_u32_e32 v78, vcc, s50, v78
	v_addc_co_u32_e32 v79, vcc, v75, v79, vcc
	s_waitcnt lgkmcnt(0)
	global_store_dwordx2 v[78:79], v[76:77], off
.LBB188_136:                            ;   in Loop: Header=BB188_134 Depth=1
	s_or_b64 exec, exec, s[2:3]
	v_add_u32_e32 v40, 0x200, v74
	v_cmp_gt_u32_e32 vcc, s7, v40
	s_and_saveexec_b64 s[2:3], vcc
	s_cbranch_execz .LBB188_133
; %bb.137:                              ;   in Loop: Header=BB188_134 Depth=1
	s_add_i32 s11, s10, 1
	s_set_gpr_idx_on s11, gpr_idx(SRC0)
	v_mov_b32_e32 v40, v2
	s_set_gpr_idx_off
	v_lshlrev_b32_e32 v40, 2, v40
	ds_read_b32 v40, v40
	ds_read_b64 v[76:77], v73 offset:4096
	v_mov_b32_e32 v75, s51
	s_waitcnt lgkmcnt(1)
	v_add3_u32 v40, v74, v40, s8
	v_lshlrev_b64 v[78:79], 3, v[40:41]
	v_add_co_u32_e32 v78, vcc, s50, v78
	v_addc_co_u32_e32 v79, vcc, v75, v79, vcc
	s_waitcnt lgkmcnt(0)
	global_store_dwordx2 v[78:79], v[76:77], off
	s_branch .LBB188_133
.LBB188_138:
	s_add_i32 s68, s68, -1
	s_cmp_eq_u32 s68, s33
	s_cselect_b64 s[2:3], -1, 0
	s_and_b64 s[10:11], s[36:37], s[2:3]
	s_mov_b64 s[2:3], 0
	s_mov_b64 s[8:9], 0
                                        ; implicit-def: $vgpr2
	s_and_saveexec_b64 s[12:13], s[10:11]
	s_xor_b64 s[10:11], exec, s[12:13]
; %bb.139:
	s_mov_b64 s[8:9], exec
	v_add_u32_e32 v2, v55, v58
; %bb.140:
	s_or_b64 exec, exec, s[10:11]
	s_and_b64 vcc, exec, s[2:3]
	s_cbranch_vccz .LBB188_200
.LBB188_141:
	s_lshl_b32 s10, s33, 13
	s_mov_b32 s11, 0
	v_mbcnt_hi_u32_b32 v4, -1, v19
	s_lshl_b64 s[2:3], s[10:11], 2
	v_and_b32_e32 v20, 63, v4
	s_add_u32 s2, s44, s2
	v_and_b32_e32 v19, 0x3c00, v1
	v_lshlrev_b32_e32 v1, 2, v20
	v_add_co_u32_e32 v1, vcc, s2, v1
	s_load_dword s14, s[4:5], 0x58
	s_load_dword s2, s[4:5], 0x64
	s_addc_u32 s3, s45, s3
	v_mov_b32_e32 v3, s3
	s_add_u32 s3, s4, 0x58
	v_addc_co_u32_e32 v3, vcc, 0, v3, vcc
	v_lshlrev_b32_e32 v5, 2, v19
	s_addc_u32 s4, s5, 0
	s_waitcnt lgkmcnt(0)
	s_lshr_b32 s5, s2, 16
	v_add_co_u32_e32 v6, vcc, v1, v5
	s_cmp_lt_u32 s6, s14
	v_addc_co_u32_e32 v7, vcc, 0, v3, vcc
	s_cselect_b32 s2, 12, 18
	global_load_dword v21, v[6:7], off
	s_add_u32 s2, s3, s2
	v_mov_b32_e32 v2, 0
	s_addc_u32 s3, s4, 0
	global_load_ushort v1, v2, s[2:3]
	v_mul_u32_u24_e32 v5, 5, v18
	v_lshlrev_b32_e32 v5, 2, v5
	ds_write2_b32 v5, v2, v2 offset0:8 offset1:9
	ds_write2_b32 v5, v2, v2 offset0:10 offset1:11
	ds_write_b32 v5, v2 offset:48
	global_load_dword v22, v[6:7], off offset:256
	global_load_dword v23, v[6:7], off offset:512
	;; [unrolled: 1-line block ×15, first 2 shown]
	v_bfe_u32 v3, v0, 10, 10
	v_bfe_u32 v0, v0, 20, 10
	s_lshl_b32 s2, -1, s57
	v_mad_u32_u24 v0, v0, s5, v3
	s_not_b32 s15, s2
	s_waitcnt lgkmcnt(0)
	s_barrier
	s_waitcnt lgkmcnt(0)
	; wave barrier
	s_waitcnt vmcnt(16)
	v_lshrrev_b32_e32 v3, s56, v21
	v_and_b32_e32 v6, s15, v3
	v_and_b32_e32 v8, 1, v6
	v_lshlrev_b32_e32 v3, 30, v6
	s_waitcnt vmcnt(15)
	v_mad_u64_u32 v[0:1], s[2:3], v0, v1, v[18:19]
	v_add_co_u32_e32 v1, vcc, -1, v8
	v_addc_co_u32_e64 v9, s[2:3], 0, -1, vcc
	v_cmp_ne_u32_e32 vcc, 0, v8
	v_cmp_gt_i64_e64 s[2:3], 0, v[2:3]
	v_not_b32_e32 v8, v3
	v_lshlrev_b32_e32 v3, 29, v6
	v_lshl_add_u32 v7, v6, 3, v6
	v_lshrrev_b32_e32 v16, 6, v0
	v_xor_b32_e32 v0, vcc_hi, v9
	v_xor_b32_e32 v1, vcc_lo, v1
	v_ashrrev_i32_e32 v8, 31, v8
	v_cmp_gt_i64_e32 vcc, 0, v[2:3]
	v_not_b32_e32 v10, v3
	v_lshlrev_b32_e32 v3, 28, v6
	v_add_lshl_u32 v9, v16, v7, 2
	v_and_b32_e32 v0, exec_hi, v0
	v_and_b32_e32 v1, exec_lo, v1
	v_xor_b32_e32 v7, s3, v8
	v_xor_b32_e32 v8, s2, v8
	v_ashrrev_i32_e32 v10, 31, v10
	v_cmp_gt_i64_e64 s[2:3], 0, v[2:3]
	v_not_b32_e32 v3, v3
	v_and_b32_e32 v0, v0, v7
	v_and_b32_e32 v1, v1, v8
	v_xor_b32_e32 v7, vcc_hi, v10
	v_xor_b32_e32 v8, vcc_lo, v10
	v_ashrrev_i32_e32 v3, 31, v3
	v_and_b32_e32 v0, v0, v7
	v_and_b32_e32 v1, v1, v8
	v_xor_b32_e32 v7, s3, v3
	v_xor_b32_e32 v3, s2, v3
	v_and_b32_e32 v1, v1, v3
	v_lshlrev_b32_e32 v3, 27, v6
	v_cmp_gt_i64_e32 vcc, 0, v[2:3]
	v_not_b32_e32 v3, v3
	v_ashrrev_i32_e32 v3, 31, v3
	v_and_b32_e32 v0, v0, v7
	v_xor_b32_e32 v7, vcc_hi, v3
	v_xor_b32_e32 v3, vcc_lo, v3
	v_and_b32_e32 v1, v1, v3
	v_lshlrev_b32_e32 v3, 26, v6
	v_cmp_gt_i64_e32 vcc, 0, v[2:3]
	v_not_b32_e32 v3, v3
	v_ashrrev_i32_e32 v3, 31, v3
	v_and_b32_e32 v0, v0, v7
	v_xor_b32_e32 v7, vcc_hi, v3
	v_xor_b32_e32 v3, vcc_lo, v3
	;; [unrolled: 8-line block ×3, first 2 shown]
	v_and_b32_e32 v0, v0, v7
	v_and_b32_e32 v7, v1, v3
	v_lshlrev_b32_e32 v3, 24, v6
	v_not_b32_e32 v1, v3
	v_cmp_gt_i64_e32 vcc, 0, v[2:3]
	v_ashrrev_i32_e32 v1, 31, v1
	v_xor_b32_e32 v3, vcc_hi, v1
	v_xor_b32_e32 v6, vcc_lo, v1
	v_and_b32_e32 v1, v0, v3
	v_and_b32_e32 v0, v7, v6
	v_mbcnt_lo_u32_b32 v3, v0, 0
	v_mbcnt_hi_u32_b32 v6, v1, v3
	v_cmp_eq_u32_e32 vcc, 0, v6
	v_cmp_ne_u64_e64 s[2:3], 0, v[0:1]
	s_and_b64 s[4:5], s[2:3], vcc
	s_and_saveexec_b64 s[2:3], s[4:5]
	s_cbranch_execz .LBB188_143
; %bb.142:
	v_bcnt_u32_b32 v0, v0, 0
	v_bcnt_u32_b32 v0, v1, v0
	ds_write_b32 v9, v0 offset:32
.LBB188_143:
	s_or_b64 exec, exec, s[2:3]
	s_waitcnt vmcnt(14)
	v_lshrrev_b32_e32 v0, s56, v22
	v_and_b32_e32 v0, s15, v0
	v_lshl_add_u32 v1, v0, 3, v0
	v_add_lshl_u32 v11, v16, v1, 2
	v_and_b32_e32 v1, 1, v0
	v_add_co_u32_e32 v3, vcc, -1, v1
	v_addc_co_u32_e64 v8, s[2:3], 0, -1, vcc
	v_cmp_ne_u32_e32 vcc, 0, v1
	v_xor_b32_e32 v3, vcc_lo, v3
	v_xor_b32_e32 v1, vcc_hi, v8
	v_and_b32_e32 v8, exec_lo, v3
	v_lshlrev_b32_e32 v3, 30, v0
	v_cmp_gt_i64_e32 vcc, 0, v[2:3]
	v_not_b32_e32 v3, v3
	v_ashrrev_i32_e32 v3, 31, v3
	v_xor_b32_e32 v10, vcc_hi, v3
	v_xor_b32_e32 v3, vcc_lo, v3
	v_and_b32_e32 v8, v8, v3
	v_lshlrev_b32_e32 v3, 29, v0
	v_cmp_gt_i64_e32 vcc, 0, v[2:3]
	v_not_b32_e32 v3, v3
	v_and_b32_e32 v1, exec_hi, v1
	v_ashrrev_i32_e32 v3, 31, v3
	v_and_b32_e32 v1, v1, v10
	v_xor_b32_e32 v10, vcc_hi, v3
	v_xor_b32_e32 v3, vcc_lo, v3
	v_and_b32_e32 v8, v8, v3
	v_lshlrev_b32_e32 v3, 28, v0
	v_cmp_gt_i64_e32 vcc, 0, v[2:3]
	v_not_b32_e32 v3, v3
	v_ashrrev_i32_e32 v3, 31, v3
	v_and_b32_e32 v1, v1, v10
	v_xor_b32_e32 v10, vcc_hi, v3
	v_xor_b32_e32 v3, vcc_lo, v3
	v_and_b32_e32 v8, v8, v3
	v_lshlrev_b32_e32 v3, 27, v0
	v_cmp_gt_i64_e32 vcc, 0, v[2:3]
	v_not_b32_e32 v3, v3
	;; [unrolled: 8-line block ×4, first 2 shown]
	v_ashrrev_i32_e32 v3, 31, v3
	v_and_b32_e32 v1, v1, v10
	v_xor_b32_e32 v10, vcc_hi, v3
	v_xor_b32_e32 v3, vcc_lo, v3
	v_and_b32_e32 v8, v8, v3
	v_lshlrev_b32_e32 v3, 24, v0
	v_not_b32_e32 v0, v3
	v_cmp_gt_i64_e32 vcc, 0, v[2:3]
	v_ashrrev_i32_e32 v0, 31, v0
	v_xor_b32_e32 v2, vcc_hi, v0
	v_xor_b32_e32 v0, vcc_lo, v0
	; wave barrier
	ds_read_b32 v7, v11 offset:32
	v_and_b32_e32 v1, v1, v10
	v_and_b32_e32 v0, v8, v0
	;; [unrolled: 1-line block ×3, first 2 shown]
	v_mbcnt_lo_u32_b32 v2, v0, 0
	v_mbcnt_hi_u32_b32 v8, v1, v2
	v_cmp_eq_u32_e32 vcc, 0, v8
	v_cmp_ne_u64_e64 s[2:3], 0, v[0:1]
	s_and_b64 s[4:5], s[2:3], vcc
	; wave barrier
	s_and_saveexec_b64 s[2:3], s[4:5]
	s_cbranch_execz .LBB188_145
; %bb.144:
	v_bcnt_u32_b32 v0, v0, 0
	v_bcnt_u32_b32 v0, v1, v0
	s_waitcnt lgkmcnt(0)
	v_add_u32_e32 v0, v7, v0
	ds_write_b32 v11, v0 offset:32
.LBB188_145:
	s_or_b64 exec, exec, s[2:3]
	s_waitcnt vmcnt(13)
	v_lshrrev_b32_e32 v0, s56, v23
	v_and_b32_e32 v2, s15, v0
	v_and_b32_e32 v1, 1, v2
	v_add_co_u32_e32 v3, vcc, -1, v1
	v_addc_co_u32_e64 v12, s[2:3], 0, -1, vcc
	v_cmp_ne_u32_e32 vcc, 0, v1
	v_lshl_add_u32 v0, v2, 3, v2
	v_xor_b32_e32 v1, vcc_hi, v12
	v_add_lshl_u32 v14, v16, v0, 2
	v_mov_b32_e32 v0, 0
	v_and_b32_e32 v12, exec_hi, v1
	v_lshlrev_b32_e32 v1, 30, v2
	v_xor_b32_e32 v3, vcc_lo, v3
	v_cmp_gt_i64_e32 vcc, 0, v[0:1]
	v_not_b32_e32 v1, v1
	v_ashrrev_i32_e32 v1, 31, v1
	v_and_b32_e32 v3, exec_lo, v3
	v_xor_b32_e32 v13, vcc_hi, v1
	v_xor_b32_e32 v1, vcc_lo, v1
	v_and_b32_e32 v3, v3, v1
	v_lshlrev_b32_e32 v1, 29, v2
	v_cmp_gt_i64_e32 vcc, 0, v[0:1]
	v_not_b32_e32 v1, v1
	v_ashrrev_i32_e32 v1, 31, v1
	v_and_b32_e32 v12, v12, v13
	v_xor_b32_e32 v13, vcc_hi, v1
	v_xor_b32_e32 v1, vcc_lo, v1
	v_and_b32_e32 v3, v3, v1
	v_lshlrev_b32_e32 v1, 28, v2
	v_cmp_gt_i64_e32 vcc, 0, v[0:1]
	v_not_b32_e32 v1, v1
	v_ashrrev_i32_e32 v1, 31, v1
	v_and_b32_e32 v12, v12, v13
	;; [unrolled: 8-line block ×5, first 2 shown]
	v_xor_b32_e32 v13, vcc_hi, v1
	v_xor_b32_e32 v1, vcc_lo, v1
	v_and_b32_e32 v12, v12, v13
	v_and_b32_e32 v13, v3, v1
	v_lshlrev_b32_e32 v1, 24, v2
	v_cmp_gt_i64_e32 vcc, 0, v[0:1]
	v_not_b32_e32 v1, v1
	v_ashrrev_i32_e32 v1, 31, v1
	v_xor_b32_e32 v2, vcc_hi, v1
	v_xor_b32_e32 v1, vcc_lo, v1
	; wave barrier
	ds_read_b32 v10, v14 offset:32
	v_and_b32_e32 v3, v12, v2
	v_and_b32_e32 v2, v13, v1
	v_mbcnt_lo_u32_b32 v1, v2, 0
	v_mbcnt_hi_u32_b32 v12, v3, v1
	v_cmp_eq_u32_e32 vcc, 0, v12
	v_cmp_ne_u64_e64 s[2:3], 0, v[2:3]
	s_and_b64 s[4:5], s[2:3], vcc
	; wave barrier
	s_and_saveexec_b64 s[2:3], s[4:5]
	s_cbranch_execz .LBB188_147
; %bb.146:
	v_bcnt_u32_b32 v1, v2, 0
	v_bcnt_u32_b32 v1, v3, v1
	s_waitcnt lgkmcnt(0)
	v_add_u32_e32 v1, v10, v1
	ds_write_b32 v14, v1 offset:32
.LBB188_147:
	s_or_b64 exec, exec, s[2:3]
	s_waitcnt vmcnt(12)
	v_lshrrev_b32_e32 v1, s56, v24
	v_and_b32_e32 v2, s15, v1
	v_lshl_add_u32 v1, v2, 3, v2
	v_add_lshl_u32 v37, v16, v1, 2
	v_and_b32_e32 v1, 1, v2
	v_add_co_u32_e32 v3, vcc, -1, v1
	v_addc_co_u32_e64 v15, s[2:3], 0, -1, vcc
	v_cmp_ne_u32_e32 vcc, 0, v1
	v_xor_b32_e32 v1, vcc_hi, v15
	v_and_b32_e32 v15, exec_hi, v1
	v_lshlrev_b32_e32 v1, 30, v2
	v_xor_b32_e32 v3, vcc_lo, v3
	v_cmp_gt_i64_e32 vcc, 0, v[0:1]
	v_not_b32_e32 v1, v1
	v_ashrrev_i32_e32 v1, 31, v1
	v_and_b32_e32 v3, exec_lo, v3
	v_xor_b32_e32 v17, vcc_hi, v1
	v_xor_b32_e32 v1, vcc_lo, v1
	v_and_b32_e32 v3, v3, v1
	v_lshlrev_b32_e32 v1, 29, v2
	v_cmp_gt_i64_e32 vcc, 0, v[0:1]
	v_not_b32_e32 v1, v1
	v_ashrrev_i32_e32 v1, 31, v1
	v_and_b32_e32 v15, v15, v17
	v_xor_b32_e32 v17, vcc_hi, v1
	v_xor_b32_e32 v1, vcc_lo, v1
	v_and_b32_e32 v3, v3, v1
	v_lshlrev_b32_e32 v1, 28, v2
	v_cmp_gt_i64_e32 vcc, 0, v[0:1]
	v_not_b32_e32 v1, v1
	v_ashrrev_i32_e32 v1, 31, v1
	v_and_b32_e32 v15, v15, v17
	;; [unrolled: 8-line block ×5, first 2 shown]
	v_xor_b32_e32 v17, vcc_hi, v1
	v_xor_b32_e32 v1, vcc_lo, v1
	v_and_b32_e32 v3, v3, v1
	v_lshlrev_b32_e32 v1, 24, v2
	v_cmp_gt_i64_e32 vcc, 0, v[0:1]
	v_not_b32_e32 v0, v1
	v_ashrrev_i32_e32 v0, 31, v0
	v_xor_b32_e32 v1, vcc_hi, v0
	v_xor_b32_e32 v0, vcc_lo, v0
	; wave barrier
	ds_read_b32 v13, v37 offset:32
	v_and_b32_e32 v15, v15, v17
	v_and_b32_e32 v0, v3, v0
	;; [unrolled: 1-line block ×3, first 2 shown]
	v_mbcnt_lo_u32_b32 v2, v0, 0
	v_mbcnt_hi_u32_b32 v15, v1, v2
	v_cmp_eq_u32_e32 vcc, 0, v15
	v_cmp_ne_u64_e64 s[2:3], 0, v[0:1]
	s_and_b64 s[4:5], s[2:3], vcc
	; wave barrier
	s_and_saveexec_b64 s[2:3], s[4:5]
	s_cbranch_execz .LBB188_149
; %bb.148:
	v_bcnt_u32_b32 v0, v0, 0
	v_bcnt_u32_b32 v0, v1, v0
	s_waitcnt lgkmcnt(0)
	v_add_u32_e32 v0, v13, v0
	ds_write_b32 v37, v0 offset:32
.LBB188_149:
	s_or_b64 exec, exec, s[2:3]
	s_waitcnt vmcnt(11)
	v_lshrrev_b32_e32 v0, s56, v25
	v_and_b32_e32 v2, s15, v0
	v_and_b32_e32 v1, 1, v2
	v_add_co_u32_e32 v3, vcc, -1, v1
	v_addc_co_u32_e64 v38, s[2:3], 0, -1, vcc
	v_cmp_ne_u32_e32 vcc, 0, v1
	v_lshl_add_u32 v0, v2, 3, v2
	v_xor_b32_e32 v1, vcc_hi, v38
	v_add_lshl_u32 v40, v16, v0, 2
	v_mov_b32_e32 v0, 0
	v_and_b32_e32 v38, exec_hi, v1
	v_lshlrev_b32_e32 v1, 30, v2
	v_xor_b32_e32 v3, vcc_lo, v3
	v_cmp_gt_i64_e32 vcc, 0, v[0:1]
	v_not_b32_e32 v1, v1
	v_ashrrev_i32_e32 v1, 31, v1
	v_and_b32_e32 v3, exec_lo, v3
	v_xor_b32_e32 v39, vcc_hi, v1
	v_xor_b32_e32 v1, vcc_lo, v1
	v_and_b32_e32 v3, v3, v1
	v_lshlrev_b32_e32 v1, 29, v2
	v_cmp_gt_i64_e32 vcc, 0, v[0:1]
	v_not_b32_e32 v1, v1
	v_ashrrev_i32_e32 v1, 31, v1
	v_and_b32_e32 v38, v38, v39
	v_xor_b32_e32 v39, vcc_hi, v1
	v_xor_b32_e32 v1, vcc_lo, v1
	v_and_b32_e32 v3, v3, v1
	v_lshlrev_b32_e32 v1, 28, v2
	v_cmp_gt_i64_e32 vcc, 0, v[0:1]
	v_not_b32_e32 v1, v1
	v_ashrrev_i32_e32 v1, 31, v1
	v_and_b32_e32 v38, v38, v39
	;; [unrolled: 8-line block ×5, first 2 shown]
	v_xor_b32_e32 v39, vcc_hi, v1
	v_xor_b32_e32 v1, vcc_lo, v1
	v_and_b32_e32 v38, v38, v39
	v_and_b32_e32 v39, v3, v1
	v_lshlrev_b32_e32 v1, 24, v2
	v_cmp_gt_i64_e32 vcc, 0, v[0:1]
	v_not_b32_e32 v1, v1
	v_ashrrev_i32_e32 v1, 31, v1
	v_xor_b32_e32 v2, vcc_hi, v1
	v_xor_b32_e32 v1, vcc_lo, v1
	; wave barrier
	ds_read_b32 v17, v40 offset:32
	v_and_b32_e32 v3, v38, v2
	v_and_b32_e32 v2, v39, v1
	v_mbcnt_lo_u32_b32 v1, v2, 0
	v_mbcnt_hi_u32_b32 v38, v3, v1
	v_cmp_eq_u32_e32 vcc, 0, v38
	v_cmp_ne_u64_e64 s[2:3], 0, v[2:3]
	s_and_b64 s[4:5], s[2:3], vcc
	; wave barrier
	s_and_saveexec_b64 s[2:3], s[4:5]
	s_cbranch_execz .LBB188_151
; %bb.150:
	v_bcnt_u32_b32 v1, v2, 0
	v_bcnt_u32_b32 v1, v3, v1
	s_waitcnt lgkmcnt(0)
	v_add_u32_e32 v1, v17, v1
	ds_write_b32 v40, v1 offset:32
.LBB188_151:
	s_or_b64 exec, exec, s[2:3]
	s_waitcnt vmcnt(10)
	v_lshrrev_b32_e32 v1, s56, v26
	v_and_b32_e32 v2, s15, v1
	v_lshl_add_u32 v1, v2, 3, v2
	v_add_lshl_u32 v43, v16, v1, 2
	v_and_b32_e32 v1, 1, v2
	v_add_co_u32_e32 v3, vcc, -1, v1
	v_addc_co_u32_e64 v41, s[2:3], 0, -1, vcc
	v_cmp_ne_u32_e32 vcc, 0, v1
	v_xor_b32_e32 v1, vcc_hi, v41
	v_and_b32_e32 v41, exec_hi, v1
	v_lshlrev_b32_e32 v1, 30, v2
	v_xor_b32_e32 v3, vcc_lo, v3
	v_cmp_gt_i64_e32 vcc, 0, v[0:1]
	v_not_b32_e32 v1, v1
	v_ashrrev_i32_e32 v1, 31, v1
	v_and_b32_e32 v3, exec_lo, v3
	v_xor_b32_e32 v42, vcc_hi, v1
	v_xor_b32_e32 v1, vcc_lo, v1
	v_and_b32_e32 v3, v3, v1
	v_lshlrev_b32_e32 v1, 29, v2
	v_cmp_gt_i64_e32 vcc, 0, v[0:1]
	v_not_b32_e32 v1, v1
	v_ashrrev_i32_e32 v1, 31, v1
	v_and_b32_e32 v41, v41, v42
	v_xor_b32_e32 v42, vcc_hi, v1
	v_xor_b32_e32 v1, vcc_lo, v1
	v_and_b32_e32 v3, v3, v1
	v_lshlrev_b32_e32 v1, 28, v2
	v_cmp_gt_i64_e32 vcc, 0, v[0:1]
	v_not_b32_e32 v1, v1
	v_ashrrev_i32_e32 v1, 31, v1
	v_and_b32_e32 v41, v41, v42
	;; [unrolled: 8-line block ×5, first 2 shown]
	v_xor_b32_e32 v42, vcc_hi, v1
	v_xor_b32_e32 v1, vcc_lo, v1
	v_and_b32_e32 v3, v3, v1
	v_lshlrev_b32_e32 v1, 24, v2
	v_cmp_gt_i64_e32 vcc, 0, v[0:1]
	v_not_b32_e32 v0, v1
	v_ashrrev_i32_e32 v0, 31, v0
	v_xor_b32_e32 v1, vcc_hi, v0
	v_xor_b32_e32 v0, vcc_lo, v0
	; wave barrier
	ds_read_b32 v39, v43 offset:32
	v_and_b32_e32 v41, v41, v42
	v_and_b32_e32 v0, v3, v0
	;; [unrolled: 1-line block ×3, first 2 shown]
	v_mbcnt_lo_u32_b32 v2, v0, 0
	v_mbcnt_hi_u32_b32 v41, v1, v2
	v_cmp_eq_u32_e32 vcc, 0, v41
	v_cmp_ne_u64_e64 s[2:3], 0, v[0:1]
	s_and_b64 s[4:5], s[2:3], vcc
	; wave barrier
	s_and_saveexec_b64 s[2:3], s[4:5]
	s_cbranch_execz .LBB188_153
; %bb.152:
	v_bcnt_u32_b32 v0, v0, 0
	v_bcnt_u32_b32 v0, v1, v0
	s_waitcnt lgkmcnt(0)
	v_add_u32_e32 v0, v39, v0
	ds_write_b32 v43, v0 offset:32
.LBB188_153:
	s_or_b64 exec, exec, s[2:3]
	s_waitcnt vmcnt(9)
	v_lshrrev_b32_e32 v0, s56, v27
	v_and_b32_e32 v2, s15, v0
	v_and_b32_e32 v1, 1, v2
	v_add_co_u32_e32 v3, vcc, -1, v1
	v_addc_co_u32_e64 v44, s[2:3], 0, -1, vcc
	v_cmp_ne_u32_e32 vcc, 0, v1
	v_lshl_add_u32 v0, v2, 3, v2
	v_xor_b32_e32 v1, vcc_hi, v44
	v_add_lshl_u32 v46, v16, v0, 2
	v_mov_b32_e32 v0, 0
	v_and_b32_e32 v44, exec_hi, v1
	v_lshlrev_b32_e32 v1, 30, v2
	v_xor_b32_e32 v3, vcc_lo, v3
	v_cmp_gt_i64_e32 vcc, 0, v[0:1]
	v_not_b32_e32 v1, v1
	v_ashrrev_i32_e32 v1, 31, v1
	v_and_b32_e32 v3, exec_lo, v3
	v_xor_b32_e32 v45, vcc_hi, v1
	v_xor_b32_e32 v1, vcc_lo, v1
	v_and_b32_e32 v3, v3, v1
	v_lshlrev_b32_e32 v1, 29, v2
	v_cmp_gt_i64_e32 vcc, 0, v[0:1]
	v_not_b32_e32 v1, v1
	v_ashrrev_i32_e32 v1, 31, v1
	v_and_b32_e32 v44, v44, v45
	v_xor_b32_e32 v45, vcc_hi, v1
	v_xor_b32_e32 v1, vcc_lo, v1
	v_and_b32_e32 v3, v3, v1
	v_lshlrev_b32_e32 v1, 28, v2
	v_cmp_gt_i64_e32 vcc, 0, v[0:1]
	v_not_b32_e32 v1, v1
	v_ashrrev_i32_e32 v1, 31, v1
	v_and_b32_e32 v44, v44, v45
	;; [unrolled: 8-line block ×5, first 2 shown]
	v_xor_b32_e32 v45, vcc_hi, v1
	v_xor_b32_e32 v1, vcc_lo, v1
	v_and_b32_e32 v44, v44, v45
	v_and_b32_e32 v45, v3, v1
	v_lshlrev_b32_e32 v1, 24, v2
	v_cmp_gt_i64_e32 vcc, 0, v[0:1]
	v_not_b32_e32 v1, v1
	v_ashrrev_i32_e32 v1, 31, v1
	v_xor_b32_e32 v2, vcc_hi, v1
	v_xor_b32_e32 v1, vcc_lo, v1
	; wave barrier
	ds_read_b32 v42, v46 offset:32
	v_and_b32_e32 v3, v44, v2
	v_and_b32_e32 v2, v45, v1
	v_mbcnt_lo_u32_b32 v1, v2, 0
	v_mbcnt_hi_u32_b32 v44, v3, v1
	v_cmp_eq_u32_e32 vcc, 0, v44
	v_cmp_ne_u64_e64 s[2:3], 0, v[2:3]
	s_and_b64 s[4:5], s[2:3], vcc
	; wave barrier
	s_and_saveexec_b64 s[2:3], s[4:5]
	s_cbranch_execz .LBB188_155
; %bb.154:
	v_bcnt_u32_b32 v1, v2, 0
	v_bcnt_u32_b32 v1, v3, v1
	s_waitcnt lgkmcnt(0)
	v_add_u32_e32 v1, v42, v1
	ds_write_b32 v46, v1 offset:32
.LBB188_155:
	s_or_b64 exec, exec, s[2:3]
	s_waitcnt vmcnt(8)
	v_lshrrev_b32_e32 v1, s56, v28
	v_and_b32_e32 v2, s15, v1
	v_lshl_add_u32 v1, v2, 3, v2
	v_add_lshl_u32 v49, v16, v1, 2
	v_and_b32_e32 v1, 1, v2
	v_add_co_u32_e32 v3, vcc, -1, v1
	v_addc_co_u32_e64 v47, s[2:3], 0, -1, vcc
	v_cmp_ne_u32_e32 vcc, 0, v1
	v_xor_b32_e32 v1, vcc_hi, v47
	v_and_b32_e32 v47, exec_hi, v1
	v_lshlrev_b32_e32 v1, 30, v2
	v_xor_b32_e32 v3, vcc_lo, v3
	v_cmp_gt_i64_e32 vcc, 0, v[0:1]
	v_not_b32_e32 v1, v1
	v_ashrrev_i32_e32 v1, 31, v1
	v_and_b32_e32 v3, exec_lo, v3
	v_xor_b32_e32 v48, vcc_hi, v1
	v_xor_b32_e32 v1, vcc_lo, v1
	v_and_b32_e32 v3, v3, v1
	v_lshlrev_b32_e32 v1, 29, v2
	v_cmp_gt_i64_e32 vcc, 0, v[0:1]
	v_not_b32_e32 v1, v1
	v_ashrrev_i32_e32 v1, 31, v1
	v_and_b32_e32 v47, v47, v48
	v_xor_b32_e32 v48, vcc_hi, v1
	v_xor_b32_e32 v1, vcc_lo, v1
	v_and_b32_e32 v3, v3, v1
	v_lshlrev_b32_e32 v1, 28, v2
	v_cmp_gt_i64_e32 vcc, 0, v[0:1]
	v_not_b32_e32 v1, v1
	v_ashrrev_i32_e32 v1, 31, v1
	v_and_b32_e32 v47, v47, v48
	;; [unrolled: 8-line block ×5, first 2 shown]
	v_xor_b32_e32 v48, vcc_hi, v1
	v_xor_b32_e32 v1, vcc_lo, v1
	v_and_b32_e32 v3, v3, v1
	v_lshlrev_b32_e32 v1, 24, v2
	v_cmp_gt_i64_e32 vcc, 0, v[0:1]
	v_not_b32_e32 v0, v1
	v_ashrrev_i32_e32 v0, 31, v0
	v_xor_b32_e32 v1, vcc_hi, v0
	v_xor_b32_e32 v0, vcc_lo, v0
	; wave barrier
	ds_read_b32 v45, v49 offset:32
	v_and_b32_e32 v47, v47, v48
	v_and_b32_e32 v0, v3, v0
	;; [unrolled: 1-line block ×3, first 2 shown]
	v_mbcnt_lo_u32_b32 v2, v0, 0
	v_mbcnt_hi_u32_b32 v47, v1, v2
	v_cmp_eq_u32_e32 vcc, 0, v47
	v_cmp_ne_u64_e64 s[2:3], 0, v[0:1]
	s_and_b64 s[4:5], s[2:3], vcc
	; wave barrier
	s_and_saveexec_b64 s[2:3], s[4:5]
	s_cbranch_execz .LBB188_157
; %bb.156:
	v_bcnt_u32_b32 v0, v0, 0
	v_bcnt_u32_b32 v0, v1, v0
	s_waitcnt lgkmcnt(0)
	v_add_u32_e32 v0, v45, v0
	ds_write_b32 v49, v0 offset:32
.LBB188_157:
	s_or_b64 exec, exec, s[2:3]
	s_waitcnt vmcnt(7)
	v_lshrrev_b32_e32 v0, s56, v29
	v_and_b32_e32 v2, s15, v0
	v_and_b32_e32 v1, 1, v2
	v_add_co_u32_e32 v3, vcc, -1, v1
	v_addc_co_u32_e64 v50, s[2:3], 0, -1, vcc
	v_cmp_ne_u32_e32 vcc, 0, v1
	v_lshl_add_u32 v0, v2, 3, v2
	v_xor_b32_e32 v1, vcc_hi, v50
	v_add_lshl_u32 v52, v16, v0, 2
	v_mov_b32_e32 v0, 0
	v_and_b32_e32 v50, exec_hi, v1
	v_lshlrev_b32_e32 v1, 30, v2
	v_xor_b32_e32 v3, vcc_lo, v3
	v_cmp_gt_i64_e32 vcc, 0, v[0:1]
	v_not_b32_e32 v1, v1
	v_ashrrev_i32_e32 v1, 31, v1
	v_and_b32_e32 v3, exec_lo, v3
	v_xor_b32_e32 v51, vcc_hi, v1
	v_xor_b32_e32 v1, vcc_lo, v1
	v_and_b32_e32 v3, v3, v1
	v_lshlrev_b32_e32 v1, 29, v2
	v_cmp_gt_i64_e32 vcc, 0, v[0:1]
	v_not_b32_e32 v1, v1
	v_ashrrev_i32_e32 v1, 31, v1
	v_and_b32_e32 v50, v50, v51
	v_xor_b32_e32 v51, vcc_hi, v1
	v_xor_b32_e32 v1, vcc_lo, v1
	v_and_b32_e32 v3, v3, v1
	v_lshlrev_b32_e32 v1, 28, v2
	v_cmp_gt_i64_e32 vcc, 0, v[0:1]
	v_not_b32_e32 v1, v1
	v_ashrrev_i32_e32 v1, 31, v1
	v_and_b32_e32 v50, v50, v51
	v_xor_b32_e32 v51, vcc_hi, v1
	v_xor_b32_e32 v1, vcc_lo, v1
	v_and_b32_e32 v3, v3, v1
	v_lshlrev_b32_e32 v1, 27, v2
	v_cmp_gt_i64_e32 vcc, 0, v[0:1]
	v_not_b32_e32 v1, v1
	v_ashrrev_i32_e32 v1, 31, v1
	v_and_b32_e32 v50, v50, v51
	v_xor_b32_e32 v51, vcc_hi, v1
	v_xor_b32_e32 v1, vcc_lo, v1
	v_and_b32_e32 v3, v3, v1
	v_lshlrev_b32_e32 v1, 26, v2
	v_cmp_gt_i64_e32 vcc, 0, v[0:1]
	v_not_b32_e32 v1, v1
	v_ashrrev_i32_e32 v1, 31, v1
	v_and_b32_e32 v50, v50, v51
	v_xor_b32_e32 v51, vcc_hi, v1
	v_xor_b32_e32 v1, vcc_lo, v1
	v_and_b32_e32 v3, v3, v1
	v_lshlrev_b32_e32 v1, 25, v2
	v_cmp_gt_i64_e32 vcc, 0, v[0:1]
	v_not_b32_e32 v1, v1
	v_ashrrev_i32_e32 v1, 31, v1
	v_and_b32_e32 v50, v50, v51
	v_xor_b32_e32 v51, vcc_hi, v1
	v_xor_b32_e32 v1, vcc_lo, v1
	v_and_b32_e32 v50, v50, v51
	v_and_b32_e32 v51, v3, v1
	v_lshlrev_b32_e32 v1, 24, v2
	v_cmp_gt_i64_e32 vcc, 0, v[0:1]
	v_not_b32_e32 v1, v1
	v_ashrrev_i32_e32 v1, 31, v1
	v_xor_b32_e32 v2, vcc_hi, v1
	v_xor_b32_e32 v1, vcc_lo, v1
	; wave barrier
	ds_read_b32 v48, v52 offset:32
	v_and_b32_e32 v3, v50, v2
	v_and_b32_e32 v2, v51, v1
	v_mbcnt_lo_u32_b32 v1, v2, 0
	v_mbcnt_hi_u32_b32 v50, v3, v1
	v_cmp_eq_u32_e32 vcc, 0, v50
	v_cmp_ne_u64_e64 s[2:3], 0, v[2:3]
	s_and_b64 s[4:5], s[2:3], vcc
	; wave barrier
	s_and_saveexec_b64 s[2:3], s[4:5]
	s_cbranch_execz .LBB188_159
; %bb.158:
	v_bcnt_u32_b32 v1, v2, 0
	v_bcnt_u32_b32 v1, v3, v1
	s_waitcnt lgkmcnt(0)
	v_add_u32_e32 v1, v48, v1
	ds_write_b32 v52, v1 offset:32
.LBB188_159:
	s_or_b64 exec, exec, s[2:3]
	s_waitcnt vmcnt(6)
	v_lshrrev_b32_e32 v1, s56, v30
	v_and_b32_e32 v2, s15, v1
	v_lshl_add_u32 v1, v2, 3, v2
	v_add_lshl_u32 v55, v16, v1, 2
	v_and_b32_e32 v1, 1, v2
	v_add_co_u32_e32 v3, vcc, -1, v1
	v_addc_co_u32_e64 v53, s[2:3], 0, -1, vcc
	v_cmp_ne_u32_e32 vcc, 0, v1
	v_xor_b32_e32 v1, vcc_hi, v53
	v_and_b32_e32 v53, exec_hi, v1
	v_lshlrev_b32_e32 v1, 30, v2
	v_xor_b32_e32 v3, vcc_lo, v3
	v_cmp_gt_i64_e32 vcc, 0, v[0:1]
	v_not_b32_e32 v1, v1
	v_ashrrev_i32_e32 v1, 31, v1
	v_and_b32_e32 v3, exec_lo, v3
	v_xor_b32_e32 v54, vcc_hi, v1
	v_xor_b32_e32 v1, vcc_lo, v1
	v_and_b32_e32 v3, v3, v1
	v_lshlrev_b32_e32 v1, 29, v2
	v_cmp_gt_i64_e32 vcc, 0, v[0:1]
	v_not_b32_e32 v1, v1
	v_ashrrev_i32_e32 v1, 31, v1
	v_and_b32_e32 v53, v53, v54
	v_xor_b32_e32 v54, vcc_hi, v1
	v_xor_b32_e32 v1, vcc_lo, v1
	v_and_b32_e32 v3, v3, v1
	v_lshlrev_b32_e32 v1, 28, v2
	v_cmp_gt_i64_e32 vcc, 0, v[0:1]
	v_not_b32_e32 v1, v1
	v_ashrrev_i32_e32 v1, 31, v1
	v_and_b32_e32 v53, v53, v54
	;; [unrolled: 8-line block ×5, first 2 shown]
	v_xor_b32_e32 v54, vcc_hi, v1
	v_xor_b32_e32 v1, vcc_lo, v1
	v_and_b32_e32 v3, v3, v1
	v_lshlrev_b32_e32 v1, 24, v2
	v_cmp_gt_i64_e32 vcc, 0, v[0:1]
	v_not_b32_e32 v0, v1
	v_ashrrev_i32_e32 v0, 31, v0
	v_xor_b32_e32 v1, vcc_hi, v0
	v_xor_b32_e32 v0, vcc_lo, v0
	; wave barrier
	ds_read_b32 v51, v55 offset:32
	v_and_b32_e32 v53, v53, v54
	v_and_b32_e32 v0, v3, v0
	;; [unrolled: 1-line block ×3, first 2 shown]
	v_mbcnt_lo_u32_b32 v2, v0, 0
	v_mbcnt_hi_u32_b32 v53, v1, v2
	v_cmp_eq_u32_e32 vcc, 0, v53
	v_cmp_ne_u64_e64 s[2:3], 0, v[0:1]
	s_and_b64 s[4:5], s[2:3], vcc
	; wave barrier
	s_and_saveexec_b64 s[2:3], s[4:5]
	s_cbranch_execz .LBB188_161
; %bb.160:
	v_bcnt_u32_b32 v0, v0, 0
	v_bcnt_u32_b32 v0, v1, v0
	s_waitcnt lgkmcnt(0)
	v_add_u32_e32 v0, v51, v0
	ds_write_b32 v55, v0 offset:32
.LBB188_161:
	s_or_b64 exec, exec, s[2:3]
	s_waitcnt vmcnt(5)
	v_lshrrev_b32_e32 v0, s56, v31
	v_and_b32_e32 v2, s15, v0
	v_and_b32_e32 v1, 1, v2
	v_add_co_u32_e32 v3, vcc, -1, v1
	v_addc_co_u32_e64 v56, s[2:3], 0, -1, vcc
	v_cmp_ne_u32_e32 vcc, 0, v1
	v_lshl_add_u32 v0, v2, 3, v2
	v_xor_b32_e32 v1, vcc_hi, v56
	v_add_lshl_u32 v58, v16, v0, 2
	v_mov_b32_e32 v0, 0
	v_and_b32_e32 v56, exec_hi, v1
	v_lshlrev_b32_e32 v1, 30, v2
	v_xor_b32_e32 v3, vcc_lo, v3
	v_cmp_gt_i64_e32 vcc, 0, v[0:1]
	v_not_b32_e32 v1, v1
	v_ashrrev_i32_e32 v1, 31, v1
	v_and_b32_e32 v3, exec_lo, v3
	v_xor_b32_e32 v57, vcc_hi, v1
	v_xor_b32_e32 v1, vcc_lo, v1
	v_and_b32_e32 v3, v3, v1
	v_lshlrev_b32_e32 v1, 29, v2
	v_cmp_gt_i64_e32 vcc, 0, v[0:1]
	v_not_b32_e32 v1, v1
	v_ashrrev_i32_e32 v1, 31, v1
	v_and_b32_e32 v56, v56, v57
	v_xor_b32_e32 v57, vcc_hi, v1
	v_xor_b32_e32 v1, vcc_lo, v1
	v_and_b32_e32 v3, v3, v1
	v_lshlrev_b32_e32 v1, 28, v2
	v_cmp_gt_i64_e32 vcc, 0, v[0:1]
	v_not_b32_e32 v1, v1
	v_ashrrev_i32_e32 v1, 31, v1
	v_and_b32_e32 v56, v56, v57
	;; [unrolled: 8-line block ×5, first 2 shown]
	v_xor_b32_e32 v57, vcc_hi, v1
	v_xor_b32_e32 v1, vcc_lo, v1
	v_and_b32_e32 v56, v56, v57
	v_and_b32_e32 v57, v3, v1
	v_lshlrev_b32_e32 v1, 24, v2
	v_cmp_gt_i64_e32 vcc, 0, v[0:1]
	v_not_b32_e32 v1, v1
	v_ashrrev_i32_e32 v1, 31, v1
	v_xor_b32_e32 v2, vcc_hi, v1
	v_xor_b32_e32 v1, vcc_lo, v1
	; wave barrier
	ds_read_b32 v54, v58 offset:32
	v_and_b32_e32 v3, v56, v2
	v_and_b32_e32 v2, v57, v1
	v_mbcnt_lo_u32_b32 v1, v2, 0
	v_mbcnt_hi_u32_b32 v56, v3, v1
	v_cmp_eq_u32_e32 vcc, 0, v56
	v_cmp_ne_u64_e64 s[2:3], 0, v[2:3]
	s_and_b64 s[4:5], s[2:3], vcc
	; wave barrier
	s_and_saveexec_b64 s[2:3], s[4:5]
	s_cbranch_execz .LBB188_163
; %bb.162:
	v_bcnt_u32_b32 v1, v2, 0
	v_bcnt_u32_b32 v1, v3, v1
	s_waitcnt lgkmcnt(0)
	v_add_u32_e32 v1, v54, v1
	ds_write_b32 v58, v1 offset:32
.LBB188_163:
	s_or_b64 exec, exec, s[2:3]
	s_waitcnt vmcnt(4)
	v_lshrrev_b32_e32 v1, s56, v32
	v_and_b32_e32 v2, s15, v1
	v_lshl_add_u32 v1, v2, 3, v2
	v_add_lshl_u32 v61, v16, v1, 2
	v_and_b32_e32 v1, 1, v2
	v_add_co_u32_e32 v3, vcc, -1, v1
	v_addc_co_u32_e64 v59, s[2:3], 0, -1, vcc
	v_cmp_ne_u32_e32 vcc, 0, v1
	v_xor_b32_e32 v1, vcc_hi, v59
	v_and_b32_e32 v59, exec_hi, v1
	v_lshlrev_b32_e32 v1, 30, v2
	v_xor_b32_e32 v3, vcc_lo, v3
	v_cmp_gt_i64_e32 vcc, 0, v[0:1]
	v_not_b32_e32 v1, v1
	v_ashrrev_i32_e32 v1, 31, v1
	v_and_b32_e32 v3, exec_lo, v3
	v_xor_b32_e32 v60, vcc_hi, v1
	v_xor_b32_e32 v1, vcc_lo, v1
	v_and_b32_e32 v3, v3, v1
	v_lshlrev_b32_e32 v1, 29, v2
	v_cmp_gt_i64_e32 vcc, 0, v[0:1]
	v_not_b32_e32 v1, v1
	v_ashrrev_i32_e32 v1, 31, v1
	v_and_b32_e32 v59, v59, v60
	v_xor_b32_e32 v60, vcc_hi, v1
	v_xor_b32_e32 v1, vcc_lo, v1
	v_and_b32_e32 v3, v3, v1
	v_lshlrev_b32_e32 v1, 28, v2
	v_cmp_gt_i64_e32 vcc, 0, v[0:1]
	v_not_b32_e32 v1, v1
	v_ashrrev_i32_e32 v1, 31, v1
	v_and_b32_e32 v59, v59, v60
	;; [unrolled: 8-line block ×5, first 2 shown]
	v_xor_b32_e32 v60, vcc_hi, v1
	v_xor_b32_e32 v1, vcc_lo, v1
	v_and_b32_e32 v3, v3, v1
	v_lshlrev_b32_e32 v1, 24, v2
	v_cmp_gt_i64_e32 vcc, 0, v[0:1]
	v_not_b32_e32 v0, v1
	v_ashrrev_i32_e32 v0, 31, v0
	v_xor_b32_e32 v1, vcc_hi, v0
	v_xor_b32_e32 v0, vcc_lo, v0
	; wave barrier
	ds_read_b32 v57, v61 offset:32
	v_and_b32_e32 v59, v59, v60
	v_and_b32_e32 v0, v3, v0
	;; [unrolled: 1-line block ×3, first 2 shown]
	v_mbcnt_lo_u32_b32 v2, v0, 0
	v_mbcnt_hi_u32_b32 v59, v1, v2
	v_cmp_eq_u32_e32 vcc, 0, v59
	v_cmp_ne_u64_e64 s[2:3], 0, v[0:1]
	s_and_b64 s[4:5], s[2:3], vcc
	; wave barrier
	s_and_saveexec_b64 s[2:3], s[4:5]
	s_cbranch_execz .LBB188_165
; %bb.164:
	v_bcnt_u32_b32 v0, v0, 0
	v_bcnt_u32_b32 v0, v1, v0
	s_waitcnt lgkmcnt(0)
	v_add_u32_e32 v0, v57, v0
	ds_write_b32 v61, v0 offset:32
.LBB188_165:
	s_or_b64 exec, exec, s[2:3]
	s_waitcnt vmcnt(3)
	v_lshrrev_b32_e32 v0, s56, v33
	v_and_b32_e32 v2, s15, v0
	v_and_b32_e32 v1, 1, v2
	v_add_co_u32_e32 v3, vcc, -1, v1
	v_addc_co_u32_e64 v62, s[2:3], 0, -1, vcc
	v_cmp_ne_u32_e32 vcc, 0, v1
	v_lshl_add_u32 v0, v2, 3, v2
	v_xor_b32_e32 v1, vcc_hi, v62
	v_add_lshl_u32 v64, v16, v0, 2
	v_mov_b32_e32 v0, 0
	v_and_b32_e32 v62, exec_hi, v1
	v_lshlrev_b32_e32 v1, 30, v2
	v_xor_b32_e32 v3, vcc_lo, v3
	v_cmp_gt_i64_e32 vcc, 0, v[0:1]
	v_not_b32_e32 v1, v1
	v_ashrrev_i32_e32 v1, 31, v1
	v_and_b32_e32 v3, exec_lo, v3
	v_xor_b32_e32 v63, vcc_hi, v1
	v_xor_b32_e32 v1, vcc_lo, v1
	v_and_b32_e32 v3, v3, v1
	v_lshlrev_b32_e32 v1, 29, v2
	v_cmp_gt_i64_e32 vcc, 0, v[0:1]
	v_not_b32_e32 v1, v1
	v_ashrrev_i32_e32 v1, 31, v1
	v_and_b32_e32 v62, v62, v63
	v_xor_b32_e32 v63, vcc_hi, v1
	v_xor_b32_e32 v1, vcc_lo, v1
	v_and_b32_e32 v3, v3, v1
	v_lshlrev_b32_e32 v1, 28, v2
	v_cmp_gt_i64_e32 vcc, 0, v[0:1]
	v_not_b32_e32 v1, v1
	v_ashrrev_i32_e32 v1, 31, v1
	v_and_b32_e32 v62, v62, v63
	;; [unrolled: 8-line block ×5, first 2 shown]
	v_xor_b32_e32 v63, vcc_hi, v1
	v_xor_b32_e32 v1, vcc_lo, v1
	v_and_b32_e32 v62, v62, v63
	v_and_b32_e32 v63, v3, v1
	v_lshlrev_b32_e32 v1, 24, v2
	v_cmp_gt_i64_e32 vcc, 0, v[0:1]
	v_not_b32_e32 v1, v1
	v_ashrrev_i32_e32 v1, 31, v1
	v_xor_b32_e32 v2, vcc_hi, v1
	v_xor_b32_e32 v1, vcc_lo, v1
	; wave barrier
	ds_read_b32 v60, v64 offset:32
	v_and_b32_e32 v3, v62, v2
	v_and_b32_e32 v2, v63, v1
	v_mbcnt_lo_u32_b32 v1, v2, 0
	v_mbcnt_hi_u32_b32 v62, v3, v1
	v_cmp_eq_u32_e32 vcc, 0, v62
	v_cmp_ne_u64_e64 s[2:3], 0, v[2:3]
	s_and_b64 s[4:5], s[2:3], vcc
	; wave barrier
	s_and_saveexec_b64 s[2:3], s[4:5]
	s_cbranch_execz .LBB188_167
; %bb.166:
	v_bcnt_u32_b32 v1, v2, 0
	v_bcnt_u32_b32 v1, v3, v1
	s_waitcnt lgkmcnt(0)
	v_add_u32_e32 v1, v60, v1
	ds_write_b32 v64, v1 offset:32
.LBB188_167:
	s_or_b64 exec, exec, s[2:3]
	s_waitcnt vmcnt(2)
	v_lshrrev_b32_e32 v1, s56, v34
	v_and_b32_e32 v2, s15, v1
	v_lshl_add_u32 v1, v2, 3, v2
	v_add_lshl_u32 v67, v16, v1, 2
	v_and_b32_e32 v1, 1, v2
	v_add_co_u32_e32 v3, vcc, -1, v1
	v_addc_co_u32_e64 v65, s[2:3], 0, -1, vcc
	v_cmp_ne_u32_e32 vcc, 0, v1
	v_xor_b32_e32 v1, vcc_hi, v65
	v_and_b32_e32 v65, exec_hi, v1
	v_lshlrev_b32_e32 v1, 30, v2
	v_xor_b32_e32 v3, vcc_lo, v3
	v_cmp_gt_i64_e32 vcc, 0, v[0:1]
	v_not_b32_e32 v1, v1
	v_ashrrev_i32_e32 v1, 31, v1
	v_and_b32_e32 v3, exec_lo, v3
	v_xor_b32_e32 v66, vcc_hi, v1
	v_xor_b32_e32 v1, vcc_lo, v1
	v_and_b32_e32 v3, v3, v1
	v_lshlrev_b32_e32 v1, 29, v2
	v_cmp_gt_i64_e32 vcc, 0, v[0:1]
	v_not_b32_e32 v1, v1
	v_ashrrev_i32_e32 v1, 31, v1
	v_and_b32_e32 v65, v65, v66
	v_xor_b32_e32 v66, vcc_hi, v1
	v_xor_b32_e32 v1, vcc_lo, v1
	v_and_b32_e32 v3, v3, v1
	v_lshlrev_b32_e32 v1, 28, v2
	v_cmp_gt_i64_e32 vcc, 0, v[0:1]
	v_not_b32_e32 v1, v1
	v_ashrrev_i32_e32 v1, 31, v1
	v_and_b32_e32 v65, v65, v66
	v_xor_b32_e32 v66, vcc_hi, v1
	v_xor_b32_e32 v1, vcc_lo, v1
	v_and_b32_e32 v3, v3, v1
	v_lshlrev_b32_e32 v1, 27, v2
	v_cmp_gt_i64_e32 vcc, 0, v[0:1]
	v_not_b32_e32 v1, v1
	v_ashrrev_i32_e32 v1, 31, v1
	v_and_b32_e32 v65, v65, v66
	v_xor_b32_e32 v66, vcc_hi, v1
	v_xor_b32_e32 v1, vcc_lo, v1
	v_and_b32_e32 v3, v3, v1
	v_lshlrev_b32_e32 v1, 26, v2
	v_cmp_gt_i64_e32 vcc, 0, v[0:1]
	v_not_b32_e32 v1, v1
	v_ashrrev_i32_e32 v1, 31, v1
	v_and_b32_e32 v65, v65, v66
	v_xor_b32_e32 v66, vcc_hi, v1
	v_xor_b32_e32 v1, vcc_lo, v1
	v_and_b32_e32 v3, v3, v1
	v_lshlrev_b32_e32 v1, 25, v2
	v_cmp_gt_i64_e32 vcc, 0, v[0:1]
	v_not_b32_e32 v1, v1
	v_ashrrev_i32_e32 v1, 31, v1
	v_and_b32_e32 v65, v65, v66
	v_xor_b32_e32 v66, vcc_hi, v1
	v_xor_b32_e32 v1, vcc_lo, v1
	v_and_b32_e32 v3, v3, v1
	v_lshlrev_b32_e32 v1, 24, v2
	v_cmp_gt_i64_e32 vcc, 0, v[0:1]
	v_not_b32_e32 v0, v1
	v_ashrrev_i32_e32 v0, 31, v0
	v_xor_b32_e32 v1, vcc_hi, v0
	v_xor_b32_e32 v0, vcc_lo, v0
	; wave barrier
	ds_read_b32 v63, v67 offset:32
	v_and_b32_e32 v65, v65, v66
	v_and_b32_e32 v0, v3, v0
	;; [unrolled: 1-line block ×3, first 2 shown]
	v_mbcnt_lo_u32_b32 v2, v0, 0
	v_mbcnt_hi_u32_b32 v65, v1, v2
	v_cmp_eq_u32_e32 vcc, 0, v65
	v_cmp_ne_u64_e64 s[2:3], 0, v[0:1]
	s_and_b64 s[4:5], s[2:3], vcc
	; wave barrier
	s_and_saveexec_b64 s[2:3], s[4:5]
	s_cbranch_execz .LBB188_169
; %bb.168:
	v_bcnt_u32_b32 v0, v0, 0
	v_bcnt_u32_b32 v0, v1, v0
	s_waitcnt lgkmcnt(0)
	v_add_u32_e32 v0, v63, v0
	ds_write_b32 v67, v0 offset:32
.LBB188_169:
	s_or_b64 exec, exec, s[2:3]
	s_waitcnt vmcnt(1)
	v_lshrrev_b32_e32 v0, s56, v35
	v_and_b32_e32 v2, s15, v0
	v_and_b32_e32 v1, 1, v2
	v_add_co_u32_e32 v3, vcc, -1, v1
	v_addc_co_u32_e64 v68, s[2:3], 0, -1, vcc
	v_cmp_ne_u32_e32 vcc, 0, v1
	v_lshl_add_u32 v0, v2, 3, v2
	v_xor_b32_e32 v1, vcc_hi, v68
	v_add_lshl_u32 v69, v16, v0, 2
	v_mov_b32_e32 v0, 0
	v_and_b32_e32 v68, exec_hi, v1
	v_lshlrev_b32_e32 v1, 30, v2
	v_xor_b32_e32 v3, vcc_lo, v3
	v_cmp_gt_i64_e32 vcc, 0, v[0:1]
	v_not_b32_e32 v1, v1
	v_ashrrev_i32_e32 v1, 31, v1
	v_and_b32_e32 v3, exec_lo, v3
	v_xor_b32_e32 v70, vcc_hi, v1
	v_xor_b32_e32 v1, vcc_lo, v1
	v_and_b32_e32 v3, v3, v1
	v_lshlrev_b32_e32 v1, 29, v2
	v_cmp_gt_i64_e32 vcc, 0, v[0:1]
	v_not_b32_e32 v1, v1
	v_ashrrev_i32_e32 v1, 31, v1
	v_and_b32_e32 v68, v68, v70
	v_xor_b32_e32 v70, vcc_hi, v1
	v_xor_b32_e32 v1, vcc_lo, v1
	v_and_b32_e32 v3, v3, v1
	v_lshlrev_b32_e32 v1, 28, v2
	v_cmp_gt_i64_e32 vcc, 0, v[0:1]
	v_not_b32_e32 v1, v1
	v_ashrrev_i32_e32 v1, 31, v1
	v_and_b32_e32 v68, v68, v70
	;; [unrolled: 8-line block ×5, first 2 shown]
	v_xor_b32_e32 v70, vcc_hi, v1
	v_xor_b32_e32 v1, vcc_lo, v1
	v_and_b32_e32 v68, v68, v70
	v_and_b32_e32 v70, v3, v1
	v_lshlrev_b32_e32 v1, 24, v2
	v_cmp_gt_i64_e32 vcc, 0, v[0:1]
	v_not_b32_e32 v1, v1
	v_ashrrev_i32_e32 v1, 31, v1
	v_xor_b32_e32 v2, vcc_hi, v1
	v_xor_b32_e32 v1, vcc_lo, v1
	; wave barrier
	ds_read_b32 v66, v69 offset:32
	v_and_b32_e32 v3, v68, v2
	v_and_b32_e32 v2, v70, v1
	v_mbcnt_lo_u32_b32 v1, v2, 0
	v_mbcnt_hi_u32_b32 v68, v3, v1
	v_cmp_eq_u32_e32 vcc, 0, v68
	v_cmp_ne_u64_e64 s[2:3], 0, v[2:3]
	s_and_b64 s[4:5], s[2:3], vcc
	; wave barrier
	s_and_saveexec_b64 s[2:3], s[4:5]
	s_cbranch_execz .LBB188_171
; %bb.170:
	v_bcnt_u32_b32 v1, v2, 0
	v_bcnt_u32_b32 v1, v3, v1
	s_waitcnt lgkmcnt(0)
	v_add_u32_e32 v1, v66, v1
	ds_write_b32 v69, v1 offset:32
.LBB188_171:
	s_or_b64 exec, exec, s[2:3]
	s_waitcnt vmcnt(0)
	v_lshrrev_b32_e32 v1, s56, v36
	v_and_b32_e32 v2, s15, v1
	v_lshl_add_u32 v1, v2, 3, v2
	v_add_lshl_u32 v71, v16, v1, 2
	v_and_b32_e32 v1, 1, v2
	v_add_co_u32_e32 v3, vcc, -1, v1
	v_addc_co_u32_e64 v70, s[2:3], 0, -1, vcc
	v_cmp_ne_u32_e32 vcc, 0, v1
	v_xor_b32_e32 v1, vcc_hi, v70
	v_and_b32_e32 v70, exec_hi, v1
	v_lshlrev_b32_e32 v1, 30, v2
	v_xor_b32_e32 v3, vcc_lo, v3
	v_cmp_gt_i64_e32 vcc, 0, v[0:1]
	v_not_b32_e32 v1, v1
	v_ashrrev_i32_e32 v1, 31, v1
	v_and_b32_e32 v3, exec_lo, v3
	v_xor_b32_e32 v73, vcc_hi, v1
	v_xor_b32_e32 v1, vcc_lo, v1
	v_and_b32_e32 v3, v3, v1
	v_lshlrev_b32_e32 v1, 29, v2
	v_cmp_gt_i64_e32 vcc, 0, v[0:1]
	v_not_b32_e32 v1, v1
	v_ashrrev_i32_e32 v1, 31, v1
	v_and_b32_e32 v70, v70, v73
	v_xor_b32_e32 v73, vcc_hi, v1
	v_xor_b32_e32 v1, vcc_lo, v1
	v_and_b32_e32 v3, v3, v1
	v_lshlrev_b32_e32 v1, 28, v2
	v_cmp_gt_i64_e32 vcc, 0, v[0:1]
	v_not_b32_e32 v1, v1
	v_ashrrev_i32_e32 v1, 31, v1
	v_and_b32_e32 v70, v70, v73
	;; [unrolled: 8-line block ×5, first 2 shown]
	v_xor_b32_e32 v73, vcc_hi, v1
	v_xor_b32_e32 v1, vcc_lo, v1
	v_and_b32_e32 v3, v3, v1
	v_lshlrev_b32_e32 v1, 24, v2
	v_cmp_gt_i64_e32 vcc, 0, v[0:1]
	v_not_b32_e32 v0, v1
	v_ashrrev_i32_e32 v0, 31, v0
	v_xor_b32_e32 v1, vcc_hi, v0
	v_xor_b32_e32 v0, vcc_lo, v0
	; wave barrier
	ds_read_b32 v16, v71 offset:32
	v_and_b32_e32 v70, v70, v73
	v_and_b32_e32 v0, v3, v0
	;; [unrolled: 1-line block ×3, first 2 shown]
	v_mbcnt_lo_u32_b32 v2, v0, 0
	v_mbcnt_hi_u32_b32 v70, v1, v2
	v_cmp_eq_u32_e32 vcc, 0, v70
	v_cmp_ne_u64_e64 s[2:3], 0, v[0:1]
	v_add_u32_e32 v72, 32, v5
	s_and_b64 s[4:5], s[2:3], vcc
	; wave barrier
	s_and_saveexec_b64 s[2:3], s[4:5]
	s_cbranch_execz .LBB188_173
; %bb.172:
	v_bcnt_u32_b32 v0, v0, 0
	v_bcnt_u32_b32 v0, v1, v0
	s_waitcnt lgkmcnt(0)
	v_add_u32_e32 v0, v16, v0
	ds_write_b32 v71, v0 offset:32
.LBB188_173:
	s_or_b64 exec, exec, s[2:3]
	; wave barrier
	s_waitcnt lgkmcnt(0)
	s_barrier
	ds_read2_b32 v[2:3], v5 offset0:8 offset1:9
	ds_read2_b32 v[0:1], v72 offset0:2 offset1:3
	ds_read_b32 v73, v72 offset:16
	s_waitcnt lgkmcnt(1)
	v_add3_u32 v74, v3, v2, v0
	s_waitcnt lgkmcnt(0)
	v_add3_u32 v73, v74, v1, v73
	v_and_b32_e32 v74, 15, v4
	v_cmp_ne_u32_e32 vcc, 0, v74
	v_mov_b32_dpp v75, v73 row_shr:1 row_mask:0xf bank_mask:0xf
	v_cndmask_b32_e32 v75, 0, v75, vcc
	v_add_u32_e32 v73, v75, v73
	v_cmp_lt_u32_e32 vcc, 1, v74
	s_nop 0
	v_mov_b32_dpp v75, v73 row_shr:2 row_mask:0xf bank_mask:0xf
	v_cndmask_b32_e32 v75, 0, v75, vcc
	v_add_u32_e32 v73, v73, v75
	v_cmp_lt_u32_e32 vcc, 3, v74
	s_nop 0
	;; [unrolled: 5-line block ×3, first 2 shown]
	v_mov_b32_dpp v75, v73 row_shr:8 row_mask:0xf bank_mask:0xf
	v_cndmask_b32_e32 v74, 0, v75, vcc
	v_add_u32_e32 v73, v73, v74
	v_bfe_i32 v75, v4, 4, 1
	v_cmp_lt_u32_e32 vcc, 31, v4
	v_mov_b32_dpp v74, v73 row_bcast:15 row_mask:0xf bank_mask:0xf
	v_and_b32_e32 v74, v75, v74
	v_add_u32_e32 v73, v73, v74
	v_and_b32_e32 v75, 0x3c0, v18
	v_min_u32_e32 v75, 0x1c0, v75
	v_mov_b32_dpp v74, v73 row_bcast:31 row_mask:0xf bank_mask:0xf
	v_cndmask_b32_e32 v74, 0, v74, vcc
	v_or_b32_e32 v75, 63, v75
	v_add_u32_e32 v73, v73, v74
	v_lshrrev_b32_e32 v74, 6, v18
	v_cmp_eq_u32_e32 vcc, v75, v18
	s_and_saveexec_b64 s[2:3], vcc
	s_cbranch_execz .LBB188_175
; %bb.174:
	v_lshlrev_b32_e32 v75, 2, v74
	ds_write_b32 v75, v73
.LBB188_175:
	s_or_b64 exec, exec, s[2:3]
	v_cmp_gt_u32_e32 vcc, 8, v18
	s_waitcnt lgkmcnt(0)
	s_barrier
	s_and_saveexec_b64 s[2:3], vcc
	s_cbranch_execz .LBB188_177
; %bb.176:
	v_lshlrev_b32_e32 v75, 2, v18
	ds_read_b32 v76, v75
	v_and_b32_e32 v77, 7, v4
	v_cmp_ne_u32_e32 vcc, 0, v77
	s_waitcnt lgkmcnt(0)
	v_mov_b32_dpp v78, v76 row_shr:1 row_mask:0xf bank_mask:0xf
	v_cndmask_b32_e32 v78, 0, v78, vcc
	v_add_u32_e32 v76, v78, v76
	v_cmp_lt_u32_e32 vcc, 1, v77
	s_nop 0
	v_mov_b32_dpp v78, v76 row_shr:2 row_mask:0xf bank_mask:0xf
	v_cndmask_b32_e32 v78, 0, v78, vcc
	v_add_u32_e32 v76, v76, v78
	v_cmp_lt_u32_e32 vcc, 3, v77
	s_nop 0
	v_mov_b32_dpp v78, v76 row_shr:4 row_mask:0xf bank_mask:0xf
	v_cndmask_b32_e32 v77, 0, v78, vcc
	v_add_u32_e32 v76, v76, v77
	ds_write_b32 v75, v76
.LBB188_177:
	s_or_b64 exec, exec, s[2:3]
	v_cmp_lt_u32_e32 vcc, 63, v18
	v_mov_b32_e32 v75, 0
	s_waitcnt lgkmcnt(0)
	s_barrier
	s_and_saveexec_b64 s[2:3], vcc
	s_cbranch_execz .LBB188_179
; %bb.178:
	v_lshl_add_u32 v74, v74, 2, -4
	ds_read_b32 v75, v74
.LBB188_179:
	s_or_b64 exec, exec, s[2:3]
	v_add_u32_e32 v74, -1, v4
	v_and_b32_e32 v76, 64, v4
	v_cmp_lt_i32_e32 vcc, v74, v76
	v_cndmask_b32_e32 v74, v74, v4, vcc
	s_waitcnt lgkmcnt(0)
	v_add_u32_e32 v73, v75, v73
	v_lshlrev_b32_e32 v74, 2, v74
	ds_bpermute_b32 v73, v74, v73
	v_cmp_eq_u32_e32 vcc, 0, v4
	s_waitcnt lgkmcnt(0)
	v_cndmask_b32_e32 v4, v73, v75, vcc
	v_cndmask_b32_e64 v4, v4, 0, s[0:1]
	v_add_u32_e32 v2, v4, v2
	v_add_u32_e32 v3, v2, v3
	;; [unrolled: 1-line block ×4, first 2 shown]
	ds_write2_b32 v5, v4, v2 offset0:8 offset1:9
	ds_write2_b32 v72, v3, v0 offset0:2 offset1:3
	ds_write_b32 v72, v1 offset:16
	s_waitcnt lgkmcnt(0)
	s_barrier
	ds_read_b32 v75, v9 offset:32
	ds_read_b32 v9, v11 offset:32
	;; [unrolled: 1-line block ×16, first 2 shown]
	s_movk_i32 s0, 0x100
	v_cmp_gt_u32_e32 vcc, s0, v18
                                        ; implicit-def: $vgpr52
                                        ; implicit-def: $vgpr55
	s_and_saveexec_b64 s[2:3], vcc
	s_cbranch_execz .LBB188_183
; %bb.180:
	v_mul_u32_u24_e32 v0, 9, v18
	v_lshlrev_b32_e32 v1, 2, v0
	ds_read_b32 v52, v1 offset:32
	s_movk_i32 s0, 0xff
	v_cmp_ne_u32_e64 s[0:1], s0, v18
	v_mov_b32_e32 v0, 0x2000
	s_and_saveexec_b64 s[4:5], s[0:1]
	s_cbranch_execz .LBB188_182
; %bb.181:
	ds_read_b32 v0, v1 offset:68
.LBB188_182:
	s_or_b64 exec, exec, s[4:5]
	s_waitcnt lgkmcnt(0)
	v_sub_u32_e32 v55, v0, v52
.LBB188_183:
	s_or_b64 exec, exec, s[2:3]
	s_waitcnt lgkmcnt(0)
	s_barrier
	s_and_saveexec_b64 s[2:3], vcc
	s_cbranch_execz .LBB188_193
; %bb.184:
	v_lshl_or_b32 v0, s33, 8, v18
	v_mov_b32_e32 v1, 0
	v_lshlrev_b64 v[2:3], 2, v[0:1]
	v_mov_b32_e32 v37, s43
	v_add_co_u32_e64 v2, s[0:1], s42, v2
	v_addc_co_u32_e64 v3, s[0:1], v37, v3, s[0:1]
	v_or_b32_e32 v0, 2.0, v55
	s_mov_b64 s[4:5], 0
	s_brev_b32 s16, 1
	s_mov_b32 s17, s33
	v_mov_b32_e32 v40, 0
	global_store_dword v[2:3], v0, off
                                        ; implicit-def: $sgpr0_sgpr1
	s_branch .LBB188_187
.LBB188_185:                            ;   in Loop: Header=BB188_187 Depth=1
	s_or_b64 exec, exec, s[12:13]
.LBB188_186:                            ;   in Loop: Header=BB188_187 Depth=1
	s_or_b64 exec, exec, s[6:7]
	v_and_b32_e32 v4, 0x3fffffff, v58
	v_add_u32_e32 v40, v4, v40
	v_cmp_eq_u32_e64 s[0:1], s16, v0
	s_and_b64 s[6:7], exec, s[0:1]
	s_or_b64 s[4:5], s[6:7], s[4:5]
	s_andn2_b64 exec, exec, s[4:5]
	s_cbranch_execz .LBB188_192
.LBB188_187:                            ; =>This Loop Header: Depth=1
                                        ;     Child Loop BB188_190 Depth 2
	s_or_b64 s[0:1], s[0:1], exec
	s_cmp_eq_u32 s17, 0
	s_cbranch_scc1 .LBB188_191
; %bb.188:                              ;   in Loop: Header=BB188_187 Depth=1
	s_add_i32 s17, s17, -1
	v_lshl_or_b32 v0, s17, 8, v18
	v_lshlrev_b64 v[4:5], 2, v[0:1]
	v_add_co_u32_e64 v4, s[0:1], s42, v4
	v_addc_co_u32_e64 v5, s[0:1], v37, v5, s[0:1]
	global_load_dword v58, v[4:5], off glc
	s_waitcnt vmcnt(0)
	v_and_b32_e32 v0, -2.0, v58
	v_cmp_eq_u32_e64 s[0:1], 0, v0
	s_and_saveexec_b64 s[6:7], s[0:1]
	s_cbranch_execz .LBB188_186
; %bb.189:                              ;   in Loop: Header=BB188_187 Depth=1
	s_mov_b64 s[12:13], 0
.LBB188_190:                            ;   Parent Loop BB188_187 Depth=1
                                        ; =>  This Inner Loop Header: Depth=2
	global_load_dword v58, v[4:5], off glc
	s_waitcnt vmcnt(0)
	v_and_b32_e32 v0, -2.0, v58
	v_cmp_ne_u32_e64 s[0:1], 0, v0
	s_or_b64 s[12:13], s[0:1], s[12:13]
	s_andn2_b64 exec, exec, s[12:13]
	s_cbranch_execnz .LBB188_190
	s_branch .LBB188_185
.LBB188_191:                            ;   in Loop: Header=BB188_187 Depth=1
                                        ; implicit-def: $sgpr17
	s_and_b64 s[6:7], exec, s[0:1]
	s_or_b64 s[4:5], s[6:7], s[4:5]
	s_andn2_b64 exec, exec, s[4:5]
	s_cbranch_execnz .LBB188_187
.LBB188_192:
	s_or_b64 exec, exec, s[4:5]
	v_add_u32_e32 v0, v40, v55
	v_or_b32_e32 v0, 0x80000000, v0
	global_store_dword v[2:3], v0, off
	v_lshlrev_b32_e32 v0, 2, v18
	global_load_dword v1, v0, s[52:53]
	v_sub_u32_e32 v2, v40, v52
	s_waitcnt vmcnt(0)
	v_add_u32_e32 v1, v2, v1
	ds_write_b32 v0, v1
.LBB188_193:
	s_or_b64 exec, exec, s[2:3]
	v_lshlrev_b32_e32 v37, 2, v18
	v_add_u32_e32 v58, v75, v6
	s_movk_i32 s2, 0x400
	v_add_u32_e32 v40, 0x400, v37
	v_add3_u32 v61, v70, v61, v16
	v_add3_u32 v64, v68, v64, v66
	v_add3_u32 v63, v65, v67, v63
	v_add3_u32 v60, v62, v78, v60
	v_add3_u32 v57, v59, v77, v57
	v_add3_u32 v54, v56, v76, v54
	v_add3_u32 v53, v53, v74, v51
	v_add3_u32 v56, v50, v73, v48
	v_add3_u32 v59, v47, v49, v45
	v_add3_u32 v62, v44, v46, v42
	v_add3_u32 v65, v41, v43, v39
	v_add3_u32 v66, v38, v72, v17
	v_add3_u32 v67, v15, v14, v13
	v_add3_u32 v68, v12, v11, v10
	v_add3_u32 v69, v8, v9, v7
	s_mov_b32 s3, 0
	s_mov_b32 s4, 3
	s_movk_i32 s5, 0x200
	s_movk_i32 s6, 0x600
	v_mov_b32_e32 v17, 0
	v_mov_b32_e32 v38, s47
	;; [unrolled: 1-line block ×3, first 2 shown]
                                        ; implicit-def: $vgpr0
.LBB188_194:                            ; =>This Inner Loop Header: Depth=1
	v_add_u32_e32 v16, s3, v58
	v_add_u32_e32 v41, s3, v69
	;; [unrolled: 1-line block ×16, first 2 shown]
	v_min_u32_e32 v16, 0x800, v16
	v_min_u32_e32 v41, 0x800, v41
	;; [unrolled: 1-line block ×16, first 2 shown]
	v_lshlrev_b32_e32 v16, 2, v16
	v_lshlrev_b32_e32 v41, 2, v41
	v_lshlrev_b32_e32 v42, 2, v42
	v_lshlrev_b32_e32 v43, 2, v43
	v_lshlrev_b32_e32 v44, 2, v44
	v_lshlrev_b32_e32 v45, 2, v45
	v_lshlrev_b32_e32 v46, 2, v46
	v_lshlrev_b32_e32 v47, 2, v47
	v_lshlrev_b32_e32 v48, 2, v48
	v_lshlrev_b32_e32 v49, 2, v49
	v_lshlrev_b32_e32 v50, 2, v50
	v_lshlrev_b32_e32 v51, 2, v51
	v_lshlrev_b32_e32 v70, 2, v70
	v_lshlrev_b32_e32 v71, 2, v71
	v_lshlrev_b32_e32 v72, 2, v72
	v_lshlrev_b32_e32 v73, 2, v73
	ds_write_b32 v16, v21 offset:1024
	ds_write_b32 v41, v22 offset:1024
	;; [unrolled: 1-line block ×16, first 2 shown]
	s_waitcnt lgkmcnt(0)
	s_barrier
	ds_read_b32 v41, v37 offset:1024
	s_add_i32 s7, s4, -3
	s_add_i32 s12, s4, -2
	;; [unrolled: 1-line block ×3, first 2 shown]
	s_addk_i32 s3, 0xf800
	s_waitcnt lgkmcnt(0)
	v_lshrrev_b32_e32 v16, s56, v41
	v_and_b32_e32 v44, s15, v16
	v_lshlrev_b32_e32 v16, 2, v44
	ds_read_b32 v16, v16
	s_waitcnt lgkmcnt(0)
	v_add_u32_e32 v16, v39, v16
	v_lshlrev_b64 v[42:43], 2, v[16:17]
	v_add_co_u32_e64 v42, s[0:1], s46, v42
	v_addc_co_u32_e64 v43, s[0:1], v38, v43, s[0:1]
	global_store_dword v[42:43], v41, off
	s_set_gpr_idx_on s7, gpr_idx(DST)
	v_mov_b32_e32 v0, v44
	s_set_gpr_idx_off
	ds_read_b32 v41, v40 offset:2048
	s_waitcnt lgkmcnt(0)
	v_lshrrev_b32_e32 v16, s56, v41
	v_and_b32_e32 v44, s15, v16
	v_lshlrev_b32_e32 v16, 2, v44
	ds_read_b32 v16, v16
	s_waitcnt lgkmcnt(0)
	v_add3_u32 v16, v39, v16, s5
	v_lshlrev_b64 v[42:43], 2, v[16:17]
	v_add_co_u32_e64 v42, s[0:1], s46, v42
	v_addc_co_u32_e64 v43, s[0:1], v38, v43, s[0:1]
	global_store_dword v[42:43], v41, off
	s_set_gpr_idx_on s12, gpr_idx(DST)
	v_mov_b32_e32 v0, v44
	s_set_gpr_idx_off
	ds_read_b32 v41, v40 offset:4096
	s_waitcnt lgkmcnt(0)
	v_lshrrev_b32_e32 v16, s56, v41
	v_and_b32_e32 v44, s15, v16
	v_lshlrev_b32_e32 v16, 2, v44
	ds_read_b32 v16, v16
	s_waitcnt lgkmcnt(0)
	v_add3_u32 v16, v39, v16, s2
	;; [unrolled: 15-line block ×3, first 2 shown]
	v_lshlrev_b64 v[42:43], 2, v[16:17]
	v_add_co_u32_e64 v42, s[0:1], s46, v42
	v_addc_co_u32_e64 v43, s[0:1], v38, v43, s[0:1]
	global_store_dword v[42:43], v41, off
	s_set_gpr_idx_on s4, gpr_idx(DST)
	v_mov_b32_e32 v0, v44
	s_set_gpr_idx_off
	s_add_i32 s4, s4, 4
	v_add_u32_e32 v39, 0x800, v39
	s_cmpk_lg_i32 s3, 0xe000
	s_barrier
	s_cbranch_scc1 .LBB188_194
; %bb.195:
	s_lshl_b64 s[0:1], s[10:11], 3
	s_add_u32 s0, s48, s0
	s_addc_u32 s1, s49, s1
	v_lshlrev_b32_e32 v16, 3, v20
	v_mov_b32_e32 v17, s1
	v_add_co_u32_e64 v16, s[0:1], s0, v16
	v_addc_co_u32_e64 v17, s[0:1], 0, v17, s[0:1]
	v_lshlrev_b32_e32 v19, 3, v19
	v_add_co_u32_e64 v34, s[0:1], v16, v19
	v_addc_co_u32_e64 v35, s[0:1], 0, v17, s[0:1]
	s_movk_i32 s0, 0x1000
	v_add_co_u32_e64 v50, s[0:1], s0, v34
	v_addc_co_u32_e64 v51, s[0:1], 0, v35, s[0:1]
	global_load_dwordx2 v[16:17], v[34:35], off
	global_load_dwordx2 v[20:21], v[34:35], off offset:512
	global_load_dwordx2 v[22:23], v[34:35], off offset:1024
	;; [unrolled: 1-line block ×7, first 2 shown]
	s_nop 0
	global_load_dwordx2 v[34:35], v[50:51], off
	global_load_dwordx2 v[36:37], v[50:51], off offset:512
	global_load_dwordx2 v[38:39], v[50:51], off offset:1024
	;; [unrolled: 1-line block ×7, first 2 shown]
	v_lshlrev_b32_e32 v19, 3, v18
	s_mov_b32 s2, 0
	v_add_u32_e32 v70, 0x400, v19
	s_mov_b32 s3, 1
	s_movk_i32 s4, 0x200
	v_mov_b32_e32 v51, 0
	v_mov_b32_e32 v71, v18
	s_waitcnt vmcnt(0)
.LBB188_196:                            ; =>This Inner Loop Header: Depth=1
	v_add_u32_e32 v50, s2, v58
	v_add_u32_e32 v72, s2, v69
	;; [unrolled: 1-line block ×16, first 2 shown]
	v_min_u32_e32 v50, 0x400, v50
	s_add_i32 s0, s3, -1
	v_min_u32_e32 v72, 0x400, v72
	v_min_u32_e32 v73, 0x400, v73
	;; [unrolled: 1-line block ×15, first 2 shown]
	v_lshlrev_b32_e32 v50, 3, v50
	v_lshlrev_b32_e32 v72, 3, v72
	;; [unrolled: 1-line block ×16, first 2 shown]
	ds_write_b64 v50, v[16:17] offset:1024
	ds_write_b64 v72, v[20:21] offset:1024
	;; [unrolled: 1-line block ×16, first 2 shown]
	s_waitcnt lgkmcnt(0)
	s_barrier
	s_set_gpr_idx_on s0, gpr_idx(SRC0)
	v_mov_b32_e32 v50, v0
	s_set_gpr_idx_off
	v_lshlrev_b32_e32 v50, 2, v50
	ds_read_b32 v50, v50
	ds_read_b64 v[72:73], v19 offset:1024
	v_mov_b32_e32 v87, s51
	s_addk_i32 s2, 0xfc00
	s_waitcnt lgkmcnt(1)
	v_add_u32_e32 v50, v71, v50
	v_lshlrev_b64 v[74:75], 3, v[50:51]
	v_add_co_u32_e64 v74, s[0:1], s50, v74
	v_addc_co_u32_e64 v75, s[0:1], v87, v75, s[0:1]
	s_waitcnt lgkmcnt(0)
	global_store_dwordx2 v[74:75], v[72:73], off
	s_set_gpr_idx_on s3, gpr_idx(SRC0)
	v_mov_b32_e32 v50, v0
	s_set_gpr_idx_off
	v_lshlrev_b32_e32 v50, 2, v50
	ds_read_b32 v50, v50
	ds_read_b64 v[72:73], v70 offset:4096
	s_add_i32 s3, s3, 2
	s_cmpk_lg_i32 s2, 0xe000
	s_waitcnt lgkmcnt(1)
	v_add3_u32 v50, v71, v50, s4
	v_lshlrev_b64 v[74:75], 3, v[50:51]
	v_add_co_u32_e64 v74, s[0:1], s50, v74
	v_add_u32_e32 v71, 0x400, v71
	v_addc_co_u32_e64 v75, s[0:1], v87, v75, s[0:1]
	s_waitcnt lgkmcnt(0)
	global_store_dwordx2 v[74:75], v[72:73], off
	s_barrier
	s_cbranch_scc1 .LBB188_196
; %bb.197:
	s_add_i32 s14, s14, -1
	s_cmp_eq_u32 s14, s33
	s_cselect_b64 s[0:1], -1, 0
	s_and_b64 s[2:3], vcc, s[0:1]
                                        ; implicit-def: $vgpr2
	s_and_saveexec_b64 s[0:1], s[2:3]
; %bb.198:
	v_add_u32_e32 v2, v52, v55
	s_or_b64 s[8:9], s[8:9], exec
; %bb.199:
	s_or_b64 exec, exec, s[0:1]
.LBB188_200:
	s_and_saveexec_b64 s[0:1], s[8:9]
	s_cbranch_execnz .LBB188_202
; %bb.201:
	s_endpgm
.LBB188_202:
	v_lshlrev_b32_e32 v0, 2, v18
	ds_read_b32 v1, v0
	s_waitcnt lgkmcnt(0)
	v_add_u32_e32 v1, v1, v2
	global_store_dword v0, v1, s[54:55]
	s_endpgm
	.section	.rodata,"a",@progbits
	.p2align	6, 0x0
	.amdhsa_kernel _ZN7rocprim17ROCPRIM_400000_NS6detail17trampoline_kernelINS0_14default_configENS1_35radix_sort_onesweep_config_selectorIjN6thrust23THRUST_200600_302600_NS5tupleIffNS6_9null_typeES8_S8_S8_S8_S8_S8_S8_EEEEZZNS1_29radix_sort_onesweep_iterationIS3_Lb0ENS6_6detail15normal_iteratorINS6_10device_ptrIjEEEESG_NSD_INSE_IS9_EEEESI_jNS0_19identity_decomposerENS1_16block_id_wrapperIjLb1EEEEE10hipError_tT1_PNSt15iterator_traitsISN_E10value_typeET2_T3_PNSO_IST_E10value_typeET4_T5_PSY_SZ_PNS1_23onesweep_lookback_stateEbbT6_jjT7_P12ihipStream_tbENKUlT_T0_SN_SS_E_clISG_PjSI_PS9_EEDaS16_S17_SN_SS_EUlS16_E_NS1_11comp_targetILNS1_3genE4ELNS1_11target_archE910ELNS1_3gpuE8ELNS1_3repE0EEENS1_47radix_sort_onesweep_sort_config_static_selectorELNS0_4arch9wavefront6targetE1EEEvSN_
		.amdhsa_group_segment_fixed_size 10280
		.amdhsa_private_segment_fixed_size 0
		.amdhsa_kernarg_size 344
		.amdhsa_user_sgpr_count 6
		.amdhsa_user_sgpr_private_segment_buffer 1
		.amdhsa_user_sgpr_dispatch_ptr 0
		.amdhsa_user_sgpr_queue_ptr 0
		.amdhsa_user_sgpr_kernarg_segment_ptr 1
		.amdhsa_user_sgpr_dispatch_id 0
		.amdhsa_user_sgpr_flat_scratch_init 0
		.amdhsa_user_sgpr_kernarg_preload_length 0
		.amdhsa_user_sgpr_kernarg_preload_offset 0
		.amdhsa_user_sgpr_private_segment_size 0
		.amdhsa_uses_dynamic_stack 0
		.amdhsa_system_sgpr_private_segment_wavefront_offset 0
		.amdhsa_system_sgpr_workgroup_id_x 1
		.amdhsa_system_sgpr_workgroup_id_y 0
		.amdhsa_system_sgpr_workgroup_id_z 0
		.amdhsa_system_sgpr_workgroup_info 0
		.amdhsa_system_vgpr_workitem_id 2
		.amdhsa_next_free_vgpr 88
		.amdhsa_next_free_sgpr 72
		.amdhsa_accum_offset 88
		.amdhsa_reserve_vcc 1
		.amdhsa_reserve_flat_scratch 0
		.amdhsa_float_round_mode_32 0
		.amdhsa_float_round_mode_16_64 0
		.amdhsa_float_denorm_mode_32 3
		.amdhsa_float_denorm_mode_16_64 3
		.amdhsa_dx10_clamp 1
		.amdhsa_ieee_mode 1
		.amdhsa_fp16_overflow 0
		.amdhsa_tg_split 0
		.amdhsa_exception_fp_ieee_invalid_op 0
		.amdhsa_exception_fp_denorm_src 0
		.amdhsa_exception_fp_ieee_div_zero 0
		.amdhsa_exception_fp_ieee_overflow 0
		.amdhsa_exception_fp_ieee_underflow 0
		.amdhsa_exception_fp_ieee_inexact 0
		.amdhsa_exception_int_div_zero 0
	.end_amdhsa_kernel
	.section	.text._ZN7rocprim17ROCPRIM_400000_NS6detail17trampoline_kernelINS0_14default_configENS1_35radix_sort_onesweep_config_selectorIjN6thrust23THRUST_200600_302600_NS5tupleIffNS6_9null_typeES8_S8_S8_S8_S8_S8_S8_EEEEZZNS1_29radix_sort_onesweep_iterationIS3_Lb0ENS6_6detail15normal_iteratorINS6_10device_ptrIjEEEESG_NSD_INSE_IS9_EEEESI_jNS0_19identity_decomposerENS1_16block_id_wrapperIjLb1EEEEE10hipError_tT1_PNSt15iterator_traitsISN_E10value_typeET2_T3_PNSO_IST_E10value_typeET4_T5_PSY_SZ_PNS1_23onesweep_lookback_stateEbbT6_jjT7_P12ihipStream_tbENKUlT_T0_SN_SS_E_clISG_PjSI_PS9_EEDaS16_S17_SN_SS_EUlS16_E_NS1_11comp_targetILNS1_3genE4ELNS1_11target_archE910ELNS1_3gpuE8ELNS1_3repE0EEENS1_47radix_sort_onesweep_sort_config_static_selectorELNS0_4arch9wavefront6targetE1EEEvSN_,"axG",@progbits,_ZN7rocprim17ROCPRIM_400000_NS6detail17trampoline_kernelINS0_14default_configENS1_35radix_sort_onesweep_config_selectorIjN6thrust23THRUST_200600_302600_NS5tupleIffNS6_9null_typeES8_S8_S8_S8_S8_S8_S8_EEEEZZNS1_29radix_sort_onesweep_iterationIS3_Lb0ENS6_6detail15normal_iteratorINS6_10device_ptrIjEEEESG_NSD_INSE_IS9_EEEESI_jNS0_19identity_decomposerENS1_16block_id_wrapperIjLb1EEEEE10hipError_tT1_PNSt15iterator_traitsISN_E10value_typeET2_T3_PNSO_IST_E10value_typeET4_T5_PSY_SZ_PNS1_23onesweep_lookback_stateEbbT6_jjT7_P12ihipStream_tbENKUlT_T0_SN_SS_E_clISG_PjSI_PS9_EEDaS16_S17_SN_SS_EUlS16_E_NS1_11comp_targetILNS1_3genE4ELNS1_11target_archE910ELNS1_3gpuE8ELNS1_3repE0EEENS1_47radix_sort_onesweep_sort_config_static_selectorELNS0_4arch9wavefront6targetE1EEEvSN_,comdat
.Lfunc_end188:
	.size	_ZN7rocprim17ROCPRIM_400000_NS6detail17trampoline_kernelINS0_14default_configENS1_35radix_sort_onesweep_config_selectorIjN6thrust23THRUST_200600_302600_NS5tupleIffNS6_9null_typeES8_S8_S8_S8_S8_S8_S8_EEEEZZNS1_29radix_sort_onesweep_iterationIS3_Lb0ENS6_6detail15normal_iteratorINS6_10device_ptrIjEEEESG_NSD_INSE_IS9_EEEESI_jNS0_19identity_decomposerENS1_16block_id_wrapperIjLb1EEEEE10hipError_tT1_PNSt15iterator_traitsISN_E10value_typeET2_T3_PNSO_IST_E10value_typeET4_T5_PSY_SZ_PNS1_23onesweep_lookback_stateEbbT6_jjT7_P12ihipStream_tbENKUlT_T0_SN_SS_E_clISG_PjSI_PS9_EEDaS16_S17_SN_SS_EUlS16_E_NS1_11comp_targetILNS1_3genE4ELNS1_11target_archE910ELNS1_3gpuE8ELNS1_3repE0EEENS1_47radix_sort_onesweep_sort_config_static_selectorELNS0_4arch9wavefront6targetE1EEEvSN_, .Lfunc_end188-_ZN7rocprim17ROCPRIM_400000_NS6detail17trampoline_kernelINS0_14default_configENS1_35radix_sort_onesweep_config_selectorIjN6thrust23THRUST_200600_302600_NS5tupleIffNS6_9null_typeES8_S8_S8_S8_S8_S8_S8_EEEEZZNS1_29radix_sort_onesweep_iterationIS3_Lb0ENS6_6detail15normal_iteratorINS6_10device_ptrIjEEEESG_NSD_INSE_IS9_EEEESI_jNS0_19identity_decomposerENS1_16block_id_wrapperIjLb1EEEEE10hipError_tT1_PNSt15iterator_traitsISN_E10value_typeET2_T3_PNSO_IST_E10value_typeET4_T5_PSY_SZ_PNS1_23onesweep_lookback_stateEbbT6_jjT7_P12ihipStream_tbENKUlT_T0_SN_SS_E_clISG_PjSI_PS9_EEDaS16_S17_SN_SS_EUlS16_E_NS1_11comp_targetILNS1_3genE4ELNS1_11target_archE910ELNS1_3gpuE8ELNS1_3repE0EEENS1_47radix_sort_onesweep_sort_config_static_selectorELNS0_4arch9wavefront6targetE1EEEvSN_
                                        ; -- End function
	.section	.AMDGPU.csdata,"",@progbits
; Kernel info:
; codeLenInByte = 20408
; NumSgprs: 76
; NumVgprs: 88
; NumAgprs: 0
; TotalNumVgprs: 88
; ScratchSize: 0
; MemoryBound: 0
; FloatMode: 240
; IeeeMode: 1
; LDSByteSize: 10280 bytes/workgroup (compile time only)
; SGPRBlocks: 9
; VGPRBlocks: 10
; NumSGPRsForWavesPerEU: 76
; NumVGPRsForWavesPerEU: 88
; AccumOffset: 88
; Occupancy: 5
; WaveLimiterHint : 1
; COMPUTE_PGM_RSRC2:SCRATCH_EN: 0
; COMPUTE_PGM_RSRC2:USER_SGPR: 6
; COMPUTE_PGM_RSRC2:TRAP_HANDLER: 0
; COMPUTE_PGM_RSRC2:TGID_X_EN: 1
; COMPUTE_PGM_RSRC2:TGID_Y_EN: 0
; COMPUTE_PGM_RSRC2:TGID_Z_EN: 0
; COMPUTE_PGM_RSRC2:TIDIG_COMP_CNT: 2
; COMPUTE_PGM_RSRC3_GFX90A:ACCUM_OFFSET: 21
; COMPUTE_PGM_RSRC3_GFX90A:TG_SPLIT: 0
	.section	.text._ZN7rocprim17ROCPRIM_400000_NS6detail17trampoline_kernelINS0_14default_configENS1_35radix_sort_onesweep_config_selectorIjN6thrust23THRUST_200600_302600_NS5tupleIffNS6_9null_typeES8_S8_S8_S8_S8_S8_S8_EEEEZZNS1_29radix_sort_onesweep_iterationIS3_Lb0ENS6_6detail15normal_iteratorINS6_10device_ptrIjEEEESG_NSD_INSE_IS9_EEEESI_jNS0_19identity_decomposerENS1_16block_id_wrapperIjLb1EEEEE10hipError_tT1_PNSt15iterator_traitsISN_E10value_typeET2_T3_PNSO_IST_E10value_typeET4_T5_PSY_SZ_PNS1_23onesweep_lookback_stateEbbT6_jjT7_P12ihipStream_tbENKUlT_T0_SN_SS_E_clISG_PjSI_PS9_EEDaS16_S17_SN_SS_EUlS16_E_NS1_11comp_targetILNS1_3genE3ELNS1_11target_archE908ELNS1_3gpuE7ELNS1_3repE0EEENS1_47radix_sort_onesweep_sort_config_static_selectorELNS0_4arch9wavefront6targetE1EEEvSN_,"axG",@progbits,_ZN7rocprim17ROCPRIM_400000_NS6detail17trampoline_kernelINS0_14default_configENS1_35radix_sort_onesweep_config_selectorIjN6thrust23THRUST_200600_302600_NS5tupleIffNS6_9null_typeES8_S8_S8_S8_S8_S8_S8_EEEEZZNS1_29radix_sort_onesweep_iterationIS3_Lb0ENS6_6detail15normal_iteratorINS6_10device_ptrIjEEEESG_NSD_INSE_IS9_EEEESI_jNS0_19identity_decomposerENS1_16block_id_wrapperIjLb1EEEEE10hipError_tT1_PNSt15iterator_traitsISN_E10value_typeET2_T3_PNSO_IST_E10value_typeET4_T5_PSY_SZ_PNS1_23onesweep_lookback_stateEbbT6_jjT7_P12ihipStream_tbENKUlT_T0_SN_SS_E_clISG_PjSI_PS9_EEDaS16_S17_SN_SS_EUlS16_E_NS1_11comp_targetILNS1_3genE3ELNS1_11target_archE908ELNS1_3gpuE7ELNS1_3repE0EEENS1_47radix_sort_onesweep_sort_config_static_selectorELNS0_4arch9wavefront6targetE1EEEvSN_,comdat
	.protected	_ZN7rocprim17ROCPRIM_400000_NS6detail17trampoline_kernelINS0_14default_configENS1_35radix_sort_onesweep_config_selectorIjN6thrust23THRUST_200600_302600_NS5tupleIffNS6_9null_typeES8_S8_S8_S8_S8_S8_S8_EEEEZZNS1_29radix_sort_onesweep_iterationIS3_Lb0ENS6_6detail15normal_iteratorINS6_10device_ptrIjEEEESG_NSD_INSE_IS9_EEEESI_jNS0_19identity_decomposerENS1_16block_id_wrapperIjLb1EEEEE10hipError_tT1_PNSt15iterator_traitsISN_E10value_typeET2_T3_PNSO_IST_E10value_typeET4_T5_PSY_SZ_PNS1_23onesweep_lookback_stateEbbT6_jjT7_P12ihipStream_tbENKUlT_T0_SN_SS_E_clISG_PjSI_PS9_EEDaS16_S17_SN_SS_EUlS16_E_NS1_11comp_targetILNS1_3genE3ELNS1_11target_archE908ELNS1_3gpuE7ELNS1_3repE0EEENS1_47radix_sort_onesweep_sort_config_static_selectorELNS0_4arch9wavefront6targetE1EEEvSN_ ; -- Begin function _ZN7rocprim17ROCPRIM_400000_NS6detail17trampoline_kernelINS0_14default_configENS1_35radix_sort_onesweep_config_selectorIjN6thrust23THRUST_200600_302600_NS5tupleIffNS6_9null_typeES8_S8_S8_S8_S8_S8_S8_EEEEZZNS1_29radix_sort_onesweep_iterationIS3_Lb0ENS6_6detail15normal_iteratorINS6_10device_ptrIjEEEESG_NSD_INSE_IS9_EEEESI_jNS0_19identity_decomposerENS1_16block_id_wrapperIjLb1EEEEE10hipError_tT1_PNSt15iterator_traitsISN_E10value_typeET2_T3_PNSO_IST_E10value_typeET4_T5_PSY_SZ_PNS1_23onesweep_lookback_stateEbbT6_jjT7_P12ihipStream_tbENKUlT_T0_SN_SS_E_clISG_PjSI_PS9_EEDaS16_S17_SN_SS_EUlS16_E_NS1_11comp_targetILNS1_3genE3ELNS1_11target_archE908ELNS1_3gpuE7ELNS1_3repE0EEENS1_47radix_sort_onesweep_sort_config_static_selectorELNS0_4arch9wavefront6targetE1EEEvSN_
	.globl	_ZN7rocprim17ROCPRIM_400000_NS6detail17trampoline_kernelINS0_14default_configENS1_35radix_sort_onesweep_config_selectorIjN6thrust23THRUST_200600_302600_NS5tupleIffNS6_9null_typeES8_S8_S8_S8_S8_S8_S8_EEEEZZNS1_29radix_sort_onesweep_iterationIS3_Lb0ENS6_6detail15normal_iteratorINS6_10device_ptrIjEEEESG_NSD_INSE_IS9_EEEESI_jNS0_19identity_decomposerENS1_16block_id_wrapperIjLb1EEEEE10hipError_tT1_PNSt15iterator_traitsISN_E10value_typeET2_T3_PNSO_IST_E10value_typeET4_T5_PSY_SZ_PNS1_23onesweep_lookback_stateEbbT6_jjT7_P12ihipStream_tbENKUlT_T0_SN_SS_E_clISG_PjSI_PS9_EEDaS16_S17_SN_SS_EUlS16_E_NS1_11comp_targetILNS1_3genE3ELNS1_11target_archE908ELNS1_3gpuE7ELNS1_3repE0EEENS1_47radix_sort_onesweep_sort_config_static_selectorELNS0_4arch9wavefront6targetE1EEEvSN_
	.p2align	8
	.type	_ZN7rocprim17ROCPRIM_400000_NS6detail17trampoline_kernelINS0_14default_configENS1_35radix_sort_onesweep_config_selectorIjN6thrust23THRUST_200600_302600_NS5tupleIffNS6_9null_typeES8_S8_S8_S8_S8_S8_S8_EEEEZZNS1_29radix_sort_onesweep_iterationIS3_Lb0ENS6_6detail15normal_iteratorINS6_10device_ptrIjEEEESG_NSD_INSE_IS9_EEEESI_jNS0_19identity_decomposerENS1_16block_id_wrapperIjLb1EEEEE10hipError_tT1_PNSt15iterator_traitsISN_E10value_typeET2_T3_PNSO_IST_E10value_typeET4_T5_PSY_SZ_PNS1_23onesweep_lookback_stateEbbT6_jjT7_P12ihipStream_tbENKUlT_T0_SN_SS_E_clISG_PjSI_PS9_EEDaS16_S17_SN_SS_EUlS16_E_NS1_11comp_targetILNS1_3genE3ELNS1_11target_archE908ELNS1_3gpuE7ELNS1_3repE0EEENS1_47radix_sort_onesweep_sort_config_static_selectorELNS0_4arch9wavefront6targetE1EEEvSN_,@function
_ZN7rocprim17ROCPRIM_400000_NS6detail17trampoline_kernelINS0_14default_configENS1_35radix_sort_onesweep_config_selectorIjN6thrust23THRUST_200600_302600_NS5tupleIffNS6_9null_typeES8_S8_S8_S8_S8_S8_S8_EEEEZZNS1_29radix_sort_onesweep_iterationIS3_Lb0ENS6_6detail15normal_iteratorINS6_10device_ptrIjEEEESG_NSD_INSE_IS9_EEEESI_jNS0_19identity_decomposerENS1_16block_id_wrapperIjLb1EEEEE10hipError_tT1_PNSt15iterator_traitsISN_E10value_typeET2_T3_PNSO_IST_E10value_typeET4_T5_PSY_SZ_PNS1_23onesweep_lookback_stateEbbT6_jjT7_P12ihipStream_tbENKUlT_T0_SN_SS_E_clISG_PjSI_PS9_EEDaS16_S17_SN_SS_EUlS16_E_NS1_11comp_targetILNS1_3genE3ELNS1_11target_archE908ELNS1_3gpuE7ELNS1_3repE0EEENS1_47radix_sort_onesweep_sort_config_static_selectorELNS0_4arch9wavefront6targetE1EEEvSN_: ; @_ZN7rocprim17ROCPRIM_400000_NS6detail17trampoline_kernelINS0_14default_configENS1_35radix_sort_onesweep_config_selectorIjN6thrust23THRUST_200600_302600_NS5tupleIffNS6_9null_typeES8_S8_S8_S8_S8_S8_S8_EEEEZZNS1_29radix_sort_onesweep_iterationIS3_Lb0ENS6_6detail15normal_iteratorINS6_10device_ptrIjEEEESG_NSD_INSE_IS9_EEEESI_jNS0_19identity_decomposerENS1_16block_id_wrapperIjLb1EEEEE10hipError_tT1_PNSt15iterator_traitsISN_E10value_typeET2_T3_PNSO_IST_E10value_typeET4_T5_PSY_SZ_PNS1_23onesweep_lookback_stateEbbT6_jjT7_P12ihipStream_tbENKUlT_T0_SN_SS_E_clISG_PjSI_PS9_EEDaS16_S17_SN_SS_EUlS16_E_NS1_11comp_targetILNS1_3genE3ELNS1_11target_archE908ELNS1_3gpuE7ELNS1_3repE0EEENS1_47radix_sort_onesweep_sort_config_static_selectorELNS0_4arch9wavefront6targetE1EEEvSN_
; %bb.0:
	.section	.rodata,"a",@progbits
	.p2align	6, 0x0
	.amdhsa_kernel _ZN7rocprim17ROCPRIM_400000_NS6detail17trampoline_kernelINS0_14default_configENS1_35radix_sort_onesweep_config_selectorIjN6thrust23THRUST_200600_302600_NS5tupleIffNS6_9null_typeES8_S8_S8_S8_S8_S8_S8_EEEEZZNS1_29radix_sort_onesweep_iterationIS3_Lb0ENS6_6detail15normal_iteratorINS6_10device_ptrIjEEEESG_NSD_INSE_IS9_EEEESI_jNS0_19identity_decomposerENS1_16block_id_wrapperIjLb1EEEEE10hipError_tT1_PNSt15iterator_traitsISN_E10value_typeET2_T3_PNSO_IST_E10value_typeET4_T5_PSY_SZ_PNS1_23onesweep_lookback_stateEbbT6_jjT7_P12ihipStream_tbENKUlT_T0_SN_SS_E_clISG_PjSI_PS9_EEDaS16_S17_SN_SS_EUlS16_E_NS1_11comp_targetILNS1_3genE3ELNS1_11target_archE908ELNS1_3gpuE7ELNS1_3repE0EEENS1_47radix_sort_onesweep_sort_config_static_selectorELNS0_4arch9wavefront6targetE1EEEvSN_
		.amdhsa_group_segment_fixed_size 0
		.amdhsa_private_segment_fixed_size 0
		.amdhsa_kernarg_size 88
		.amdhsa_user_sgpr_count 6
		.amdhsa_user_sgpr_private_segment_buffer 1
		.amdhsa_user_sgpr_dispatch_ptr 0
		.amdhsa_user_sgpr_queue_ptr 0
		.amdhsa_user_sgpr_kernarg_segment_ptr 1
		.amdhsa_user_sgpr_dispatch_id 0
		.amdhsa_user_sgpr_flat_scratch_init 0
		.amdhsa_user_sgpr_kernarg_preload_length 0
		.amdhsa_user_sgpr_kernarg_preload_offset 0
		.amdhsa_user_sgpr_private_segment_size 0
		.amdhsa_uses_dynamic_stack 0
		.amdhsa_system_sgpr_private_segment_wavefront_offset 0
		.amdhsa_system_sgpr_workgroup_id_x 1
		.amdhsa_system_sgpr_workgroup_id_y 0
		.amdhsa_system_sgpr_workgroup_id_z 0
		.amdhsa_system_sgpr_workgroup_info 0
		.amdhsa_system_vgpr_workitem_id 0
		.amdhsa_next_free_vgpr 1
		.amdhsa_next_free_sgpr 0
		.amdhsa_accum_offset 4
		.amdhsa_reserve_vcc 0
		.amdhsa_reserve_flat_scratch 0
		.amdhsa_float_round_mode_32 0
		.amdhsa_float_round_mode_16_64 0
		.amdhsa_float_denorm_mode_32 3
		.amdhsa_float_denorm_mode_16_64 3
		.amdhsa_dx10_clamp 1
		.amdhsa_ieee_mode 1
		.amdhsa_fp16_overflow 0
		.amdhsa_tg_split 0
		.amdhsa_exception_fp_ieee_invalid_op 0
		.amdhsa_exception_fp_denorm_src 0
		.amdhsa_exception_fp_ieee_div_zero 0
		.amdhsa_exception_fp_ieee_overflow 0
		.amdhsa_exception_fp_ieee_underflow 0
		.amdhsa_exception_fp_ieee_inexact 0
		.amdhsa_exception_int_div_zero 0
	.end_amdhsa_kernel
	.section	.text._ZN7rocprim17ROCPRIM_400000_NS6detail17trampoline_kernelINS0_14default_configENS1_35radix_sort_onesweep_config_selectorIjN6thrust23THRUST_200600_302600_NS5tupleIffNS6_9null_typeES8_S8_S8_S8_S8_S8_S8_EEEEZZNS1_29radix_sort_onesweep_iterationIS3_Lb0ENS6_6detail15normal_iteratorINS6_10device_ptrIjEEEESG_NSD_INSE_IS9_EEEESI_jNS0_19identity_decomposerENS1_16block_id_wrapperIjLb1EEEEE10hipError_tT1_PNSt15iterator_traitsISN_E10value_typeET2_T3_PNSO_IST_E10value_typeET4_T5_PSY_SZ_PNS1_23onesweep_lookback_stateEbbT6_jjT7_P12ihipStream_tbENKUlT_T0_SN_SS_E_clISG_PjSI_PS9_EEDaS16_S17_SN_SS_EUlS16_E_NS1_11comp_targetILNS1_3genE3ELNS1_11target_archE908ELNS1_3gpuE7ELNS1_3repE0EEENS1_47radix_sort_onesweep_sort_config_static_selectorELNS0_4arch9wavefront6targetE1EEEvSN_,"axG",@progbits,_ZN7rocprim17ROCPRIM_400000_NS6detail17trampoline_kernelINS0_14default_configENS1_35radix_sort_onesweep_config_selectorIjN6thrust23THRUST_200600_302600_NS5tupleIffNS6_9null_typeES8_S8_S8_S8_S8_S8_S8_EEEEZZNS1_29radix_sort_onesweep_iterationIS3_Lb0ENS6_6detail15normal_iteratorINS6_10device_ptrIjEEEESG_NSD_INSE_IS9_EEEESI_jNS0_19identity_decomposerENS1_16block_id_wrapperIjLb1EEEEE10hipError_tT1_PNSt15iterator_traitsISN_E10value_typeET2_T3_PNSO_IST_E10value_typeET4_T5_PSY_SZ_PNS1_23onesweep_lookback_stateEbbT6_jjT7_P12ihipStream_tbENKUlT_T0_SN_SS_E_clISG_PjSI_PS9_EEDaS16_S17_SN_SS_EUlS16_E_NS1_11comp_targetILNS1_3genE3ELNS1_11target_archE908ELNS1_3gpuE7ELNS1_3repE0EEENS1_47radix_sort_onesweep_sort_config_static_selectorELNS0_4arch9wavefront6targetE1EEEvSN_,comdat
.Lfunc_end189:
	.size	_ZN7rocprim17ROCPRIM_400000_NS6detail17trampoline_kernelINS0_14default_configENS1_35radix_sort_onesweep_config_selectorIjN6thrust23THRUST_200600_302600_NS5tupleIffNS6_9null_typeES8_S8_S8_S8_S8_S8_S8_EEEEZZNS1_29radix_sort_onesweep_iterationIS3_Lb0ENS6_6detail15normal_iteratorINS6_10device_ptrIjEEEESG_NSD_INSE_IS9_EEEESI_jNS0_19identity_decomposerENS1_16block_id_wrapperIjLb1EEEEE10hipError_tT1_PNSt15iterator_traitsISN_E10value_typeET2_T3_PNSO_IST_E10value_typeET4_T5_PSY_SZ_PNS1_23onesweep_lookback_stateEbbT6_jjT7_P12ihipStream_tbENKUlT_T0_SN_SS_E_clISG_PjSI_PS9_EEDaS16_S17_SN_SS_EUlS16_E_NS1_11comp_targetILNS1_3genE3ELNS1_11target_archE908ELNS1_3gpuE7ELNS1_3repE0EEENS1_47radix_sort_onesweep_sort_config_static_selectorELNS0_4arch9wavefront6targetE1EEEvSN_, .Lfunc_end189-_ZN7rocprim17ROCPRIM_400000_NS6detail17trampoline_kernelINS0_14default_configENS1_35radix_sort_onesweep_config_selectorIjN6thrust23THRUST_200600_302600_NS5tupleIffNS6_9null_typeES8_S8_S8_S8_S8_S8_S8_EEEEZZNS1_29radix_sort_onesweep_iterationIS3_Lb0ENS6_6detail15normal_iteratorINS6_10device_ptrIjEEEESG_NSD_INSE_IS9_EEEESI_jNS0_19identity_decomposerENS1_16block_id_wrapperIjLb1EEEEE10hipError_tT1_PNSt15iterator_traitsISN_E10value_typeET2_T3_PNSO_IST_E10value_typeET4_T5_PSY_SZ_PNS1_23onesweep_lookback_stateEbbT6_jjT7_P12ihipStream_tbENKUlT_T0_SN_SS_E_clISG_PjSI_PS9_EEDaS16_S17_SN_SS_EUlS16_E_NS1_11comp_targetILNS1_3genE3ELNS1_11target_archE908ELNS1_3gpuE7ELNS1_3repE0EEENS1_47radix_sort_onesweep_sort_config_static_selectorELNS0_4arch9wavefront6targetE1EEEvSN_
                                        ; -- End function
	.section	.AMDGPU.csdata,"",@progbits
; Kernel info:
; codeLenInByte = 0
; NumSgprs: 4
; NumVgprs: 0
; NumAgprs: 0
; TotalNumVgprs: 0
; ScratchSize: 0
; MemoryBound: 0
; FloatMode: 240
; IeeeMode: 1
; LDSByteSize: 0 bytes/workgroup (compile time only)
; SGPRBlocks: 0
; VGPRBlocks: 0
; NumSGPRsForWavesPerEU: 4
; NumVGPRsForWavesPerEU: 1
; AccumOffset: 4
; Occupancy: 8
; WaveLimiterHint : 0
; COMPUTE_PGM_RSRC2:SCRATCH_EN: 0
; COMPUTE_PGM_RSRC2:USER_SGPR: 6
; COMPUTE_PGM_RSRC2:TRAP_HANDLER: 0
; COMPUTE_PGM_RSRC2:TGID_X_EN: 1
; COMPUTE_PGM_RSRC2:TGID_Y_EN: 0
; COMPUTE_PGM_RSRC2:TGID_Z_EN: 0
; COMPUTE_PGM_RSRC2:TIDIG_COMP_CNT: 0
; COMPUTE_PGM_RSRC3_GFX90A:ACCUM_OFFSET: 0
; COMPUTE_PGM_RSRC3_GFX90A:TG_SPLIT: 0
	.section	.text._ZN7rocprim17ROCPRIM_400000_NS6detail17trampoline_kernelINS0_14default_configENS1_35radix_sort_onesweep_config_selectorIjN6thrust23THRUST_200600_302600_NS5tupleIffNS6_9null_typeES8_S8_S8_S8_S8_S8_S8_EEEEZZNS1_29radix_sort_onesweep_iterationIS3_Lb0ENS6_6detail15normal_iteratorINS6_10device_ptrIjEEEESG_NSD_INSE_IS9_EEEESI_jNS0_19identity_decomposerENS1_16block_id_wrapperIjLb1EEEEE10hipError_tT1_PNSt15iterator_traitsISN_E10value_typeET2_T3_PNSO_IST_E10value_typeET4_T5_PSY_SZ_PNS1_23onesweep_lookback_stateEbbT6_jjT7_P12ihipStream_tbENKUlT_T0_SN_SS_E_clISG_PjSI_PS9_EEDaS16_S17_SN_SS_EUlS16_E_NS1_11comp_targetILNS1_3genE10ELNS1_11target_archE1201ELNS1_3gpuE5ELNS1_3repE0EEENS1_47radix_sort_onesweep_sort_config_static_selectorELNS0_4arch9wavefront6targetE1EEEvSN_,"axG",@progbits,_ZN7rocprim17ROCPRIM_400000_NS6detail17trampoline_kernelINS0_14default_configENS1_35radix_sort_onesweep_config_selectorIjN6thrust23THRUST_200600_302600_NS5tupleIffNS6_9null_typeES8_S8_S8_S8_S8_S8_S8_EEEEZZNS1_29radix_sort_onesweep_iterationIS3_Lb0ENS6_6detail15normal_iteratorINS6_10device_ptrIjEEEESG_NSD_INSE_IS9_EEEESI_jNS0_19identity_decomposerENS1_16block_id_wrapperIjLb1EEEEE10hipError_tT1_PNSt15iterator_traitsISN_E10value_typeET2_T3_PNSO_IST_E10value_typeET4_T5_PSY_SZ_PNS1_23onesweep_lookback_stateEbbT6_jjT7_P12ihipStream_tbENKUlT_T0_SN_SS_E_clISG_PjSI_PS9_EEDaS16_S17_SN_SS_EUlS16_E_NS1_11comp_targetILNS1_3genE10ELNS1_11target_archE1201ELNS1_3gpuE5ELNS1_3repE0EEENS1_47radix_sort_onesweep_sort_config_static_selectorELNS0_4arch9wavefront6targetE1EEEvSN_,comdat
	.protected	_ZN7rocprim17ROCPRIM_400000_NS6detail17trampoline_kernelINS0_14default_configENS1_35radix_sort_onesweep_config_selectorIjN6thrust23THRUST_200600_302600_NS5tupleIffNS6_9null_typeES8_S8_S8_S8_S8_S8_S8_EEEEZZNS1_29radix_sort_onesweep_iterationIS3_Lb0ENS6_6detail15normal_iteratorINS6_10device_ptrIjEEEESG_NSD_INSE_IS9_EEEESI_jNS0_19identity_decomposerENS1_16block_id_wrapperIjLb1EEEEE10hipError_tT1_PNSt15iterator_traitsISN_E10value_typeET2_T3_PNSO_IST_E10value_typeET4_T5_PSY_SZ_PNS1_23onesweep_lookback_stateEbbT6_jjT7_P12ihipStream_tbENKUlT_T0_SN_SS_E_clISG_PjSI_PS9_EEDaS16_S17_SN_SS_EUlS16_E_NS1_11comp_targetILNS1_3genE10ELNS1_11target_archE1201ELNS1_3gpuE5ELNS1_3repE0EEENS1_47radix_sort_onesweep_sort_config_static_selectorELNS0_4arch9wavefront6targetE1EEEvSN_ ; -- Begin function _ZN7rocprim17ROCPRIM_400000_NS6detail17trampoline_kernelINS0_14default_configENS1_35radix_sort_onesweep_config_selectorIjN6thrust23THRUST_200600_302600_NS5tupleIffNS6_9null_typeES8_S8_S8_S8_S8_S8_S8_EEEEZZNS1_29radix_sort_onesweep_iterationIS3_Lb0ENS6_6detail15normal_iteratorINS6_10device_ptrIjEEEESG_NSD_INSE_IS9_EEEESI_jNS0_19identity_decomposerENS1_16block_id_wrapperIjLb1EEEEE10hipError_tT1_PNSt15iterator_traitsISN_E10value_typeET2_T3_PNSO_IST_E10value_typeET4_T5_PSY_SZ_PNS1_23onesweep_lookback_stateEbbT6_jjT7_P12ihipStream_tbENKUlT_T0_SN_SS_E_clISG_PjSI_PS9_EEDaS16_S17_SN_SS_EUlS16_E_NS1_11comp_targetILNS1_3genE10ELNS1_11target_archE1201ELNS1_3gpuE5ELNS1_3repE0EEENS1_47radix_sort_onesweep_sort_config_static_selectorELNS0_4arch9wavefront6targetE1EEEvSN_
	.globl	_ZN7rocprim17ROCPRIM_400000_NS6detail17trampoline_kernelINS0_14default_configENS1_35radix_sort_onesweep_config_selectorIjN6thrust23THRUST_200600_302600_NS5tupleIffNS6_9null_typeES8_S8_S8_S8_S8_S8_S8_EEEEZZNS1_29radix_sort_onesweep_iterationIS3_Lb0ENS6_6detail15normal_iteratorINS6_10device_ptrIjEEEESG_NSD_INSE_IS9_EEEESI_jNS0_19identity_decomposerENS1_16block_id_wrapperIjLb1EEEEE10hipError_tT1_PNSt15iterator_traitsISN_E10value_typeET2_T3_PNSO_IST_E10value_typeET4_T5_PSY_SZ_PNS1_23onesweep_lookback_stateEbbT6_jjT7_P12ihipStream_tbENKUlT_T0_SN_SS_E_clISG_PjSI_PS9_EEDaS16_S17_SN_SS_EUlS16_E_NS1_11comp_targetILNS1_3genE10ELNS1_11target_archE1201ELNS1_3gpuE5ELNS1_3repE0EEENS1_47radix_sort_onesweep_sort_config_static_selectorELNS0_4arch9wavefront6targetE1EEEvSN_
	.p2align	8
	.type	_ZN7rocprim17ROCPRIM_400000_NS6detail17trampoline_kernelINS0_14default_configENS1_35radix_sort_onesweep_config_selectorIjN6thrust23THRUST_200600_302600_NS5tupleIffNS6_9null_typeES8_S8_S8_S8_S8_S8_S8_EEEEZZNS1_29radix_sort_onesweep_iterationIS3_Lb0ENS6_6detail15normal_iteratorINS6_10device_ptrIjEEEESG_NSD_INSE_IS9_EEEESI_jNS0_19identity_decomposerENS1_16block_id_wrapperIjLb1EEEEE10hipError_tT1_PNSt15iterator_traitsISN_E10value_typeET2_T3_PNSO_IST_E10value_typeET4_T5_PSY_SZ_PNS1_23onesweep_lookback_stateEbbT6_jjT7_P12ihipStream_tbENKUlT_T0_SN_SS_E_clISG_PjSI_PS9_EEDaS16_S17_SN_SS_EUlS16_E_NS1_11comp_targetILNS1_3genE10ELNS1_11target_archE1201ELNS1_3gpuE5ELNS1_3repE0EEENS1_47radix_sort_onesweep_sort_config_static_selectorELNS0_4arch9wavefront6targetE1EEEvSN_,@function
_ZN7rocprim17ROCPRIM_400000_NS6detail17trampoline_kernelINS0_14default_configENS1_35radix_sort_onesweep_config_selectorIjN6thrust23THRUST_200600_302600_NS5tupleIffNS6_9null_typeES8_S8_S8_S8_S8_S8_S8_EEEEZZNS1_29radix_sort_onesweep_iterationIS3_Lb0ENS6_6detail15normal_iteratorINS6_10device_ptrIjEEEESG_NSD_INSE_IS9_EEEESI_jNS0_19identity_decomposerENS1_16block_id_wrapperIjLb1EEEEE10hipError_tT1_PNSt15iterator_traitsISN_E10value_typeET2_T3_PNSO_IST_E10value_typeET4_T5_PSY_SZ_PNS1_23onesweep_lookback_stateEbbT6_jjT7_P12ihipStream_tbENKUlT_T0_SN_SS_E_clISG_PjSI_PS9_EEDaS16_S17_SN_SS_EUlS16_E_NS1_11comp_targetILNS1_3genE10ELNS1_11target_archE1201ELNS1_3gpuE5ELNS1_3repE0EEENS1_47radix_sort_onesweep_sort_config_static_selectorELNS0_4arch9wavefront6targetE1EEEvSN_: ; @_ZN7rocprim17ROCPRIM_400000_NS6detail17trampoline_kernelINS0_14default_configENS1_35radix_sort_onesweep_config_selectorIjN6thrust23THRUST_200600_302600_NS5tupleIffNS6_9null_typeES8_S8_S8_S8_S8_S8_S8_EEEEZZNS1_29radix_sort_onesweep_iterationIS3_Lb0ENS6_6detail15normal_iteratorINS6_10device_ptrIjEEEESG_NSD_INSE_IS9_EEEESI_jNS0_19identity_decomposerENS1_16block_id_wrapperIjLb1EEEEE10hipError_tT1_PNSt15iterator_traitsISN_E10value_typeET2_T3_PNSO_IST_E10value_typeET4_T5_PSY_SZ_PNS1_23onesweep_lookback_stateEbbT6_jjT7_P12ihipStream_tbENKUlT_T0_SN_SS_E_clISG_PjSI_PS9_EEDaS16_S17_SN_SS_EUlS16_E_NS1_11comp_targetILNS1_3genE10ELNS1_11target_archE1201ELNS1_3gpuE5ELNS1_3repE0EEENS1_47radix_sort_onesweep_sort_config_static_selectorELNS0_4arch9wavefront6targetE1EEEvSN_
; %bb.0:
	.section	.rodata,"a",@progbits
	.p2align	6, 0x0
	.amdhsa_kernel _ZN7rocprim17ROCPRIM_400000_NS6detail17trampoline_kernelINS0_14default_configENS1_35radix_sort_onesweep_config_selectorIjN6thrust23THRUST_200600_302600_NS5tupleIffNS6_9null_typeES8_S8_S8_S8_S8_S8_S8_EEEEZZNS1_29radix_sort_onesweep_iterationIS3_Lb0ENS6_6detail15normal_iteratorINS6_10device_ptrIjEEEESG_NSD_INSE_IS9_EEEESI_jNS0_19identity_decomposerENS1_16block_id_wrapperIjLb1EEEEE10hipError_tT1_PNSt15iterator_traitsISN_E10value_typeET2_T3_PNSO_IST_E10value_typeET4_T5_PSY_SZ_PNS1_23onesweep_lookback_stateEbbT6_jjT7_P12ihipStream_tbENKUlT_T0_SN_SS_E_clISG_PjSI_PS9_EEDaS16_S17_SN_SS_EUlS16_E_NS1_11comp_targetILNS1_3genE10ELNS1_11target_archE1201ELNS1_3gpuE5ELNS1_3repE0EEENS1_47radix_sort_onesweep_sort_config_static_selectorELNS0_4arch9wavefront6targetE1EEEvSN_
		.amdhsa_group_segment_fixed_size 0
		.amdhsa_private_segment_fixed_size 0
		.amdhsa_kernarg_size 88
		.amdhsa_user_sgpr_count 6
		.amdhsa_user_sgpr_private_segment_buffer 1
		.amdhsa_user_sgpr_dispatch_ptr 0
		.amdhsa_user_sgpr_queue_ptr 0
		.amdhsa_user_sgpr_kernarg_segment_ptr 1
		.amdhsa_user_sgpr_dispatch_id 0
		.amdhsa_user_sgpr_flat_scratch_init 0
		.amdhsa_user_sgpr_kernarg_preload_length 0
		.amdhsa_user_sgpr_kernarg_preload_offset 0
		.amdhsa_user_sgpr_private_segment_size 0
		.amdhsa_uses_dynamic_stack 0
		.amdhsa_system_sgpr_private_segment_wavefront_offset 0
		.amdhsa_system_sgpr_workgroup_id_x 1
		.amdhsa_system_sgpr_workgroup_id_y 0
		.amdhsa_system_sgpr_workgroup_id_z 0
		.amdhsa_system_sgpr_workgroup_info 0
		.amdhsa_system_vgpr_workitem_id 0
		.amdhsa_next_free_vgpr 1
		.amdhsa_next_free_sgpr 0
		.amdhsa_accum_offset 4
		.amdhsa_reserve_vcc 0
		.amdhsa_reserve_flat_scratch 0
		.amdhsa_float_round_mode_32 0
		.amdhsa_float_round_mode_16_64 0
		.amdhsa_float_denorm_mode_32 3
		.amdhsa_float_denorm_mode_16_64 3
		.amdhsa_dx10_clamp 1
		.amdhsa_ieee_mode 1
		.amdhsa_fp16_overflow 0
		.amdhsa_tg_split 0
		.amdhsa_exception_fp_ieee_invalid_op 0
		.amdhsa_exception_fp_denorm_src 0
		.amdhsa_exception_fp_ieee_div_zero 0
		.amdhsa_exception_fp_ieee_overflow 0
		.amdhsa_exception_fp_ieee_underflow 0
		.amdhsa_exception_fp_ieee_inexact 0
		.amdhsa_exception_int_div_zero 0
	.end_amdhsa_kernel
	.section	.text._ZN7rocprim17ROCPRIM_400000_NS6detail17trampoline_kernelINS0_14default_configENS1_35radix_sort_onesweep_config_selectorIjN6thrust23THRUST_200600_302600_NS5tupleIffNS6_9null_typeES8_S8_S8_S8_S8_S8_S8_EEEEZZNS1_29radix_sort_onesweep_iterationIS3_Lb0ENS6_6detail15normal_iteratorINS6_10device_ptrIjEEEESG_NSD_INSE_IS9_EEEESI_jNS0_19identity_decomposerENS1_16block_id_wrapperIjLb1EEEEE10hipError_tT1_PNSt15iterator_traitsISN_E10value_typeET2_T3_PNSO_IST_E10value_typeET4_T5_PSY_SZ_PNS1_23onesweep_lookback_stateEbbT6_jjT7_P12ihipStream_tbENKUlT_T0_SN_SS_E_clISG_PjSI_PS9_EEDaS16_S17_SN_SS_EUlS16_E_NS1_11comp_targetILNS1_3genE10ELNS1_11target_archE1201ELNS1_3gpuE5ELNS1_3repE0EEENS1_47radix_sort_onesweep_sort_config_static_selectorELNS0_4arch9wavefront6targetE1EEEvSN_,"axG",@progbits,_ZN7rocprim17ROCPRIM_400000_NS6detail17trampoline_kernelINS0_14default_configENS1_35radix_sort_onesweep_config_selectorIjN6thrust23THRUST_200600_302600_NS5tupleIffNS6_9null_typeES8_S8_S8_S8_S8_S8_S8_EEEEZZNS1_29radix_sort_onesweep_iterationIS3_Lb0ENS6_6detail15normal_iteratorINS6_10device_ptrIjEEEESG_NSD_INSE_IS9_EEEESI_jNS0_19identity_decomposerENS1_16block_id_wrapperIjLb1EEEEE10hipError_tT1_PNSt15iterator_traitsISN_E10value_typeET2_T3_PNSO_IST_E10value_typeET4_T5_PSY_SZ_PNS1_23onesweep_lookback_stateEbbT6_jjT7_P12ihipStream_tbENKUlT_T0_SN_SS_E_clISG_PjSI_PS9_EEDaS16_S17_SN_SS_EUlS16_E_NS1_11comp_targetILNS1_3genE10ELNS1_11target_archE1201ELNS1_3gpuE5ELNS1_3repE0EEENS1_47radix_sort_onesweep_sort_config_static_selectorELNS0_4arch9wavefront6targetE1EEEvSN_,comdat
.Lfunc_end190:
	.size	_ZN7rocprim17ROCPRIM_400000_NS6detail17trampoline_kernelINS0_14default_configENS1_35radix_sort_onesweep_config_selectorIjN6thrust23THRUST_200600_302600_NS5tupleIffNS6_9null_typeES8_S8_S8_S8_S8_S8_S8_EEEEZZNS1_29radix_sort_onesweep_iterationIS3_Lb0ENS6_6detail15normal_iteratorINS6_10device_ptrIjEEEESG_NSD_INSE_IS9_EEEESI_jNS0_19identity_decomposerENS1_16block_id_wrapperIjLb1EEEEE10hipError_tT1_PNSt15iterator_traitsISN_E10value_typeET2_T3_PNSO_IST_E10value_typeET4_T5_PSY_SZ_PNS1_23onesweep_lookback_stateEbbT6_jjT7_P12ihipStream_tbENKUlT_T0_SN_SS_E_clISG_PjSI_PS9_EEDaS16_S17_SN_SS_EUlS16_E_NS1_11comp_targetILNS1_3genE10ELNS1_11target_archE1201ELNS1_3gpuE5ELNS1_3repE0EEENS1_47radix_sort_onesweep_sort_config_static_selectorELNS0_4arch9wavefront6targetE1EEEvSN_, .Lfunc_end190-_ZN7rocprim17ROCPRIM_400000_NS6detail17trampoline_kernelINS0_14default_configENS1_35radix_sort_onesweep_config_selectorIjN6thrust23THRUST_200600_302600_NS5tupleIffNS6_9null_typeES8_S8_S8_S8_S8_S8_S8_EEEEZZNS1_29radix_sort_onesweep_iterationIS3_Lb0ENS6_6detail15normal_iteratorINS6_10device_ptrIjEEEESG_NSD_INSE_IS9_EEEESI_jNS0_19identity_decomposerENS1_16block_id_wrapperIjLb1EEEEE10hipError_tT1_PNSt15iterator_traitsISN_E10value_typeET2_T3_PNSO_IST_E10value_typeET4_T5_PSY_SZ_PNS1_23onesweep_lookback_stateEbbT6_jjT7_P12ihipStream_tbENKUlT_T0_SN_SS_E_clISG_PjSI_PS9_EEDaS16_S17_SN_SS_EUlS16_E_NS1_11comp_targetILNS1_3genE10ELNS1_11target_archE1201ELNS1_3gpuE5ELNS1_3repE0EEENS1_47radix_sort_onesweep_sort_config_static_selectorELNS0_4arch9wavefront6targetE1EEEvSN_
                                        ; -- End function
	.section	.AMDGPU.csdata,"",@progbits
; Kernel info:
; codeLenInByte = 0
; NumSgprs: 4
; NumVgprs: 0
; NumAgprs: 0
; TotalNumVgprs: 0
; ScratchSize: 0
; MemoryBound: 0
; FloatMode: 240
; IeeeMode: 1
; LDSByteSize: 0 bytes/workgroup (compile time only)
; SGPRBlocks: 0
; VGPRBlocks: 0
; NumSGPRsForWavesPerEU: 4
; NumVGPRsForWavesPerEU: 1
; AccumOffset: 4
; Occupancy: 8
; WaveLimiterHint : 0
; COMPUTE_PGM_RSRC2:SCRATCH_EN: 0
; COMPUTE_PGM_RSRC2:USER_SGPR: 6
; COMPUTE_PGM_RSRC2:TRAP_HANDLER: 0
; COMPUTE_PGM_RSRC2:TGID_X_EN: 1
; COMPUTE_PGM_RSRC2:TGID_Y_EN: 0
; COMPUTE_PGM_RSRC2:TGID_Z_EN: 0
; COMPUTE_PGM_RSRC2:TIDIG_COMP_CNT: 0
; COMPUTE_PGM_RSRC3_GFX90A:ACCUM_OFFSET: 0
; COMPUTE_PGM_RSRC3_GFX90A:TG_SPLIT: 0
	.section	.text._ZN7rocprim17ROCPRIM_400000_NS6detail17trampoline_kernelINS0_14default_configENS1_35radix_sort_onesweep_config_selectorIjN6thrust23THRUST_200600_302600_NS5tupleIffNS6_9null_typeES8_S8_S8_S8_S8_S8_S8_EEEEZZNS1_29radix_sort_onesweep_iterationIS3_Lb0ENS6_6detail15normal_iteratorINS6_10device_ptrIjEEEESG_NSD_INSE_IS9_EEEESI_jNS0_19identity_decomposerENS1_16block_id_wrapperIjLb1EEEEE10hipError_tT1_PNSt15iterator_traitsISN_E10value_typeET2_T3_PNSO_IST_E10value_typeET4_T5_PSY_SZ_PNS1_23onesweep_lookback_stateEbbT6_jjT7_P12ihipStream_tbENKUlT_T0_SN_SS_E_clISG_PjSI_PS9_EEDaS16_S17_SN_SS_EUlS16_E_NS1_11comp_targetILNS1_3genE9ELNS1_11target_archE1100ELNS1_3gpuE3ELNS1_3repE0EEENS1_47radix_sort_onesweep_sort_config_static_selectorELNS0_4arch9wavefront6targetE1EEEvSN_,"axG",@progbits,_ZN7rocprim17ROCPRIM_400000_NS6detail17trampoline_kernelINS0_14default_configENS1_35radix_sort_onesweep_config_selectorIjN6thrust23THRUST_200600_302600_NS5tupleIffNS6_9null_typeES8_S8_S8_S8_S8_S8_S8_EEEEZZNS1_29radix_sort_onesweep_iterationIS3_Lb0ENS6_6detail15normal_iteratorINS6_10device_ptrIjEEEESG_NSD_INSE_IS9_EEEESI_jNS0_19identity_decomposerENS1_16block_id_wrapperIjLb1EEEEE10hipError_tT1_PNSt15iterator_traitsISN_E10value_typeET2_T3_PNSO_IST_E10value_typeET4_T5_PSY_SZ_PNS1_23onesweep_lookback_stateEbbT6_jjT7_P12ihipStream_tbENKUlT_T0_SN_SS_E_clISG_PjSI_PS9_EEDaS16_S17_SN_SS_EUlS16_E_NS1_11comp_targetILNS1_3genE9ELNS1_11target_archE1100ELNS1_3gpuE3ELNS1_3repE0EEENS1_47radix_sort_onesweep_sort_config_static_selectorELNS0_4arch9wavefront6targetE1EEEvSN_,comdat
	.protected	_ZN7rocprim17ROCPRIM_400000_NS6detail17trampoline_kernelINS0_14default_configENS1_35radix_sort_onesweep_config_selectorIjN6thrust23THRUST_200600_302600_NS5tupleIffNS6_9null_typeES8_S8_S8_S8_S8_S8_S8_EEEEZZNS1_29radix_sort_onesweep_iterationIS3_Lb0ENS6_6detail15normal_iteratorINS6_10device_ptrIjEEEESG_NSD_INSE_IS9_EEEESI_jNS0_19identity_decomposerENS1_16block_id_wrapperIjLb1EEEEE10hipError_tT1_PNSt15iterator_traitsISN_E10value_typeET2_T3_PNSO_IST_E10value_typeET4_T5_PSY_SZ_PNS1_23onesweep_lookback_stateEbbT6_jjT7_P12ihipStream_tbENKUlT_T0_SN_SS_E_clISG_PjSI_PS9_EEDaS16_S17_SN_SS_EUlS16_E_NS1_11comp_targetILNS1_3genE9ELNS1_11target_archE1100ELNS1_3gpuE3ELNS1_3repE0EEENS1_47radix_sort_onesweep_sort_config_static_selectorELNS0_4arch9wavefront6targetE1EEEvSN_ ; -- Begin function _ZN7rocprim17ROCPRIM_400000_NS6detail17trampoline_kernelINS0_14default_configENS1_35radix_sort_onesweep_config_selectorIjN6thrust23THRUST_200600_302600_NS5tupleIffNS6_9null_typeES8_S8_S8_S8_S8_S8_S8_EEEEZZNS1_29radix_sort_onesweep_iterationIS3_Lb0ENS6_6detail15normal_iteratorINS6_10device_ptrIjEEEESG_NSD_INSE_IS9_EEEESI_jNS0_19identity_decomposerENS1_16block_id_wrapperIjLb1EEEEE10hipError_tT1_PNSt15iterator_traitsISN_E10value_typeET2_T3_PNSO_IST_E10value_typeET4_T5_PSY_SZ_PNS1_23onesweep_lookback_stateEbbT6_jjT7_P12ihipStream_tbENKUlT_T0_SN_SS_E_clISG_PjSI_PS9_EEDaS16_S17_SN_SS_EUlS16_E_NS1_11comp_targetILNS1_3genE9ELNS1_11target_archE1100ELNS1_3gpuE3ELNS1_3repE0EEENS1_47radix_sort_onesweep_sort_config_static_selectorELNS0_4arch9wavefront6targetE1EEEvSN_
	.globl	_ZN7rocprim17ROCPRIM_400000_NS6detail17trampoline_kernelINS0_14default_configENS1_35radix_sort_onesweep_config_selectorIjN6thrust23THRUST_200600_302600_NS5tupleIffNS6_9null_typeES8_S8_S8_S8_S8_S8_S8_EEEEZZNS1_29radix_sort_onesweep_iterationIS3_Lb0ENS6_6detail15normal_iteratorINS6_10device_ptrIjEEEESG_NSD_INSE_IS9_EEEESI_jNS0_19identity_decomposerENS1_16block_id_wrapperIjLb1EEEEE10hipError_tT1_PNSt15iterator_traitsISN_E10value_typeET2_T3_PNSO_IST_E10value_typeET4_T5_PSY_SZ_PNS1_23onesweep_lookback_stateEbbT6_jjT7_P12ihipStream_tbENKUlT_T0_SN_SS_E_clISG_PjSI_PS9_EEDaS16_S17_SN_SS_EUlS16_E_NS1_11comp_targetILNS1_3genE9ELNS1_11target_archE1100ELNS1_3gpuE3ELNS1_3repE0EEENS1_47radix_sort_onesweep_sort_config_static_selectorELNS0_4arch9wavefront6targetE1EEEvSN_
	.p2align	8
	.type	_ZN7rocprim17ROCPRIM_400000_NS6detail17trampoline_kernelINS0_14default_configENS1_35radix_sort_onesweep_config_selectorIjN6thrust23THRUST_200600_302600_NS5tupleIffNS6_9null_typeES8_S8_S8_S8_S8_S8_S8_EEEEZZNS1_29radix_sort_onesweep_iterationIS3_Lb0ENS6_6detail15normal_iteratorINS6_10device_ptrIjEEEESG_NSD_INSE_IS9_EEEESI_jNS0_19identity_decomposerENS1_16block_id_wrapperIjLb1EEEEE10hipError_tT1_PNSt15iterator_traitsISN_E10value_typeET2_T3_PNSO_IST_E10value_typeET4_T5_PSY_SZ_PNS1_23onesweep_lookback_stateEbbT6_jjT7_P12ihipStream_tbENKUlT_T0_SN_SS_E_clISG_PjSI_PS9_EEDaS16_S17_SN_SS_EUlS16_E_NS1_11comp_targetILNS1_3genE9ELNS1_11target_archE1100ELNS1_3gpuE3ELNS1_3repE0EEENS1_47radix_sort_onesweep_sort_config_static_selectorELNS0_4arch9wavefront6targetE1EEEvSN_,@function
_ZN7rocprim17ROCPRIM_400000_NS6detail17trampoline_kernelINS0_14default_configENS1_35radix_sort_onesweep_config_selectorIjN6thrust23THRUST_200600_302600_NS5tupleIffNS6_9null_typeES8_S8_S8_S8_S8_S8_S8_EEEEZZNS1_29radix_sort_onesweep_iterationIS3_Lb0ENS6_6detail15normal_iteratorINS6_10device_ptrIjEEEESG_NSD_INSE_IS9_EEEESI_jNS0_19identity_decomposerENS1_16block_id_wrapperIjLb1EEEEE10hipError_tT1_PNSt15iterator_traitsISN_E10value_typeET2_T3_PNSO_IST_E10value_typeET4_T5_PSY_SZ_PNS1_23onesweep_lookback_stateEbbT6_jjT7_P12ihipStream_tbENKUlT_T0_SN_SS_E_clISG_PjSI_PS9_EEDaS16_S17_SN_SS_EUlS16_E_NS1_11comp_targetILNS1_3genE9ELNS1_11target_archE1100ELNS1_3gpuE3ELNS1_3repE0EEENS1_47radix_sort_onesweep_sort_config_static_selectorELNS0_4arch9wavefront6targetE1EEEvSN_: ; @_ZN7rocprim17ROCPRIM_400000_NS6detail17trampoline_kernelINS0_14default_configENS1_35radix_sort_onesweep_config_selectorIjN6thrust23THRUST_200600_302600_NS5tupleIffNS6_9null_typeES8_S8_S8_S8_S8_S8_S8_EEEEZZNS1_29radix_sort_onesweep_iterationIS3_Lb0ENS6_6detail15normal_iteratorINS6_10device_ptrIjEEEESG_NSD_INSE_IS9_EEEESI_jNS0_19identity_decomposerENS1_16block_id_wrapperIjLb1EEEEE10hipError_tT1_PNSt15iterator_traitsISN_E10value_typeET2_T3_PNSO_IST_E10value_typeET4_T5_PSY_SZ_PNS1_23onesweep_lookback_stateEbbT6_jjT7_P12ihipStream_tbENKUlT_T0_SN_SS_E_clISG_PjSI_PS9_EEDaS16_S17_SN_SS_EUlS16_E_NS1_11comp_targetILNS1_3genE9ELNS1_11target_archE1100ELNS1_3gpuE3ELNS1_3repE0EEENS1_47radix_sort_onesweep_sort_config_static_selectorELNS0_4arch9wavefront6targetE1EEEvSN_
; %bb.0:
	.section	.rodata,"a",@progbits
	.p2align	6, 0x0
	.amdhsa_kernel _ZN7rocprim17ROCPRIM_400000_NS6detail17trampoline_kernelINS0_14default_configENS1_35radix_sort_onesweep_config_selectorIjN6thrust23THRUST_200600_302600_NS5tupleIffNS6_9null_typeES8_S8_S8_S8_S8_S8_S8_EEEEZZNS1_29radix_sort_onesweep_iterationIS3_Lb0ENS6_6detail15normal_iteratorINS6_10device_ptrIjEEEESG_NSD_INSE_IS9_EEEESI_jNS0_19identity_decomposerENS1_16block_id_wrapperIjLb1EEEEE10hipError_tT1_PNSt15iterator_traitsISN_E10value_typeET2_T3_PNSO_IST_E10value_typeET4_T5_PSY_SZ_PNS1_23onesweep_lookback_stateEbbT6_jjT7_P12ihipStream_tbENKUlT_T0_SN_SS_E_clISG_PjSI_PS9_EEDaS16_S17_SN_SS_EUlS16_E_NS1_11comp_targetILNS1_3genE9ELNS1_11target_archE1100ELNS1_3gpuE3ELNS1_3repE0EEENS1_47radix_sort_onesweep_sort_config_static_selectorELNS0_4arch9wavefront6targetE1EEEvSN_
		.amdhsa_group_segment_fixed_size 0
		.amdhsa_private_segment_fixed_size 0
		.amdhsa_kernarg_size 88
		.amdhsa_user_sgpr_count 6
		.amdhsa_user_sgpr_private_segment_buffer 1
		.amdhsa_user_sgpr_dispatch_ptr 0
		.amdhsa_user_sgpr_queue_ptr 0
		.amdhsa_user_sgpr_kernarg_segment_ptr 1
		.amdhsa_user_sgpr_dispatch_id 0
		.amdhsa_user_sgpr_flat_scratch_init 0
		.amdhsa_user_sgpr_kernarg_preload_length 0
		.amdhsa_user_sgpr_kernarg_preload_offset 0
		.amdhsa_user_sgpr_private_segment_size 0
		.amdhsa_uses_dynamic_stack 0
		.amdhsa_system_sgpr_private_segment_wavefront_offset 0
		.amdhsa_system_sgpr_workgroup_id_x 1
		.amdhsa_system_sgpr_workgroup_id_y 0
		.amdhsa_system_sgpr_workgroup_id_z 0
		.amdhsa_system_sgpr_workgroup_info 0
		.amdhsa_system_vgpr_workitem_id 0
		.amdhsa_next_free_vgpr 1
		.amdhsa_next_free_sgpr 0
		.amdhsa_accum_offset 4
		.amdhsa_reserve_vcc 0
		.amdhsa_reserve_flat_scratch 0
		.amdhsa_float_round_mode_32 0
		.amdhsa_float_round_mode_16_64 0
		.amdhsa_float_denorm_mode_32 3
		.amdhsa_float_denorm_mode_16_64 3
		.amdhsa_dx10_clamp 1
		.amdhsa_ieee_mode 1
		.amdhsa_fp16_overflow 0
		.amdhsa_tg_split 0
		.amdhsa_exception_fp_ieee_invalid_op 0
		.amdhsa_exception_fp_denorm_src 0
		.amdhsa_exception_fp_ieee_div_zero 0
		.amdhsa_exception_fp_ieee_overflow 0
		.amdhsa_exception_fp_ieee_underflow 0
		.amdhsa_exception_fp_ieee_inexact 0
		.amdhsa_exception_int_div_zero 0
	.end_amdhsa_kernel
	.section	.text._ZN7rocprim17ROCPRIM_400000_NS6detail17trampoline_kernelINS0_14default_configENS1_35radix_sort_onesweep_config_selectorIjN6thrust23THRUST_200600_302600_NS5tupleIffNS6_9null_typeES8_S8_S8_S8_S8_S8_S8_EEEEZZNS1_29radix_sort_onesweep_iterationIS3_Lb0ENS6_6detail15normal_iteratorINS6_10device_ptrIjEEEESG_NSD_INSE_IS9_EEEESI_jNS0_19identity_decomposerENS1_16block_id_wrapperIjLb1EEEEE10hipError_tT1_PNSt15iterator_traitsISN_E10value_typeET2_T3_PNSO_IST_E10value_typeET4_T5_PSY_SZ_PNS1_23onesweep_lookback_stateEbbT6_jjT7_P12ihipStream_tbENKUlT_T0_SN_SS_E_clISG_PjSI_PS9_EEDaS16_S17_SN_SS_EUlS16_E_NS1_11comp_targetILNS1_3genE9ELNS1_11target_archE1100ELNS1_3gpuE3ELNS1_3repE0EEENS1_47radix_sort_onesweep_sort_config_static_selectorELNS0_4arch9wavefront6targetE1EEEvSN_,"axG",@progbits,_ZN7rocprim17ROCPRIM_400000_NS6detail17trampoline_kernelINS0_14default_configENS1_35radix_sort_onesweep_config_selectorIjN6thrust23THRUST_200600_302600_NS5tupleIffNS6_9null_typeES8_S8_S8_S8_S8_S8_S8_EEEEZZNS1_29radix_sort_onesweep_iterationIS3_Lb0ENS6_6detail15normal_iteratorINS6_10device_ptrIjEEEESG_NSD_INSE_IS9_EEEESI_jNS0_19identity_decomposerENS1_16block_id_wrapperIjLb1EEEEE10hipError_tT1_PNSt15iterator_traitsISN_E10value_typeET2_T3_PNSO_IST_E10value_typeET4_T5_PSY_SZ_PNS1_23onesweep_lookback_stateEbbT6_jjT7_P12ihipStream_tbENKUlT_T0_SN_SS_E_clISG_PjSI_PS9_EEDaS16_S17_SN_SS_EUlS16_E_NS1_11comp_targetILNS1_3genE9ELNS1_11target_archE1100ELNS1_3gpuE3ELNS1_3repE0EEENS1_47radix_sort_onesweep_sort_config_static_selectorELNS0_4arch9wavefront6targetE1EEEvSN_,comdat
.Lfunc_end191:
	.size	_ZN7rocprim17ROCPRIM_400000_NS6detail17trampoline_kernelINS0_14default_configENS1_35radix_sort_onesweep_config_selectorIjN6thrust23THRUST_200600_302600_NS5tupleIffNS6_9null_typeES8_S8_S8_S8_S8_S8_S8_EEEEZZNS1_29radix_sort_onesweep_iterationIS3_Lb0ENS6_6detail15normal_iteratorINS6_10device_ptrIjEEEESG_NSD_INSE_IS9_EEEESI_jNS0_19identity_decomposerENS1_16block_id_wrapperIjLb1EEEEE10hipError_tT1_PNSt15iterator_traitsISN_E10value_typeET2_T3_PNSO_IST_E10value_typeET4_T5_PSY_SZ_PNS1_23onesweep_lookback_stateEbbT6_jjT7_P12ihipStream_tbENKUlT_T0_SN_SS_E_clISG_PjSI_PS9_EEDaS16_S17_SN_SS_EUlS16_E_NS1_11comp_targetILNS1_3genE9ELNS1_11target_archE1100ELNS1_3gpuE3ELNS1_3repE0EEENS1_47radix_sort_onesweep_sort_config_static_selectorELNS0_4arch9wavefront6targetE1EEEvSN_, .Lfunc_end191-_ZN7rocprim17ROCPRIM_400000_NS6detail17trampoline_kernelINS0_14default_configENS1_35radix_sort_onesweep_config_selectorIjN6thrust23THRUST_200600_302600_NS5tupleIffNS6_9null_typeES8_S8_S8_S8_S8_S8_S8_EEEEZZNS1_29radix_sort_onesweep_iterationIS3_Lb0ENS6_6detail15normal_iteratorINS6_10device_ptrIjEEEESG_NSD_INSE_IS9_EEEESI_jNS0_19identity_decomposerENS1_16block_id_wrapperIjLb1EEEEE10hipError_tT1_PNSt15iterator_traitsISN_E10value_typeET2_T3_PNSO_IST_E10value_typeET4_T5_PSY_SZ_PNS1_23onesweep_lookback_stateEbbT6_jjT7_P12ihipStream_tbENKUlT_T0_SN_SS_E_clISG_PjSI_PS9_EEDaS16_S17_SN_SS_EUlS16_E_NS1_11comp_targetILNS1_3genE9ELNS1_11target_archE1100ELNS1_3gpuE3ELNS1_3repE0EEENS1_47radix_sort_onesweep_sort_config_static_selectorELNS0_4arch9wavefront6targetE1EEEvSN_
                                        ; -- End function
	.section	.AMDGPU.csdata,"",@progbits
; Kernel info:
; codeLenInByte = 0
; NumSgprs: 4
; NumVgprs: 0
; NumAgprs: 0
; TotalNumVgprs: 0
; ScratchSize: 0
; MemoryBound: 0
; FloatMode: 240
; IeeeMode: 1
; LDSByteSize: 0 bytes/workgroup (compile time only)
; SGPRBlocks: 0
; VGPRBlocks: 0
; NumSGPRsForWavesPerEU: 4
; NumVGPRsForWavesPerEU: 1
; AccumOffset: 4
; Occupancy: 8
; WaveLimiterHint : 0
; COMPUTE_PGM_RSRC2:SCRATCH_EN: 0
; COMPUTE_PGM_RSRC2:USER_SGPR: 6
; COMPUTE_PGM_RSRC2:TRAP_HANDLER: 0
; COMPUTE_PGM_RSRC2:TGID_X_EN: 1
; COMPUTE_PGM_RSRC2:TGID_Y_EN: 0
; COMPUTE_PGM_RSRC2:TGID_Z_EN: 0
; COMPUTE_PGM_RSRC2:TIDIG_COMP_CNT: 0
; COMPUTE_PGM_RSRC3_GFX90A:ACCUM_OFFSET: 0
; COMPUTE_PGM_RSRC3_GFX90A:TG_SPLIT: 0
	.section	.text._ZN7rocprim17ROCPRIM_400000_NS6detail17trampoline_kernelINS0_14default_configENS1_35radix_sort_onesweep_config_selectorIjN6thrust23THRUST_200600_302600_NS5tupleIffNS6_9null_typeES8_S8_S8_S8_S8_S8_S8_EEEEZZNS1_29radix_sort_onesweep_iterationIS3_Lb0ENS6_6detail15normal_iteratorINS6_10device_ptrIjEEEESG_NSD_INSE_IS9_EEEESI_jNS0_19identity_decomposerENS1_16block_id_wrapperIjLb1EEEEE10hipError_tT1_PNSt15iterator_traitsISN_E10value_typeET2_T3_PNSO_IST_E10value_typeET4_T5_PSY_SZ_PNS1_23onesweep_lookback_stateEbbT6_jjT7_P12ihipStream_tbENKUlT_T0_SN_SS_E_clISG_PjSI_PS9_EEDaS16_S17_SN_SS_EUlS16_E_NS1_11comp_targetILNS1_3genE8ELNS1_11target_archE1030ELNS1_3gpuE2ELNS1_3repE0EEENS1_47radix_sort_onesweep_sort_config_static_selectorELNS0_4arch9wavefront6targetE1EEEvSN_,"axG",@progbits,_ZN7rocprim17ROCPRIM_400000_NS6detail17trampoline_kernelINS0_14default_configENS1_35radix_sort_onesweep_config_selectorIjN6thrust23THRUST_200600_302600_NS5tupleIffNS6_9null_typeES8_S8_S8_S8_S8_S8_S8_EEEEZZNS1_29radix_sort_onesweep_iterationIS3_Lb0ENS6_6detail15normal_iteratorINS6_10device_ptrIjEEEESG_NSD_INSE_IS9_EEEESI_jNS0_19identity_decomposerENS1_16block_id_wrapperIjLb1EEEEE10hipError_tT1_PNSt15iterator_traitsISN_E10value_typeET2_T3_PNSO_IST_E10value_typeET4_T5_PSY_SZ_PNS1_23onesweep_lookback_stateEbbT6_jjT7_P12ihipStream_tbENKUlT_T0_SN_SS_E_clISG_PjSI_PS9_EEDaS16_S17_SN_SS_EUlS16_E_NS1_11comp_targetILNS1_3genE8ELNS1_11target_archE1030ELNS1_3gpuE2ELNS1_3repE0EEENS1_47radix_sort_onesweep_sort_config_static_selectorELNS0_4arch9wavefront6targetE1EEEvSN_,comdat
	.protected	_ZN7rocprim17ROCPRIM_400000_NS6detail17trampoline_kernelINS0_14default_configENS1_35radix_sort_onesweep_config_selectorIjN6thrust23THRUST_200600_302600_NS5tupleIffNS6_9null_typeES8_S8_S8_S8_S8_S8_S8_EEEEZZNS1_29radix_sort_onesweep_iterationIS3_Lb0ENS6_6detail15normal_iteratorINS6_10device_ptrIjEEEESG_NSD_INSE_IS9_EEEESI_jNS0_19identity_decomposerENS1_16block_id_wrapperIjLb1EEEEE10hipError_tT1_PNSt15iterator_traitsISN_E10value_typeET2_T3_PNSO_IST_E10value_typeET4_T5_PSY_SZ_PNS1_23onesweep_lookback_stateEbbT6_jjT7_P12ihipStream_tbENKUlT_T0_SN_SS_E_clISG_PjSI_PS9_EEDaS16_S17_SN_SS_EUlS16_E_NS1_11comp_targetILNS1_3genE8ELNS1_11target_archE1030ELNS1_3gpuE2ELNS1_3repE0EEENS1_47radix_sort_onesweep_sort_config_static_selectorELNS0_4arch9wavefront6targetE1EEEvSN_ ; -- Begin function _ZN7rocprim17ROCPRIM_400000_NS6detail17trampoline_kernelINS0_14default_configENS1_35radix_sort_onesweep_config_selectorIjN6thrust23THRUST_200600_302600_NS5tupleIffNS6_9null_typeES8_S8_S8_S8_S8_S8_S8_EEEEZZNS1_29radix_sort_onesweep_iterationIS3_Lb0ENS6_6detail15normal_iteratorINS6_10device_ptrIjEEEESG_NSD_INSE_IS9_EEEESI_jNS0_19identity_decomposerENS1_16block_id_wrapperIjLb1EEEEE10hipError_tT1_PNSt15iterator_traitsISN_E10value_typeET2_T3_PNSO_IST_E10value_typeET4_T5_PSY_SZ_PNS1_23onesweep_lookback_stateEbbT6_jjT7_P12ihipStream_tbENKUlT_T0_SN_SS_E_clISG_PjSI_PS9_EEDaS16_S17_SN_SS_EUlS16_E_NS1_11comp_targetILNS1_3genE8ELNS1_11target_archE1030ELNS1_3gpuE2ELNS1_3repE0EEENS1_47radix_sort_onesweep_sort_config_static_selectorELNS0_4arch9wavefront6targetE1EEEvSN_
	.globl	_ZN7rocprim17ROCPRIM_400000_NS6detail17trampoline_kernelINS0_14default_configENS1_35radix_sort_onesweep_config_selectorIjN6thrust23THRUST_200600_302600_NS5tupleIffNS6_9null_typeES8_S8_S8_S8_S8_S8_S8_EEEEZZNS1_29radix_sort_onesweep_iterationIS3_Lb0ENS6_6detail15normal_iteratorINS6_10device_ptrIjEEEESG_NSD_INSE_IS9_EEEESI_jNS0_19identity_decomposerENS1_16block_id_wrapperIjLb1EEEEE10hipError_tT1_PNSt15iterator_traitsISN_E10value_typeET2_T3_PNSO_IST_E10value_typeET4_T5_PSY_SZ_PNS1_23onesweep_lookback_stateEbbT6_jjT7_P12ihipStream_tbENKUlT_T0_SN_SS_E_clISG_PjSI_PS9_EEDaS16_S17_SN_SS_EUlS16_E_NS1_11comp_targetILNS1_3genE8ELNS1_11target_archE1030ELNS1_3gpuE2ELNS1_3repE0EEENS1_47radix_sort_onesweep_sort_config_static_selectorELNS0_4arch9wavefront6targetE1EEEvSN_
	.p2align	8
	.type	_ZN7rocprim17ROCPRIM_400000_NS6detail17trampoline_kernelINS0_14default_configENS1_35radix_sort_onesweep_config_selectorIjN6thrust23THRUST_200600_302600_NS5tupleIffNS6_9null_typeES8_S8_S8_S8_S8_S8_S8_EEEEZZNS1_29radix_sort_onesweep_iterationIS3_Lb0ENS6_6detail15normal_iteratorINS6_10device_ptrIjEEEESG_NSD_INSE_IS9_EEEESI_jNS0_19identity_decomposerENS1_16block_id_wrapperIjLb1EEEEE10hipError_tT1_PNSt15iterator_traitsISN_E10value_typeET2_T3_PNSO_IST_E10value_typeET4_T5_PSY_SZ_PNS1_23onesweep_lookback_stateEbbT6_jjT7_P12ihipStream_tbENKUlT_T0_SN_SS_E_clISG_PjSI_PS9_EEDaS16_S17_SN_SS_EUlS16_E_NS1_11comp_targetILNS1_3genE8ELNS1_11target_archE1030ELNS1_3gpuE2ELNS1_3repE0EEENS1_47radix_sort_onesweep_sort_config_static_selectorELNS0_4arch9wavefront6targetE1EEEvSN_,@function
_ZN7rocprim17ROCPRIM_400000_NS6detail17trampoline_kernelINS0_14default_configENS1_35radix_sort_onesweep_config_selectorIjN6thrust23THRUST_200600_302600_NS5tupleIffNS6_9null_typeES8_S8_S8_S8_S8_S8_S8_EEEEZZNS1_29radix_sort_onesweep_iterationIS3_Lb0ENS6_6detail15normal_iteratorINS6_10device_ptrIjEEEESG_NSD_INSE_IS9_EEEESI_jNS0_19identity_decomposerENS1_16block_id_wrapperIjLb1EEEEE10hipError_tT1_PNSt15iterator_traitsISN_E10value_typeET2_T3_PNSO_IST_E10value_typeET4_T5_PSY_SZ_PNS1_23onesweep_lookback_stateEbbT6_jjT7_P12ihipStream_tbENKUlT_T0_SN_SS_E_clISG_PjSI_PS9_EEDaS16_S17_SN_SS_EUlS16_E_NS1_11comp_targetILNS1_3genE8ELNS1_11target_archE1030ELNS1_3gpuE2ELNS1_3repE0EEENS1_47radix_sort_onesweep_sort_config_static_selectorELNS0_4arch9wavefront6targetE1EEEvSN_: ; @_ZN7rocprim17ROCPRIM_400000_NS6detail17trampoline_kernelINS0_14default_configENS1_35radix_sort_onesweep_config_selectorIjN6thrust23THRUST_200600_302600_NS5tupleIffNS6_9null_typeES8_S8_S8_S8_S8_S8_S8_EEEEZZNS1_29radix_sort_onesweep_iterationIS3_Lb0ENS6_6detail15normal_iteratorINS6_10device_ptrIjEEEESG_NSD_INSE_IS9_EEEESI_jNS0_19identity_decomposerENS1_16block_id_wrapperIjLb1EEEEE10hipError_tT1_PNSt15iterator_traitsISN_E10value_typeET2_T3_PNSO_IST_E10value_typeET4_T5_PSY_SZ_PNS1_23onesweep_lookback_stateEbbT6_jjT7_P12ihipStream_tbENKUlT_T0_SN_SS_E_clISG_PjSI_PS9_EEDaS16_S17_SN_SS_EUlS16_E_NS1_11comp_targetILNS1_3genE8ELNS1_11target_archE1030ELNS1_3gpuE2ELNS1_3repE0EEENS1_47radix_sort_onesweep_sort_config_static_selectorELNS0_4arch9wavefront6targetE1EEEvSN_
; %bb.0:
	.section	.rodata,"a",@progbits
	.p2align	6, 0x0
	.amdhsa_kernel _ZN7rocprim17ROCPRIM_400000_NS6detail17trampoline_kernelINS0_14default_configENS1_35radix_sort_onesweep_config_selectorIjN6thrust23THRUST_200600_302600_NS5tupleIffNS6_9null_typeES8_S8_S8_S8_S8_S8_S8_EEEEZZNS1_29radix_sort_onesweep_iterationIS3_Lb0ENS6_6detail15normal_iteratorINS6_10device_ptrIjEEEESG_NSD_INSE_IS9_EEEESI_jNS0_19identity_decomposerENS1_16block_id_wrapperIjLb1EEEEE10hipError_tT1_PNSt15iterator_traitsISN_E10value_typeET2_T3_PNSO_IST_E10value_typeET4_T5_PSY_SZ_PNS1_23onesweep_lookback_stateEbbT6_jjT7_P12ihipStream_tbENKUlT_T0_SN_SS_E_clISG_PjSI_PS9_EEDaS16_S17_SN_SS_EUlS16_E_NS1_11comp_targetILNS1_3genE8ELNS1_11target_archE1030ELNS1_3gpuE2ELNS1_3repE0EEENS1_47radix_sort_onesweep_sort_config_static_selectorELNS0_4arch9wavefront6targetE1EEEvSN_
		.amdhsa_group_segment_fixed_size 0
		.amdhsa_private_segment_fixed_size 0
		.amdhsa_kernarg_size 88
		.amdhsa_user_sgpr_count 6
		.amdhsa_user_sgpr_private_segment_buffer 1
		.amdhsa_user_sgpr_dispatch_ptr 0
		.amdhsa_user_sgpr_queue_ptr 0
		.amdhsa_user_sgpr_kernarg_segment_ptr 1
		.amdhsa_user_sgpr_dispatch_id 0
		.amdhsa_user_sgpr_flat_scratch_init 0
		.amdhsa_user_sgpr_kernarg_preload_length 0
		.amdhsa_user_sgpr_kernarg_preload_offset 0
		.amdhsa_user_sgpr_private_segment_size 0
		.amdhsa_uses_dynamic_stack 0
		.amdhsa_system_sgpr_private_segment_wavefront_offset 0
		.amdhsa_system_sgpr_workgroup_id_x 1
		.amdhsa_system_sgpr_workgroup_id_y 0
		.amdhsa_system_sgpr_workgroup_id_z 0
		.amdhsa_system_sgpr_workgroup_info 0
		.amdhsa_system_vgpr_workitem_id 0
		.amdhsa_next_free_vgpr 1
		.amdhsa_next_free_sgpr 0
		.amdhsa_accum_offset 4
		.amdhsa_reserve_vcc 0
		.amdhsa_reserve_flat_scratch 0
		.amdhsa_float_round_mode_32 0
		.amdhsa_float_round_mode_16_64 0
		.amdhsa_float_denorm_mode_32 3
		.amdhsa_float_denorm_mode_16_64 3
		.amdhsa_dx10_clamp 1
		.amdhsa_ieee_mode 1
		.amdhsa_fp16_overflow 0
		.amdhsa_tg_split 0
		.amdhsa_exception_fp_ieee_invalid_op 0
		.amdhsa_exception_fp_denorm_src 0
		.amdhsa_exception_fp_ieee_div_zero 0
		.amdhsa_exception_fp_ieee_overflow 0
		.amdhsa_exception_fp_ieee_underflow 0
		.amdhsa_exception_fp_ieee_inexact 0
		.amdhsa_exception_int_div_zero 0
	.end_amdhsa_kernel
	.section	.text._ZN7rocprim17ROCPRIM_400000_NS6detail17trampoline_kernelINS0_14default_configENS1_35radix_sort_onesweep_config_selectorIjN6thrust23THRUST_200600_302600_NS5tupleIffNS6_9null_typeES8_S8_S8_S8_S8_S8_S8_EEEEZZNS1_29radix_sort_onesweep_iterationIS3_Lb0ENS6_6detail15normal_iteratorINS6_10device_ptrIjEEEESG_NSD_INSE_IS9_EEEESI_jNS0_19identity_decomposerENS1_16block_id_wrapperIjLb1EEEEE10hipError_tT1_PNSt15iterator_traitsISN_E10value_typeET2_T3_PNSO_IST_E10value_typeET4_T5_PSY_SZ_PNS1_23onesweep_lookback_stateEbbT6_jjT7_P12ihipStream_tbENKUlT_T0_SN_SS_E_clISG_PjSI_PS9_EEDaS16_S17_SN_SS_EUlS16_E_NS1_11comp_targetILNS1_3genE8ELNS1_11target_archE1030ELNS1_3gpuE2ELNS1_3repE0EEENS1_47radix_sort_onesweep_sort_config_static_selectorELNS0_4arch9wavefront6targetE1EEEvSN_,"axG",@progbits,_ZN7rocprim17ROCPRIM_400000_NS6detail17trampoline_kernelINS0_14default_configENS1_35radix_sort_onesweep_config_selectorIjN6thrust23THRUST_200600_302600_NS5tupleIffNS6_9null_typeES8_S8_S8_S8_S8_S8_S8_EEEEZZNS1_29radix_sort_onesweep_iterationIS3_Lb0ENS6_6detail15normal_iteratorINS6_10device_ptrIjEEEESG_NSD_INSE_IS9_EEEESI_jNS0_19identity_decomposerENS1_16block_id_wrapperIjLb1EEEEE10hipError_tT1_PNSt15iterator_traitsISN_E10value_typeET2_T3_PNSO_IST_E10value_typeET4_T5_PSY_SZ_PNS1_23onesweep_lookback_stateEbbT6_jjT7_P12ihipStream_tbENKUlT_T0_SN_SS_E_clISG_PjSI_PS9_EEDaS16_S17_SN_SS_EUlS16_E_NS1_11comp_targetILNS1_3genE8ELNS1_11target_archE1030ELNS1_3gpuE2ELNS1_3repE0EEENS1_47radix_sort_onesweep_sort_config_static_selectorELNS0_4arch9wavefront6targetE1EEEvSN_,comdat
.Lfunc_end192:
	.size	_ZN7rocprim17ROCPRIM_400000_NS6detail17trampoline_kernelINS0_14default_configENS1_35radix_sort_onesweep_config_selectorIjN6thrust23THRUST_200600_302600_NS5tupleIffNS6_9null_typeES8_S8_S8_S8_S8_S8_S8_EEEEZZNS1_29radix_sort_onesweep_iterationIS3_Lb0ENS6_6detail15normal_iteratorINS6_10device_ptrIjEEEESG_NSD_INSE_IS9_EEEESI_jNS0_19identity_decomposerENS1_16block_id_wrapperIjLb1EEEEE10hipError_tT1_PNSt15iterator_traitsISN_E10value_typeET2_T3_PNSO_IST_E10value_typeET4_T5_PSY_SZ_PNS1_23onesweep_lookback_stateEbbT6_jjT7_P12ihipStream_tbENKUlT_T0_SN_SS_E_clISG_PjSI_PS9_EEDaS16_S17_SN_SS_EUlS16_E_NS1_11comp_targetILNS1_3genE8ELNS1_11target_archE1030ELNS1_3gpuE2ELNS1_3repE0EEENS1_47radix_sort_onesweep_sort_config_static_selectorELNS0_4arch9wavefront6targetE1EEEvSN_, .Lfunc_end192-_ZN7rocprim17ROCPRIM_400000_NS6detail17trampoline_kernelINS0_14default_configENS1_35radix_sort_onesweep_config_selectorIjN6thrust23THRUST_200600_302600_NS5tupleIffNS6_9null_typeES8_S8_S8_S8_S8_S8_S8_EEEEZZNS1_29radix_sort_onesweep_iterationIS3_Lb0ENS6_6detail15normal_iteratorINS6_10device_ptrIjEEEESG_NSD_INSE_IS9_EEEESI_jNS0_19identity_decomposerENS1_16block_id_wrapperIjLb1EEEEE10hipError_tT1_PNSt15iterator_traitsISN_E10value_typeET2_T3_PNSO_IST_E10value_typeET4_T5_PSY_SZ_PNS1_23onesweep_lookback_stateEbbT6_jjT7_P12ihipStream_tbENKUlT_T0_SN_SS_E_clISG_PjSI_PS9_EEDaS16_S17_SN_SS_EUlS16_E_NS1_11comp_targetILNS1_3genE8ELNS1_11target_archE1030ELNS1_3gpuE2ELNS1_3repE0EEENS1_47radix_sort_onesweep_sort_config_static_selectorELNS0_4arch9wavefront6targetE1EEEvSN_
                                        ; -- End function
	.section	.AMDGPU.csdata,"",@progbits
; Kernel info:
; codeLenInByte = 0
; NumSgprs: 4
; NumVgprs: 0
; NumAgprs: 0
; TotalNumVgprs: 0
; ScratchSize: 0
; MemoryBound: 0
; FloatMode: 240
; IeeeMode: 1
; LDSByteSize: 0 bytes/workgroup (compile time only)
; SGPRBlocks: 0
; VGPRBlocks: 0
; NumSGPRsForWavesPerEU: 4
; NumVGPRsForWavesPerEU: 1
; AccumOffset: 4
; Occupancy: 8
; WaveLimiterHint : 0
; COMPUTE_PGM_RSRC2:SCRATCH_EN: 0
; COMPUTE_PGM_RSRC2:USER_SGPR: 6
; COMPUTE_PGM_RSRC2:TRAP_HANDLER: 0
; COMPUTE_PGM_RSRC2:TGID_X_EN: 1
; COMPUTE_PGM_RSRC2:TGID_Y_EN: 0
; COMPUTE_PGM_RSRC2:TGID_Z_EN: 0
; COMPUTE_PGM_RSRC2:TIDIG_COMP_CNT: 0
; COMPUTE_PGM_RSRC3_GFX90A:ACCUM_OFFSET: 0
; COMPUTE_PGM_RSRC3_GFX90A:TG_SPLIT: 0
	.section	.text._ZN7rocprim17ROCPRIM_400000_NS6detail17trampoline_kernelINS0_14default_configENS1_35radix_sort_onesweep_config_selectorIjN6thrust23THRUST_200600_302600_NS5tupleIffNS6_9null_typeES8_S8_S8_S8_S8_S8_S8_EEEEZZNS1_29radix_sort_onesweep_iterationIS3_Lb0ENS6_6detail15normal_iteratorINS6_10device_ptrIjEEEESG_NSD_INSE_IS9_EEEESI_jNS0_19identity_decomposerENS1_16block_id_wrapperIjLb1EEEEE10hipError_tT1_PNSt15iterator_traitsISN_E10value_typeET2_T3_PNSO_IST_E10value_typeET4_T5_PSY_SZ_PNS1_23onesweep_lookback_stateEbbT6_jjT7_P12ihipStream_tbENKUlT_T0_SN_SS_E_clIPjSG_PS9_SI_EEDaS16_S17_SN_SS_EUlS16_E_NS1_11comp_targetILNS1_3genE0ELNS1_11target_archE4294967295ELNS1_3gpuE0ELNS1_3repE0EEENS1_47radix_sort_onesweep_sort_config_static_selectorELNS0_4arch9wavefront6targetE1EEEvSN_,"axG",@progbits,_ZN7rocprim17ROCPRIM_400000_NS6detail17trampoline_kernelINS0_14default_configENS1_35radix_sort_onesweep_config_selectorIjN6thrust23THRUST_200600_302600_NS5tupleIffNS6_9null_typeES8_S8_S8_S8_S8_S8_S8_EEEEZZNS1_29radix_sort_onesweep_iterationIS3_Lb0ENS6_6detail15normal_iteratorINS6_10device_ptrIjEEEESG_NSD_INSE_IS9_EEEESI_jNS0_19identity_decomposerENS1_16block_id_wrapperIjLb1EEEEE10hipError_tT1_PNSt15iterator_traitsISN_E10value_typeET2_T3_PNSO_IST_E10value_typeET4_T5_PSY_SZ_PNS1_23onesweep_lookback_stateEbbT6_jjT7_P12ihipStream_tbENKUlT_T0_SN_SS_E_clIPjSG_PS9_SI_EEDaS16_S17_SN_SS_EUlS16_E_NS1_11comp_targetILNS1_3genE0ELNS1_11target_archE4294967295ELNS1_3gpuE0ELNS1_3repE0EEENS1_47radix_sort_onesweep_sort_config_static_selectorELNS0_4arch9wavefront6targetE1EEEvSN_,comdat
	.protected	_ZN7rocprim17ROCPRIM_400000_NS6detail17trampoline_kernelINS0_14default_configENS1_35radix_sort_onesweep_config_selectorIjN6thrust23THRUST_200600_302600_NS5tupleIffNS6_9null_typeES8_S8_S8_S8_S8_S8_S8_EEEEZZNS1_29radix_sort_onesweep_iterationIS3_Lb0ENS6_6detail15normal_iteratorINS6_10device_ptrIjEEEESG_NSD_INSE_IS9_EEEESI_jNS0_19identity_decomposerENS1_16block_id_wrapperIjLb1EEEEE10hipError_tT1_PNSt15iterator_traitsISN_E10value_typeET2_T3_PNSO_IST_E10value_typeET4_T5_PSY_SZ_PNS1_23onesweep_lookback_stateEbbT6_jjT7_P12ihipStream_tbENKUlT_T0_SN_SS_E_clIPjSG_PS9_SI_EEDaS16_S17_SN_SS_EUlS16_E_NS1_11comp_targetILNS1_3genE0ELNS1_11target_archE4294967295ELNS1_3gpuE0ELNS1_3repE0EEENS1_47radix_sort_onesweep_sort_config_static_selectorELNS0_4arch9wavefront6targetE1EEEvSN_ ; -- Begin function _ZN7rocprim17ROCPRIM_400000_NS6detail17trampoline_kernelINS0_14default_configENS1_35radix_sort_onesweep_config_selectorIjN6thrust23THRUST_200600_302600_NS5tupleIffNS6_9null_typeES8_S8_S8_S8_S8_S8_S8_EEEEZZNS1_29radix_sort_onesweep_iterationIS3_Lb0ENS6_6detail15normal_iteratorINS6_10device_ptrIjEEEESG_NSD_INSE_IS9_EEEESI_jNS0_19identity_decomposerENS1_16block_id_wrapperIjLb1EEEEE10hipError_tT1_PNSt15iterator_traitsISN_E10value_typeET2_T3_PNSO_IST_E10value_typeET4_T5_PSY_SZ_PNS1_23onesweep_lookback_stateEbbT6_jjT7_P12ihipStream_tbENKUlT_T0_SN_SS_E_clIPjSG_PS9_SI_EEDaS16_S17_SN_SS_EUlS16_E_NS1_11comp_targetILNS1_3genE0ELNS1_11target_archE4294967295ELNS1_3gpuE0ELNS1_3repE0EEENS1_47radix_sort_onesweep_sort_config_static_selectorELNS0_4arch9wavefront6targetE1EEEvSN_
	.globl	_ZN7rocprim17ROCPRIM_400000_NS6detail17trampoline_kernelINS0_14default_configENS1_35radix_sort_onesweep_config_selectorIjN6thrust23THRUST_200600_302600_NS5tupleIffNS6_9null_typeES8_S8_S8_S8_S8_S8_S8_EEEEZZNS1_29radix_sort_onesweep_iterationIS3_Lb0ENS6_6detail15normal_iteratorINS6_10device_ptrIjEEEESG_NSD_INSE_IS9_EEEESI_jNS0_19identity_decomposerENS1_16block_id_wrapperIjLb1EEEEE10hipError_tT1_PNSt15iterator_traitsISN_E10value_typeET2_T3_PNSO_IST_E10value_typeET4_T5_PSY_SZ_PNS1_23onesweep_lookback_stateEbbT6_jjT7_P12ihipStream_tbENKUlT_T0_SN_SS_E_clIPjSG_PS9_SI_EEDaS16_S17_SN_SS_EUlS16_E_NS1_11comp_targetILNS1_3genE0ELNS1_11target_archE4294967295ELNS1_3gpuE0ELNS1_3repE0EEENS1_47radix_sort_onesweep_sort_config_static_selectorELNS0_4arch9wavefront6targetE1EEEvSN_
	.p2align	8
	.type	_ZN7rocprim17ROCPRIM_400000_NS6detail17trampoline_kernelINS0_14default_configENS1_35radix_sort_onesweep_config_selectorIjN6thrust23THRUST_200600_302600_NS5tupleIffNS6_9null_typeES8_S8_S8_S8_S8_S8_S8_EEEEZZNS1_29radix_sort_onesweep_iterationIS3_Lb0ENS6_6detail15normal_iteratorINS6_10device_ptrIjEEEESG_NSD_INSE_IS9_EEEESI_jNS0_19identity_decomposerENS1_16block_id_wrapperIjLb1EEEEE10hipError_tT1_PNSt15iterator_traitsISN_E10value_typeET2_T3_PNSO_IST_E10value_typeET4_T5_PSY_SZ_PNS1_23onesweep_lookback_stateEbbT6_jjT7_P12ihipStream_tbENKUlT_T0_SN_SS_E_clIPjSG_PS9_SI_EEDaS16_S17_SN_SS_EUlS16_E_NS1_11comp_targetILNS1_3genE0ELNS1_11target_archE4294967295ELNS1_3gpuE0ELNS1_3repE0EEENS1_47radix_sort_onesweep_sort_config_static_selectorELNS0_4arch9wavefront6targetE1EEEvSN_,@function
_ZN7rocprim17ROCPRIM_400000_NS6detail17trampoline_kernelINS0_14default_configENS1_35radix_sort_onesweep_config_selectorIjN6thrust23THRUST_200600_302600_NS5tupleIffNS6_9null_typeES8_S8_S8_S8_S8_S8_S8_EEEEZZNS1_29radix_sort_onesweep_iterationIS3_Lb0ENS6_6detail15normal_iteratorINS6_10device_ptrIjEEEESG_NSD_INSE_IS9_EEEESI_jNS0_19identity_decomposerENS1_16block_id_wrapperIjLb1EEEEE10hipError_tT1_PNSt15iterator_traitsISN_E10value_typeET2_T3_PNSO_IST_E10value_typeET4_T5_PSY_SZ_PNS1_23onesweep_lookback_stateEbbT6_jjT7_P12ihipStream_tbENKUlT_T0_SN_SS_E_clIPjSG_PS9_SI_EEDaS16_S17_SN_SS_EUlS16_E_NS1_11comp_targetILNS1_3genE0ELNS1_11target_archE4294967295ELNS1_3gpuE0ELNS1_3repE0EEENS1_47radix_sort_onesweep_sort_config_static_selectorELNS0_4arch9wavefront6targetE1EEEvSN_: ; @_ZN7rocprim17ROCPRIM_400000_NS6detail17trampoline_kernelINS0_14default_configENS1_35radix_sort_onesweep_config_selectorIjN6thrust23THRUST_200600_302600_NS5tupleIffNS6_9null_typeES8_S8_S8_S8_S8_S8_S8_EEEEZZNS1_29radix_sort_onesweep_iterationIS3_Lb0ENS6_6detail15normal_iteratorINS6_10device_ptrIjEEEESG_NSD_INSE_IS9_EEEESI_jNS0_19identity_decomposerENS1_16block_id_wrapperIjLb1EEEEE10hipError_tT1_PNSt15iterator_traitsISN_E10value_typeET2_T3_PNSO_IST_E10value_typeET4_T5_PSY_SZ_PNS1_23onesweep_lookback_stateEbbT6_jjT7_P12ihipStream_tbENKUlT_T0_SN_SS_E_clIPjSG_PS9_SI_EEDaS16_S17_SN_SS_EUlS16_E_NS1_11comp_targetILNS1_3genE0ELNS1_11target_archE4294967295ELNS1_3gpuE0ELNS1_3repE0EEENS1_47radix_sort_onesweep_sort_config_static_selectorELNS0_4arch9wavefront6targetE1EEEvSN_
; %bb.0:
	.section	.rodata,"a",@progbits
	.p2align	6, 0x0
	.amdhsa_kernel _ZN7rocprim17ROCPRIM_400000_NS6detail17trampoline_kernelINS0_14default_configENS1_35radix_sort_onesweep_config_selectorIjN6thrust23THRUST_200600_302600_NS5tupleIffNS6_9null_typeES8_S8_S8_S8_S8_S8_S8_EEEEZZNS1_29radix_sort_onesweep_iterationIS3_Lb0ENS6_6detail15normal_iteratorINS6_10device_ptrIjEEEESG_NSD_INSE_IS9_EEEESI_jNS0_19identity_decomposerENS1_16block_id_wrapperIjLb1EEEEE10hipError_tT1_PNSt15iterator_traitsISN_E10value_typeET2_T3_PNSO_IST_E10value_typeET4_T5_PSY_SZ_PNS1_23onesweep_lookback_stateEbbT6_jjT7_P12ihipStream_tbENKUlT_T0_SN_SS_E_clIPjSG_PS9_SI_EEDaS16_S17_SN_SS_EUlS16_E_NS1_11comp_targetILNS1_3genE0ELNS1_11target_archE4294967295ELNS1_3gpuE0ELNS1_3repE0EEENS1_47radix_sort_onesweep_sort_config_static_selectorELNS0_4arch9wavefront6targetE1EEEvSN_
		.amdhsa_group_segment_fixed_size 0
		.amdhsa_private_segment_fixed_size 0
		.amdhsa_kernarg_size 88
		.amdhsa_user_sgpr_count 6
		.amdhsa_user_sgpr_private_segment_buffer 1
		.amdhsa_user_sgpr_dispatch_ptr 0
		.amdhsa_user_sgpr_queue_ptr 0
		.amdhsa_user_sgpr_kernarg_segment_ptr 1
		.amdhsa_user_sgpr_dispatch_id 0
		.amdhsa_user_sgpr_flat_scratch_init 0
		.amdhsa_user_sgpr_kernarg_preload_length 0
		.amdhsa_user_sgpr_kernarg_preload_offset 0
		.amdhsa_user_sgpr_private_segment_size 0
		.amdhsa_uses_dynamic_stack 0
		.amdhsa_system_sgpr_private_segment_wavefront_offset 0
		.amdhsa_system_sgpr_workgroup_id_x 1
		.amdhsa_system_sgpr_workgroup_id_y 0
		.amdhsa_system_sgpr_workgroup_id_z 0
		.amdhsa_system_sgpr_workgroup_info 0
		.amdhsa_system_vgpr_workitem_id 0
		.amdhsa_next_free_vgpr 1
		.amdhsa_next_free_sgpr 0
		.amdhsa_accum_offset 4
		.amdhsa_reserve_vcc 0
		.amdhsa_reserve_flat_scratch 0
		.amdhsa_float_round_mode_32 0
		.amdhsa_float_round_mode_16_64 0
		.amdhsa_float_denorm_mode_32 3
		.amdhsa_float_denorm_mode_16_64 3
		.amdhsa_dx10_clamp 1
		.amdhsa_ieee_mode 1
		.amdhsa_fp16_overflow 0
		.amdhsa_tg_split 0
		.amdhsa_exception_fp_ieee_invalid_op 0
		.amdhsa_exception_fp_denorm_src 0
		.amdhsa_exception_fp_ieee_div_zero 0
		.amdhsa_exception_fp_ieee_overflow 0
		.amdhsa_exception_fp_ieee_underflow 0
		.amdhsa_exception_fp_ieee_inexact 0
		.amdhsa_exception_int_div_zero 0
	.end_amdhsa_kernel
	.section	.text._ZN7rocprim17ROCPRIM_400000_NS6detail17trampoline_kernelINS0_14default_configENS1_35radix_sort_onesweep_config_selectorIjN6thrust23THRUST_200600_302600_NS5tupleIffNS6_9null_typeES8_S8_S8_S8_S8_S8_S8_EEEEZZNS1_29radix_sort_onesweep_iterationIS3_Lb0ENS6_6detail15normal_iteratorINS6_10device_ptrIjEEEESG_NSD_INSE_IS9_EEEESI_jNS0_19identity_decomposerENS1_16block_id_wrapperIjLb1EEEEE10hipError_tT1_PNSt15iterator_traitsISN_E10value_typeET2_T3_PNSO_IST_E10value_typeET4_T5_PSY_SZ_PNS1_23onesweep_lookback_stateEbbT6_jjT7_P12ihipStream_tbENKUlT_T0_SN_SS_E_clIPjSG_PS9_SI_EEDaS16_S17_SN_SS_EUlS16_E_NS1_11comp_targetILNS1_3genE0ELNS1_11target_archE4294967295ELNS1_3gpuE0ELNS1_3repE0EEENS1_47radix_sort_onesweep_sort_config_static_selectorELNS0_4arch9wavefront6targetE1EEEvSN_,"axG",@progbits,_ZN7rocprim17ROCPRIM_400000_NS6detail17trampoline_kernelINS0_14default_configENS1_35radix_sort_onesweep_config_selectorIjN6thrust23THRUST_200600_302600_NS5tupleIffNS6_9null_typeES8_S8_S8_S8_S8_S8_S8_EEEEZZNS1_29radix_sort_onesweep_iterationIS3_Lb0ENS6_6detail15normal_iteratorINS6_10device_ptrIjEEEESG_NSD_INSE_IS9_EEEESI_jNS0_19identity_decomposerENS1_16block_id_wrapperIjLb1EEEEE10hipError_tT1_PNSt15iterator_traitsISN_E10value_typeET2_T3_PNSO_IST_E10value_typeET4_T5_PSY_SZ_PNS1_23onesweep_lookback_stateEbbT6_jjT7_P12ihipStream_tbENKUlT_T0_SN_SS_E_clIPjSG_PS9_SI_EEDaS16_S17_SN_SS_EUlS16_E_NS1_11comp_targetILNS1_3genE0ELNS1_11target_archE4294967295ELNS1_3gpuE0ELNS1_3repE0EEENS1_47radix_sort_onesweep_sort_config_static_selectorELNS0_4arch9wavefront6targetE1EEEvSN_,comdat
.Lfunc_end193:
	.size	_ZN7rocprim17ROCPRIM_400000_NS6detail17trampoline_kernelINS0_14default_configENS1_35radix_sort_onesweep_config_selectorIjN6thrust23THRUST_200600_302600_NS5tupleIffNS6_9null_typeES8_S8_S8_S8_S8_S8_S8_EEEEZZNS1_29radix_sort_onesweep_iterationIS3_Lb0ENS6_6detail15normal_iteratorINS6_10device_ptrIjEEEESG_NSD_INSE_IS9_EEEESI_jNS0_19identity_decomposerENS1_16block_id_wrapperIjLb1EEEEE10hipError_tT1_PNSt15iterator_traitsISN_E10value_typeET2_T3_PNSO_IST_E10value_typeET4_T5_PSY_SZ_PNS1_23onesweep_lookback_stateEbbT6_jjT7_P12ihipStream_tbENKUlT_T0_SN_SS_E_clIPjSG_PS9_SI_EEDaS16_S17_SN_SS_EUlS16_E_NS1_11comp_targetILNS1_3genE0ELNS1_11target_archE4294967295ELNS1_3gpuE0ELNS1_3repE0EEENS1_47radix_sort_onesweep_sort_config_static_selectorELNS0_4arch9wavefront6targetE1EEEvSN_, .Lfunc_end193-_ZN7rocprim17ROCPRIM_400000_NS6detail17trampoline_kernelINS0_14default_configENS1_35radix_sort_onesweep_config_selectorIjN6thrust23THRUST_200600_302600_NS5tupleIffNS6_9null_typeES8_S8_S8_S8_S8_S8_S8_EEEEZZNS1_29radix_sort_onesweep_iterationIS3_Lb0ENS6_6detail15normal_iteratorINS6_10device_ptrIjEEEESG_NSD_INSE_IS9_EEEESI_jNS0_19identity_decomposerENS1_16block_id_wrapperIjLb1EEEEE10hipError_tT1_PNSt15iterator_traitsISN_E10value_typeET2_T3_PNSO_IST_E10value_typeET4_T5_PSY_SZ_PNS1_23onesweep_lookback_stateEbbT6_jjT7_P12ihipStream_tbENKUlT_T0_SN_SS_E_clIPjSG_PS9_SI_EEDaS16_S17_SN_SS_EUlS16_E_NS1_11comp_targetILNS1_3genE0ELNS1_11target_archE4294967295ELNS1_3gpuE0ELNS1_3repE0EEENS1_47radix_sort_onesweep_sort_config_static_selectorELNS0_4arch9wavefront6targetE1EEEvSN_
                                        ; -- End function
	.section	.AMDGPU.csdata,"",@progbits
; Kernel info:
; codeLenInByte = 0
; NumSgprs: 4
; NumVgprs: 0
; NumAgprs: 0
; TotalNumVgprs: 0
; ScratchSize: 0
; MemoryBound: 0
; FloatMode: 240
; IeeeMode: 1
; LDSByteSize: 0 bytes/workgroup (compile time only)
; SGPRBlocks: 0
; VGPRBlocks: 0
; NumSGPRsForWavesPerEU: 4
; NumVGPRsForWavesPerEU: 1
; AccumOffset: 4
; Occupancy: 8
; WaveLimiterHint : 0
; COMPUTE_PGM_RSRC2:SCRATCH_EN: 0
; COMPUTE_PGM_RSRC2:USER_SGPR: 6
; COMPUTE_PGM_RSRC2:TRAP_HANDLER: 0
; COMPUTE_PGM_RSRC2:TGID_X_EN: 1
; COMPUTE_PGM_RSRC2:TGID_Y_EN: 0
; COMPUTE_PGM_RSRC2:TGID_Z_EN: 0
; COMPUTE_PGM_RSRC2:TIDIG_COMP_CNT: 0
; COMPUTE_PGM_RSRC3_GFX90A:ACCUM_OFFSET: 0
; COMPUTE_PGM_RSRC3_GFX90A:TG_SPLIT: 0
	.section	.text._ZN7rocprim17ROCPRIM_400000_NS6detail17trampoline_kernelINS0_14default_configENS1_35radix_sort_onesweep_config_selectorIjN6thrust23THRUST_200600_302600_NS5tupleIffNS6_9null_typeES8_S8_S8_S8_S8_S8_S8_EEEEZZNS1_29radix_sort_onesweep_iterationIS3_Lb0ENS6_6detail15normal_iteratorINS6_10device_ptrIjEEEESG_NSD_INSE_IS9_EEEESI_jNS0_19identity_decomposerENS1_16block_id_wrapperIjLb1EEEEE10hipError_tT1_PNSt15iterator_traitsISN_E10value_typeET2_T3_PNSO_IST_E10value_typeET4_T5_PSY_SZ_PNS1_23onesweep_lookback_stateEbbT6_jjT7_P12ihipStream_tbENKUlT_T0_SN_SS_E_clIPjSG_PS9_SI_EEDaS16_S17_SN_SS_EUlS16_E_NS1_11comp_targetILNS1_3genE6ELNS1_11target_archE950ELNS1_3gpuE13ELNS1_3repE0EEENS1_47radix_sort_onesweep_sort_config_static_selectorELNS0_4arch9wavefront6targetE1EEEvSN_,"axG",@progbits,_ZN7rocprim17ROCPRIM_400000_NS6detail17trampoline_kernelINS0_14default_configENS1_35radix_sort_onesweep_config_selectorIjN6thrust23THRUST_200600_302600_NS5tupleIffNS6_9null_typeES8_S8_S8_S8_S8_S8_S8_EEEEZZNS1_29radix_sort_onesweep_iterationIS3_Lb0ENS6_6detail15normal_iteratorINS6_10device_ptrIjEEEESG_NSD_INSE_IS9_EEEESI_jNS0_19identity_decomposerENS1_16block_id_wrapperIjLb1EEEEE10hipError_tT1_PNSt15iterator_traitsISN_E10value_typeET2_T3_PNSO_IST_E10value_typeET4_T5_PSY_SZ_PNS1_23onesweep_lookback_stateEbbT6_jjT7_P12ihipStream_tbENKUlT_T0_SN_SS_E_clIPjSG_PS9_SI_EEDaS16_S17_SN_SS_EUlS16_E_NS1_11comp_targetILNS1_3genE6ELNS1_11target_archE950ELNS1_3gpuE13ELNS1_3repE0EEENS1_47radix_sort_onesweep_sort_config_static_selectorELNS0_4arch9wavefront6targetE1EEEvSN_,comdat
	.protected	_ZN7rocprim17ROCPRIM_400000_NS6detail17trampoline_kernelINS0_14default_configENS1_35radix_sort_onesweep_config_selectorIjN6thrust23THRUST_200600_302600_NS5tupleIffNS6_9null_typeES8_S8_S8_S8_S8_S8_S8_EEEEZZNS1_29radix_sort_onesweep_iterationIS3_Lb0ENS6_6detail15normal_iteratorINS6_10device_ptrIjEEEESG_NSD_INSE_IS9_EEEESI_jNS0_19identity_decomposerENS1_16block_id_wrapperIjLb1EEEEE10hipError_tT1_PNSt15iterator_traitsISN_E10value_typeET2_T3_PNSO_IST_E10value_typeET4_T5_PSY_SZ_PNS1_23onesweep_lookback_stateEbbT6_jjT7_P12ihipStream_tbENKUlT_T0_SN_SS_E_clIPjSG_PS9_SI_EEDaS16_S17_SN_SS_EUlS16_E_NS1_11comp_targetILNS1_3genE6ELNS1_11target_archE950ELNS1_3gpuE13ELNS1_3repE0EEENS1_47radix_sort_onesweep_sort_config_static_selectorELNS0_4arch9wavefront6targetE1EEEvSN_ ; -- Begin function _ZN7rocprim17ROCPRIM_400000_NS6detail17trampoline_kernelINS0_14default_configENS1_35radix_sort_onesweep_config_selectorIjN6thrust23THRUST_200600_302600_NS5tupleIffNS6_9null_typeES8_S8_S8_S8_S8_S8_S8_EEEEZZNS1_29radix_sort_onesweep_iterationIS3_Lb0ENS6_6detail15normal_iteratorINS6_10device_ptrIjEEEESG_NSD_INSE_IS9_EEEESI_jNS0_19identity_decomposerENS1_16block_id_wrapperIjLb1EEEEE10hipError_tT1_PNSt15iterator_traitsISN_E10value_typeET2_T3_PNSO_IST_E10value_typeET4_T5_PSY_SZ_PNS1_23onesweep_lookback_stateEbbT6_jjT7_P12ihipStream_tbENKUlT_T0_SN_SS_E_clIPjSG_PS9_SI_EEDaS16_S17_SN_SS_EUlS16_E_NS1_11comp_targetILNS1_3genE6ELNS1_11target_archE950ELNS1_3gpuE13ELNS1_3repE0EEENS1_47radix_sort_onesweep_sort_config_static_selectorELNS0_4arch9wavefront6targetE1EEEvSN_
	.globl	_ZN7rocprim17ROCPRIM_400000_NS6detail17trampoline_kernelINS0_14default_configENS1_35radix_sort_onesweep_config_selectorIjN6thrust23THRUST_200600_302600_NS5tupleIffNS6_9null_typeES8_S8_S8_S8_S8_S8_S8_EEEEZZNS1_29radix_sort_onesweep_iterationIS3_Lb0ENS6_6detail15normal_iteratorINS6_10device_ptrIjEEEESG_NSD_INSE_IS9_EEEESI_jNS0_19identity_decomposerENS1_16block_id_wrapperIjLb1EEEEE10hipError_tT1_PNSt15iterator_traitsISN_E10value_typeET2_T3_PNSO_IST_E10value_typeET4_T5_PSY_SZ_PNS1_23onesweep_lookback_stateEbbT6_jjT7_P12ihipStream_tbENKUlT_T0_SN_SS_E_clIPjSG_PS9_SI_EEDaS16_S17_SN_SS_EUlS16_E_NS1_11comp_targetILNS1_3genE6ELNS1_11target_archE950ELNS1_3gpuE13ELNS1_3repE0EEENS1_47radix_sort_onesweep_sort_config_static_selectorELNS0_4arch9wavefront6targetE1EEEvSN_
	.p2align	8
	.type	_ZN7rocprim17ROCPRIM_400000_NS6detail17trampoline_kernelINS0_14default_configENS1_35radix_sort_onesweep_config_selectorIjN6thrust23THRUST_200600_302600_NS5tupleIffNS6_9null_typeES8_S8_S8_S8_S8_S8_S8_EEEEZZNS1_29radix_sort_onesweep_iterationIS3_Lb0ENS6_6detail15normal_iteratorINS6_10device_ptrIjEEEESG_NSD_INSE_IS9_EEEESI_jNS0_19identity_decomposerENS1_16block_id_wrapperIjLb1EEEEE10hipError_tT1_PNSt15iterator_traitsISN_E10value_typeET2_T3_PNSO_IST_E10value_typeET4_T5_PSY_SZ_PNS1_23onesweep_lookback_stateEbbT6_jjT7_P12ihipStream_tbENKUlT_T0_SN_SS_E_clIPjSG_PS9_SI_EEDaS16_S17_SN_SS_EUlS16_E_NS1_11comp_targetILNS1_3genE6ELNS1_11target_archE950ELNS1_3gpuE13ELNS1_3repE0EEENS1_47radix_sort_onesweep_sort_config_static_selectorELNS0_4arch9wavefront6targetE1EEEvSN_,@function
_ZN7rocprim17ROCPRIM_400000_NS6detail17trampoline_kernelINS0_14default_configENS1_35radix_sort_onesweep_config_selectorIjN6thrust23THRUST_200600_302600_NS5tupleIffNS6_9null_typeES8_S8_S8_S8_S8_S8_S8_EEEEZZNS1_29radix_sort_onesweep_iterationIS3_Lb0ENS6_6detail15normal_iteratorINS6_10device_ptrIjEEEESG_NSD_INSE_IS9_EEEESI_jNS0_19identity_decomposerENS1_16block_id_wrapperIjLb1EEEEE10hipError_tT1_PNSt15iterator_traitsISN_E10value_typeET2_T3_PNSO_IST_E10value_typeET4_T5_PSY_SZ_PNS1_23onesweep_lookback_stateEbbT6_jjT7_P12ihipStream_tbENKUlT_T0_SN_SS_E_clIPjSG_PS9_SI_EEDaS16_S17_SN_SS_EUlS16_E_NS1_11comp_targetILNS1_3genE6ELNS1_11target_archE950ELNS1_3gpuE13ELNS1_3repE0EEENS1_47radix_sort_onesweep_sort_config_static_selectorELNS0_4arch9wavefront6targetE1EEEvSN_: ; @_ZN7rocprim17ROCPRIM_400000_NS6detail17trampoline_kernelINS0_14default_configENS1_35radix_sort_onesweep_config_selectorIjN6thrust23THRUST_200600_302600_NS5tupleIffNS6_9null_typeES8_S8_S8_S8_S8_S8_S8_EEEEZZNS1_29radix_sort_onesweep_iterationIS3_Lb0ENS6_6detail15normal_iteratorINS6_10device_ptrIjEEEESG_NSD_INSE_IS9_EEEESI_jNS0_19identity_decomposerENS1_16block_id_wrapperIjLb1EEEEE10hipError_tT1_PNSt15iterator_traitsISN_E10value_typeET2_T3_PNSO_IST_E10value_typeET4_T5_PSY_SZ_PNS1_23onesweep_lookback_stateEbbT6_jjT7_P12ihipStream_tbENKUlT_T0_SN_SS_E_clIPjSG_PS9_SI_EEDaS16_S17_SN_SS_EUlS16_E_NS1_11comp_targetILNS1_3genE6ELNS1_11target_archE950ELNS1_3gpuE13ELNS1_3repE0EEENS1_47radix_sort_onesweep_sort_config_static_selectorELNS0_4arch9wavefront6targetE1EEEvSN_
; %bb.0:
	.section	.rodata,"a",@progbits
	.p2align	6, 0x0
	.amdhsa_kernel _ZN7rocprim17ROCPRIM_400000_NS6detail17trampoline_kernelINS0_14default_configENS1_35radix_sort_onesweep_config_selectorIjN6thrust23THRUST_200600_302600_NS5tupleIffNS6_9null_typeES8_S8_S8_S8_S8_S8_S8_EEEEZZNS1_29radix_sort_onesweep_iterationIS3_Lb0ENS6_6detail15normal_iteratorINS6_10device_ptrIjEEEESG_NSD_INSE_IS9_EEEESI_jNS0_19identity_decomposerENS1_16block_id_wrapperIjLb1EEEEE10hipError_tT1_PNSt15iterator_traitsISN_E10value_typeET2_T3_PNSO_IST_E10value_typeET4_T5_PSY_SZ_PNS1_23onesweep_lookback_stateEbbT6_jjT7_P12ihipStream_tbENKUlT_T0_SN_SS_E_clIPjSG_PS9_SI_EEDaS16_S17_SN_SS_EUlS16_E_NS1_11comp_targetILNS1_3genE6ELNS1_11target_archE950ELNS1_3gpuE13ELNS1_3repE0EEENS1_47radix_sort_onesweep_sort_config_static_selectorELNS0_4arch9wavefront6targetE1EEEvSN_
		.amdhsa_group_segment_fixed_size 0
		.amdhsa_private_segment_fixed_size 0
		.amdhsa_kernarg_size 88
		.amdhsa_user_sgpr_count 6
		.amdhsa_user_sgpr_private_segment_buffer 1
		.amdhsa_user_sgpr_dispatch_ptr 0
		.amdhsa_user_sgpr_queue_ptr 0
		.amdhsa_user_sgpr_kernarg_segment_ptr 1
		.amdhsa_user_sgpr_dispatch_id 0
		.amdhsa_user_sgpr_flat_scratch_init 0
		.amdhsa_user_sgpr_kernarg_preload_length 0
		.amdhsa_user_sgpr_kernarg_preload_offset 0
		.amdhsa_user_sgpr_private_segment_size 0
		.amdhsa_uses_dynamic_stack 0
		.amdhsa_system_sgpr_private_segment_wavefront_offset 0
		.amdhsa_system_sgpr_workgroup_id_x 1
		.amdhsa_system_sgpr_workgroup_id_y 0
		.amdhsa_system_sgpr_workgroup_id_z 0
		.amdhsa_system_sgpr_workgroup_info 0
		.amdhsa_system_vgpr_workitem_id 0
		.amdhsa_next_free_vgpr 1
		.amdhsa_next_free_sgpr 0
		.amdhsa_accum_offset 4
		.amdhsa_reserve_vcc 0
		.amdhsa_reserve_flat_scratch 0
		.amdhsa_float_round_mode_32 0
		.amdhsa_float_round_mode_16_64 0
		.amdhsa_float_denorm_mode_32 3
		.amdhsa_float_denorm_mode_16_64 3
		.amdhsa_dx10_clamp 1
		.amdhsa_ieee_mode 1
		.amdhsa_fp16_overflow 0
		.amdhsa_tg_split 0
		.amdhsa_exception_fp_ieee_invalid_op 0
		.amdhsa_exception_fp_denorm_src 0
		.amdhsa_exception_fp_ieee_div_zero 0
		.amdhsa_exception_fp_ieee_overflow 0
		.amdhsa_exception_fp_ieee_underflow 0
		.amdhsa_exception_fp_ieee_inexact 0
		.amdhsa_exception_int_div_zero 0
	.end_amdhsa_kernel
	.section	.text._ZN7rocprim17ROCPRIM_400000_NS6detail17trampoline_kernelINS0_14default_configENS1_35radix_sort_onesweep_config_selectorIjN6thrust23THRUST_200600_302600_NS5tupleIffNS6_9null_typeES8_S8_S8_S8_S8_S8_S8_EEEEZZNS1_29radix_sort_onesweep_iterationIS3_Lb0ENS6_6detail15normal_iteratorINS6_10device_ptrIjEEEESG_NSD_INSE_IS9_EEEESI_jNS0_19identity_decomposerENS1_16block_id_wrapperIjLb1EEEEE10hipError_tT1_PNSt15iterator_traitsISN_E10value_typeET2_T3_PNSO_IST_E10value_typeET4_T5_PSY_SZ_PNS1_23onesweep_lookback_stateEbbT6_jjT7_P12ihipStream_tbENKUlT_T0_SN_SS_E_clIPjSG_PS9_SI_EEDaS16_S17_SN_SS_EUlS16_E_NS1_11comp_targetILNS1_3genE6ELNS1_11target_archE950ELNS1_3gpuE13ELNS1_3repE0EEENS1_47radix_sort_onesweep_sort_config_static_selectorELNS0_4arch9wavefront6targetE1EEEvSN_,"axG",@progbits,_ZN7rocprim17ROCPRIM_400000_NS6detail17trampoline_kernelINS0_14default_configENS1_35radix_sort_onesweep_config_selectorIjN6thrust23THRUST_200600_302600_NS5tupleIffNS6_9null_typeES8_S8_S8_S8_S8_S8_S8_EEEEZZNS1_29radix_sort_onesweep_iterationIS3_Lb0ENS6_6detail15normal_iteratorINS6_10device_ptrIjEEEESG_NSD_INSE_IS9_EEEESI_jNS0_19identity_decomposerENS1_16block_id_wrapperIjLb1EEEEE10hipError_tT1_PNSt15iterator_traitsISN_E10value_typeET2_T3_PNSO_IST_E10value_typeET4_T5_PSY_SZ_PNS1_23onesweep_lookback_stateEbbT6_jjT7_P12ihipStream_tbENKUlT_T0_SN_SS_E_clIPjSG_PS9_SI_EEDaS16_S17_SN_SS_EUlS16_E_NS1_11comp_targetILNS1_3genE6ELNS1_11target_archE950ELNS1_3gpuE13ELNS1_3repE0EEENS1_47radix_sort_onesweep_sort_config_static_selectorELNS0_4arch9wavefront6targetE1EEEvSN_,comdat
.Lfunc_end194:
	.size	_ZN7rocprim17ROCPRIM_400000_NS6detail17trampoline_kernelINS0_14default_configENS1_35radix_sort_onesweep_config_selectorIjN6thrust23THRUST_200600_302600_NS5tupleIffNS6_9null_typeES8_S8_S8_S8_S8_S8_S8_EEEEZZNS1_29radix_sort_onesweep_iterationIS3_Lb0ENS6_6detail15normal_iteratorINS6_10device_ptrIjEEEESG_NSD_INSE_IS9_EEEESI_jNS0_19identity_decomposerENS1_16block_id_wrapperIjLb1EEEEE10hipError_tT1_PNSt15iterator_traitsISN_E10value_typeET2_T3_PNSO_IST_E10value_typeET4_T5_PSY_SZ_PNS1_23onesweep_lookback_stateEbbT6_jjT7_P12ihipStream_tbENKUlT_T0_SN_SS_E_clIPjSG_PS9_SI_EEDaS16_S17_SN_SS_EUlS16_E_NS1_11comp_targetILNS1_3genE6ELNS1_11target_archE950ELNS1_3gpuE13ELNS1_3repE0EEENS1_47radix_sort_onesweep_sort_config_static_selectorELNS0_4arch9wavefront6targetE1EEEvSN_, .Lfunc_end194-_ZN7rocprim17ROCPRIM_400000_NS6detail17trampoline_kernelINS0_14default_configENS1_35radix_sort_onesweep_config_selectorIjN6thrust23THRUST_200600_302600_NS5tupleIffNS6_9null_typeES8_S8_S8_S8_S8_S8_S8_EEEEZZNS1_29radix_sort_onesweep_iterationIS3_Lb0ENS6_6detail15normal_iteratorINS6_10device_ptrIjEEEESG_NSD_INSE_IS9_EEEESI_jNS0_19identity_decomposerENS1_16block_id_wrapperIjLb1EEEEE10hipError_tT1_PNSt15iterator_traitsISN_E10value_typeET2_T3_PNSO_IST_E10value_typeET4_T5_PSY_SZ_PNS1_23onesweep_lookback_stateEbbT6_jjT7_P12ihipStream_tbENKUlT_T0_SN_SS_E_clIPjSG_PS9_SI_EEDaS16_S17_SN_SS_EUlS16_E_NS1_11comp_targetILNS1_3genE6ELNS1_11target_archE950ELNS1_3gpuE13ELNS1_3repE0EEENS1_47radix_sort_onesweep_sort_config_static_selectorELNS0_4arch9wavefront6targetE1EEEvSN_
                                        ; -- End function
	.section	.AMDGPU.csdata,"",@progbits
; Kernel info:
; codeLenInByte = 0
; NumSgprs: 4
; NumVgprs: 0
; NumAgprs: 0
; TotalNumVgprs: 0
; ScratchSize: 0
; MemoryBound: 0
; FloatMode: 240
; IeeeMode: 1
; LDSByteSize: 0 bytes/workgroup (compile time only)
; SGPRBlocks: 0
; VGPRBlocks: 0
; NumSGPRsForWavesPerEU: 4
; NumVGPRsForWavesPerEU: 1
; AccumOffset: 4
; Occupancy: 8
; WaveLimiterHint : 0
; COMPUTE_PGM_RSRC2:SCRATCH_EN: 0
; COMPUTE_PGM_RSRC2:USER_SGPR: 6
; COMPUTE_PGM_RSRC2:TRAP_HANDLER: 0
; COMPUTE_PGM_RSRC2:TGID_X_EN: 1
; COMPUTE_PGM_RSRC2:TGID_Y_EN: 0
; COMPUTE_PGM_RSRC2:TGID_Z_EN: 0
; COMPUTE_PGM_RSRC2:TIDIG_COMP_CNT: 0
; COMPUTE_PGM_RSRC3_GFX90A:ACCUM_OFFSET: 0
; COMPUTE_PGM_RSRC3_GFX90A:TG_SPLIT: 0
	.section	.text._ZN7rocprim17ROCPRIM_400000_NS6detail17trampoline_kernelINS0_14default_configENS1_35radix_sort_onesweep_config_selectorIjN6thrust23THRUST_200600_302600_NS5tupleIffNS6_9null_typeES8_S8_S8_S8_S8_S8_S8_EEEEZZNS1_29radix_sort_onesweep_iterationIS3_Lb0ENS6_6detail15normal_iteratorINS6_10device_ptrIjEEEESG_NSD_INSE_IS9_EEEESI_jNS0_19identity_decomposerENS1_16block_id_wrapperIjLb1EEEEE10hipError_tT1_PNSt15iterator_traitsISN_E10value_typeET2_T3_PNSO_IST_E10value_typeET4_T5_PSY_SZ_PNS1_23onesweep_lookback_stateEbbT6_jjT7_P12ihipStream_tbENKUlT_T0_SN_SS_E_clIPjSG_PS9_SI_EEDaS16_S17_SN_SS_EUlS16_E_NS1_11comp_targetILNS1_3genE5ELNS1_11target_archE942ELNS1_3gpuE9ELNS1_3repE0EEENS1_47radix_sort_onesweep_sort_config_static_selectorELNS0_4arch9wavefront6targetE1EEEvSN_,"axG",@progbits,_ZN7rocprim17ROCPRIM_400000_NS6detail17trampoline_kernelINS0_14default_configENS1_35radix_sort_onesweep_config_selectorIjN6thrust23THRUST_200600_302600_NS5tupleIffNS6_9null_typeES8_S8_S8_S8_S8_S8_S8_EEEEZZNS1_29radix_sort_onesweep_iterationIS3_Lb0ENS6_6detail15normal_iteratorINS6_10device_ptrIjEEEESG_NSD_INSE_IS9_EEEESI_jNS0_19identity_decomposerENS1_16block_id_wrapperIjLb1EEEEE10hipError_tT1_PNSt15iterator_traitsISN_E10value_typeET2_T3_PNSO_IST_E10value_typeET4_T5_PSY_SZ_PNS1_23onesweep_lookback_stateEbbT6_jjT7_P12ihipStream_tbENKUlT_T0_SN_SS_E_clIPjSG_PS9_SI_EEDaS16_S17_SN_SS_EUlS16_E_NS1_11comp_targetILNS1_3genE5ELNS1_11target_archE942ELNS1_3gpuE9ELNS1_3repE0EEENS1_47radix_sort_onesweep_sort_config_static_selectorELNS0_4arch9wavefront6targetE1EEEvSN_,comdat
	.protected	_ZN7rocprim17ROCPRIM_400000_NS6detail17trampoline_kernelINS0_14default_configENS1_35radix_sort_onesweep_config_selectorIjN6thrust23THRUST_200600_302600_NS5tupleIffNS6_9null_typeES8_S8_S8_S8_S8_S8_S8_EEEEZZNS1_29radix_sort_onesweep_iterationIS3_Lb0ENS6_6detail15normal_iteratorINS6_10device_ptrIjEEEESG_NSD_INSE_IS9_EEEESI_jNS0_19identity_decomposerENS1_16block_id_wrapperIjLb1EEEEE10hipError_tT1_PNSt15iterator_traitsISN_E10value_typeET2_T3_PNSO_IST_E10value_typeET4_T5_PSY_SZ_PNS1_23onesweep_lookback_stateEbbT6_jjT7_P12ihipStream_tbENKUlT_T0_SN_SS_E_clIPjSG_PS9_SI_EEDaS16_S17_SN_SS_EUlS16_E_NS1_11comp_targetILNS1_3genE5ELNS1_11target_archE942ELNS1_3gpuE9ELNS1_3repE0EEENS1_47radix_sort_onesweep_sort_config_static_selectorELNS0_4arch9wavefront6targetE1EEEvSN_ ; -- Begin function _ZN7rocprim17ROCPRIM_400000_NS6detail17trampoline_kernelINS0_14default_configENS1_35radix_sort_onesweep_config_selectorIjN6thrust23THRUST_200600_302600_NS5tupleIffNS6_9null_typeES8_S8_S8_S8_S8_S8_S8_EEEEZZNS1_29radix_sort_onesweep_iterationIS3_Lb0ENS6_6detail15normal_iteratorINS6_10device_ptrIjEEEESG_NSD_INSE_IS9_EEEESI_jNS0_19identity_decomposerENS1_16block_id_wrapperIjLb1EEEEE10hipError_tT1_PNSt15iterator_traitsISN_E10value_typeET2_T3_PNSO_IST_E10value_typeET4_T5_PSY_SZ_PNS1_23onesweep_lookback_stateEbbT6_jjT7_P12ihipStream_tbENKUlT_T0_SN_SS_E_clIPjSG_PS9_SI_EEDaS16_S17_SN_SS_EUlS16_E_NS1_11comp_targetILNS1_3genE5ELNS1_11target_archE942ELNS1_3gpuE9ELNS1_3repE0EEENS1_47radix_sort_onesweep_sort_config_static_selectorELNS0_4arch9wavefront6targetE1EEEvSN_
	.globl	_ZN7rocprim17ROCPRIM_400000_NS6detail17trampoline_kernelINS0_14default_configENS1_35radix_sort_onesweep_config_selectorIjN6thrust23THRUST_200600_302600_NS5tupleIffNS6_9null_typeES8_S8_S8_S8_S8_S8_S8_EEEEZZNS1_29radix_sort_onesweep_iterationIS3_Lb0ENS6_6detail15normal_iteratorINS6_10device_ptrIjEEEESG_NSD_INSE_IS9_EEEESI_jNS0_19identity_decomposerENS1_16block_id_wrapperIjLb1EEEEE10hipError_tT1_PNSt15iterator_traitsISN_E10value_typeET2_T3_PNSO_IST_E10value_typeET4_T5_PSY_SZ_PNS1_23onesweep_lookback_stateEbbT6_jjT7_P12ihipStream_tbENKUlT_T0_SN_SS_E_clIPjSG_PS9_SI_EEDaS16_S17_SN_SS_EUlS16_E_NS1_11comp_targetILNS1_3genE5ELNS1_11target_archE942ELNS1_3gpuE9ELNS1_3repE0EEENS1_47radix_sort_onesweep_sort_config_static_selectorELNS0_4arch9wavefront6targetE1EEEvSN_
	.p2align	8
	.type	_ZN7rocprim17ROCPRIM_400000_NS6detail17trampoline_kernelINS0_14default_configENS1_35radix_sort_onesweep_config_selectorIjN6thrust23THRUST_200600_302600_NS5tupleIffNS6_9null_typeES8_S8_S8_S8_S8_S8_S8_EEEEZZNS1_29radix_sort_onesweep_iterationIS3_Lb0ENS6_6detail15normal_iteratorINS6_10device_ptrIjEEEESG_NSD_INSE_IS9_EEEESI_jNS0_19identity_decomposerENS1_16block_id_wrapperIjLb1EEEEE10hipError_tT1_PNSt15iterator_traitsISN_E10value_typeET2_T3_PNSO_IST_E10value_typeET4_T5_PSY_SZ_PNS1_23onesweep_lookback_stateEbbT6_jjT7_P12ihipStream_tbENKUlT_T0_SN_SS_E_clIPjSG_PS9_SI_EEDaS16_S17_SN_SS_EUlS16_E_NS1_11comp_targetILNS1_3genE5ELNS1_11target_archE942ELNS1_3gpuE9ELNS1_3repE0EEENS1_47radix_sort_onesweep_sort_config_static_selectorELNS0_4arch9wavefront6targetE1EEEvSN_,@function
_ZN7rocprim17ROCPRIM_400000_NS6detail17trampoline_kernelINS0_14default_configENS1_35radix_sort_onesweep_config_selectorIjN6thrust23THRUST_200600_302600_NS5tupleIffNS6_9null_typeES8_S8_S8_S8_S8_S8_S8_EEEEZZNS1_29radix_sort_onesweep_iterationIS3_Lb0ENS6_6detail15normal_iteratorINS6_10device_ptrIjEEEESG_NSD_INSE_IS9_EEEESI_jNS0_19identity_decomposerENS1_16block_id_wrapperIjLb1EEEEE10hipError_tT1_PNSt15iterator_traitsISN_E10value_typeET2_T3_PNSO_IST_E10value_typeET4_T5_PSY_SZ_PNS1_23onesweep_lookback_stateEbbT6_jjT7_P12ihipStream_tbENKUlT_T0_SN_SS_E_clIPjSG_PS9_SI_EEDaS16_S17_SN_SS_EUlS16_E_NS1_11comp_targetILNS1_3genE5ELNS1_11target_archE942ELNS1_3gpuE9ELNS1_3repE0EEENS1_47radix_sort_onesweep_sort_config_static_selectorELNS0_4arch9wavefront6targetE1EEEvSN_: ; @_ZN7rocprim17ROCPRIM_400000_NS6detail17trampoline_kernelINS0_14default_configENS1_35radix_sort_onesweep_config_selectorIjN6thrust23THRUST_200600_302600_NS5tupleIffNS6_9null_typeES8_S8_S8_S8_S8_S8_S8_EEEEZZNS1_29radix_sort_onesweep_iterationIS3_Lb0ENS6_6detail15normal_iteratorINS6_10device_ptrIjEEEESG_NSD_INSE_IS9_EEEESI_jNS0_19identity_decomposerENS1_16block_id_wrapperIjLb1EEEEE10hipError_tT1_PNSt15iterator_traitsISN_E10value_typeET2_T3_PNSO_IST_E10value_typeET4_T5_PSY_SZ_PNS1_23onesweep_lookback_stateEbbT6_jjT7_P12ihipStream_tbENKUlT_T0_SN_SS_E_clIPjSG_PS9_SI_EEDaS16_S17_SN_SS_EUlS16_E_NS1_11comp_targetILNS1_3genE5ELNS1_11target_archE942ELNS1_3gpuE9ELNS1_3repE0EEENS1_47radix_sort_onesweep_sort_config_static_selectorELNS0_4arch9wavefront6targetE1EEEvSN_
; %bb.0:
	.section	.rodata,"a",@progbits
	.p2align	6, 0x0
	.amdhsa_kernel _ZN7rocprim17ROCPRIM_400000_NS6detail17trampoline_kernelINS0_14default_configENS1_35radix_sort_onesweep_config_selectorIjN6thrust23THRUST_200600_302600_NS5tupleIffNS6_9null_typeES8_S8_S8_S8_S8_S8_S8_EEEEZZNS1_29radix_sort_onesweep_iterationIS3_Lb0ENS6_6detail15normal_iteratorINS6_10device_ptrIjEEEESG_NSD_INSE_IS9_EEEESI_jNS0_19identity_decomposerENS1_16block_id_wrapperIjLb1EEEEE10hipError_tT1_PNSt15iterator_traitsISN_E10value_typeET2_T3_PNSO_IST_E10value_typeET4_T5_PSY_SZ_PNS1_23onesweep_lookback_stateEbbT6_jjT7_P12ihipStream_tbENKUlT_T0_SN_SS_E_clIPjSG_PS9_SI_EEDaS16_S17_SN_SS_EUlS16_E_NS1_11comp_targetILNS1_3genE5ELNS1_11target_archE942ELNS1_3gpuE9ELNS1_3repE0EEENS1_47radix_sort_onesweep_sort_config_static_selectorELNS0_4arch9wavefront6targetE1EEEvSN_
		.amdhsa_group_segment_fixed_size 0
		.amdhsa_private_segment_fixed_size 0
		.amdhsa_kernarg_size 88
		.amdhsa_user_sgpr_count 6
		.amdhsa_user_sgpr_private_segment_buffer 1
		.amdhsa_user_sgpr_dispatch_ptr 0
		.amdhsa_user_sgpr_queue_ptr 0
		.amdhsa_user_sgpr_kernarg_segment_ptr 1
		.amdhsa_user_sgpr_dispatch_id 0
		.amdhsa_user_sgpr_flat_scratch_init 0
		.amdhsa_user_sgpr_kernarg_preload_length 0
		.amdhsa_user_sgpr_kernarg_preload_offset 0
		.amdhsa_user_sgpr_private_segment_size 0
		.amdhsa_uses_dynamic_stack 0
		.amdhsa_system_sgpr_private_segment_wavefront_offset 0
		.amdhsa_system_sgpr_workgroup_id_x 1
		.amdhsa_system_sgpr_workgroup_id_y 0
		.amdhsa_system_sgpr_workgroup_id_z 0
		.amdhsa_system_sgpr_workgroup_info 0
		.amdhsa_system_vgpr_workitem_id 0
		.amdhsa_next_free_vgpr 1
		.amdhsa_next_free_sgpr 0
		.amdhsa_accum_offset 4
		.amdhsa_reserve_vcc 0
		.amdhsa_reserve_flat_scratch 0
		.amdhsa_float_round_mode_32 0
		.amdhsa_float_round_mode_16_64 0
		.amdhsa_float_denorm_mode_32 3
		.amdhsa_float_denorm_mode_16_64 3
		.amdhsa_dx10_clamp 1
		.amdhsa_ieee_mode 1
		.amdhsa_fp16_overflow 0
		.amdhsa_tg_split 0
		.amdhsa_exception_fp_ieee_invalid_op 0
		.amdhsa_exception_fp_denorm_src 0
		.amdhsa_exception_fp_ieee_div_zero 0
		.amdhsa_exception_fp_ieee_overflow 0
		.amdhsa_exception_fp_ieee_underflow 0
		.amdhsa_exception_fp_ieee_inexact 0
		.amdhsa_exception_int_div_zero 0
	.end_amdhsa_kernel
	.section	.text._ZN7rocprim17ROCPRIM_400000_NS6detail17trampoline_kernelINS0_14default_configENS1_35radix_sort_onesweep_config_selectorIjN6thrust23THRUST_200600_302600_NS5tupleIffNS6_9null_typeES8_S8_S8_S8_S8_S8_S8_EEEEZZNS1_29radix_sort_onesweep_iterationIS3_Lb0ENS6_6detail15normal_iteratorINS6_10device_ptrIjEEEESG_NSD_INSE_IS9_EEEESI_jNS0_19identity_decomposerENS1_16block_id_wrapperIjLb1EEEEE10hipError_tT1_PNSt15iterator_traitsISN_E10value_typeET2_T3_PNSO_IST_E10value_typeET4_T5_PSY_SZ_PNS1_23onesweep_lookback_stateEbbT6_jjT7_P12ihipStream_tbENKUlT_T0_SN_SS_E_clIPjSG_PS9_SI_EEDaS16_S17_SN_SS_EUlS16_E_NS1_11comp_targetILNS1_3genE5ELNS1_11target_archE942ELNS1_3gpuE9ELNS1_3repE0EEENS1_47radix_sort_onesweep_sort_config_static_selectorELNS0_4arch9wavefront6targetE1EEEvSN_,"axG",@progbits,_ZN7rocprim17ROCPRIM_400000_NS6detail17trampoline_kernelINS0_14default_configENS1_35radix_sort_onesweep_config_selectorIjN6thrust23THRUST_200600_302600_NS5tupleIffNS6_9null_typeES8_S8_S8_S8_S8_S8_S8_EEEEZZNS1_29radix_sort_onesweep_iterationIS3_Lb0ENS6_6detail15normal_iteratorINS6_10device_ptrIjEEEESG_NSD_INSE_IS9_EEEESI_jNS0_19identity_decomposerENS1_16block_id_wrapperIjLb1EEEEE10hipError_tT1_PNSt15iterator_traitsISN_E10value_typeET2_T3_PNSO_IST_E10value_typeET4_T5_PSY_SZ_PNS1_23onesweep_lookback_stateEbbT6_jjT7_P12ihipStream_tbENKUlT_T0_SN_SS_E_clIPjSG_PS9_SI_EEDaS16_S17_SN_SS_EUlS16_E_NS1_11comp_targetILNS1_3genE5ELNS1_11target_archE942ELNS1_3gpuE9ELNS1_3repE0EEENS1_47radix_sort_onesweep_sort_config_static_selectorELNS0_4arch9wavefront6targetE1EEEvSN_,comdat
.Lfunc_end195:
	.size	_ZN7rocprim17ROCPRIM_400000_NS6detail17trampoline_kernelINS0_14default_configENS1_35radix_sort_onesweep_config_selectorIjN6thrust23THRUST_200600_302600_NS5tupleIffNS6_9null_typeES8_S8_S8_S8_S8_S8_S8_EEEEZZNS1_29radix_sort_onesweep_iterationIS3_Lb0ENS6_6detail15normal_iteratorINS6_10device_ptrIjEEEESG_NSD_INSE_IS9_EEEESI_jNS0_19identity_decomposerENS1_16block_id_wrapperIjLb1EEEEE10hipError_tT1_PNSt15iterator_traitsISN_E10value_typeET2_T3_PNSO_IST_E10value_typeET4_T5_PSY_SZ_PNS1_23onesweep_lookback_stateEbbT6_jjT7_P12ihipStream_tbENKUlT_T0_SN_SS_E_clIPjSG_PS9_SI_EEDaS16_S17_SN_SS_EUlS16_E_NS1_11comp_targetILNS1_3genE5ELNS1_11target_archE942ELNS1_3gpuE9ELNS1_3repE0EEENS1_47radix_sort_onesweep_sort_config_static_selectorELNS0_4arch9wavefront6targetE1EEEvSN_, .Lfunc_end195-_ZN7rocprim17ROCPRIM_400000_NS6detail17trampoline_kernelINS0_14default_configENS1_35radix_sort_onesweep_config_selectorIjN6thrust23THRUST_200600_302600_NS5tupleIffNS6_9null_typeES8_S8_S8_S8_S8_S8_S8_EEEEZZNS1_29radix_sort_onesweep_iterationIS3_Lb0ENS6_6detail15normal_iteratorINS6_10device_ptrIjEEEESG_NSD_INSE_IS9_EEEESI_jNS0_19identity_decomposerENS1_16block_id_wrapperIjLb1EEEEE10hipError_tT1_PNSt15iterator_traitsISN_E10value_typeET2_T3_PNSO_IST_E10value_typeET4_T5_PSY_SZ_PNS1_23onesweep_lookback_stateEbbT6_jjT7_P12ihipStream_tbENKUlT_T0_SN_SS_E_clIPjSG_PS9_SI_EEDaS16_S17_SN_SS_EUlS16_E_NS1_11comp_targetILNS1_3genE5ELNS1_11target_archE942ELNS1_3gpuE9ELNS1_3repE0EEENS1_47radix_sort_onesweep_sort_config_static_selectorELNS0_4arch9wavefront6targetE1EEEvSN_
                                        ; -- End function
	.section	.AMDGPU.csdata,"",@progbits
; Kernel info:
; codeLenInByte = 0
; NumSgprs: 4
; NumVgprs: 0
; NumAgprs: 0
; TotalNumVgprs: 0
; ScratchSize: 0
; MemoryBound: 0
; FloatMode: 240
; IeeeMode: 1
; LDSByteSize: 0 bytes/workgroup (compile time only)
; SGPRBlocks: 0
; VGPRBlocks: 0
; NumSGPRsForWavesPerEU: 4
; NumVGPRsForWavesPerEU: 1
; AccumOffset: 4
; Occupancy: 8
; WaveLimiterHint : 0
; COMPUTE_PGM_RSRC2:SCRATCH_EN: 0
; COMPUTE_PGM_RSRC2:USER_SGPR: 6
; COMPUTE_PGM_RSRC2:TRAP_HANDLER: 0
; COMPUTE_PGM_RSRC2:TGID_X_EN: 1
; COMPUTE_PGM_RSRC2:TGID_Y_EN: 0
; COMPUTE_PGM_RSRC2:TGID_Z_EN: 0
; COMPUTE_PGM_RSRC2:TIDIG_COMP_CNT: 0
; COMPUTE_PGM_RSRC3_GFX90A:ACCUM_OFFSET: 0
; COMPUTE_PGM_RSRC3_GFX90A:TG_SPLIT: 0
	.section	.text._ZN7rocprim17ROCPRIM_400000_NS6detail17trampoline_kernelINS0_14default_configENS1_35radix_sort_onesweep_config_selectorIjN6thrust23THRUST_200600_302600_NS5tupleIffNS6_9null_typeES8_S8_S8_S8_S8_S8_S8_EEEEZZNS1_29radix_sort_onesweep_iterationIS3_Lb0ENS6_6detail15normal_iteratorINS6_10device_ptrIjEEEESG_NSD_INSE_IS9_EEEESI_jNS0_19identity_decomposerENS1_16block_id_wrapperIjLb1EEEEE10hipError_tT1_PNSt15iterator_traitsISN_E10value_typeET2_T3_PNSO_IST_E10value_typeET4_T5_PSY_SZ_PNS1_23onesweep_lookback_stateEbbT6_jjT7_P12ihipStream_tbENKUlT_T0_SN_SS_E_clIPjSG_PS9_SI_EEDaS16_S17_SN_SS_EUlS16_E_NS1_11comp_targetILNS1_3genE2ELNS1_11target_archE906ELNS1_3gpuE6ELNS1_3repE0EEENS1_47radix_sort_onesweep_sort_config_static_selectorELNS0_4arch9wavefront6targetE1EEEvSN_,"axG",@progbits,_ZN7rocprim17ROCPRIM_400000_NS6detail17trampoline_kernelINS0_14default_configENS1_35radix_sort_onesweep_config_selectorIjN6thrust23THRUST_200600_302600_NS5tupleIffNS6_9null_typeES8_S8_S8_S8_S8_S8_S8_EEEEZZNS1_29radix_sort_onesweep_iterationIS3_Lb0ENS6_6detail15normal_iteratorINS6_10device_ptrIjEEEESG_NSD_INSE_IS9_EEEESI_jNS0_19identity_decomposerENS1_16block_id_wrapperIjLb1EEEEE10hipError_tT1_PNSt15iterator_traitsISN_E10value_typeET2_T3_PNSO_IST_E10value_typeET4_T5_PSY_SZ_PNS1_23onesweep_lookback_stateEbbT6_jjT7_P12ihipStream_tbENKUlT_T0_SN_SS_E_clIPjSG_PS9_SI_EEDaS16_S17_SN_SS_EUlS16_E_NS1_11comp_targetILNS1_3genE2ELNS1_11target_archE906ELNS1_3gpuE6ELNS1_3repE0EEENS1_47radix_sort_onesweep_sort_config_static_selectorELNS0_4arch9wavefront6targetE1EEEvSN_,comdat
	.protected	_ZN7rocprim17ROCPRIM_400000_NS6detail17trampoline_kernelINS0_14default_configENS1_35radix_sort_onesweep_config_selectorIjN6thrust23THRUST_200600_302600_NS5tupleIffNS6_9null_typeES8_S8_S8_S8_S8_S8_S8_EEEEZZNS1_29radix_sort_onesweep_iterationIS3_Lb0ENS6_6detail15normal_iteratorINS6_10device_ptrIjEEEESG_NSD_INSE_IS9_EEEESI_jNS0_19identity_decomposerENS1_16block_id_wrapperIjLb1EEEEE10hipError_tT1_PNSt15iterator_traitsISN_E10value_typeET2_T3_PNSO_IST_E10value_typeET4_T5_PSY_SZ_PNS1_23onesweep_lookback_stateEbbT6_jjT7_P12ihipStream_tbENKUlT_T0_SN_SS_E_clIPjSG_PS9_SI_EEDaS16_S17_SN_SS_EUlS16_E_NS1_11comp_targetILNS1_3genE2ELNS1_11target_archE906ELNS1_3gpuE6ELNS1_3repE0EEENS1_47radix_sort_onesweep_sort_config_static_selectorELNS0_4arch9wavefront6targetE1EEEvSN_ ; -- Begin function _ZN7rocprim17ROCPRIM_400000_NS6detail17trampoline_kernelINS0_14default_configENS1_35radix_sort_onesweep_config_selectorIjN6thrust23THRUST_200600_302600_NS5tupleIffNS6_9null_typeES8_S8_S8_S8_S8_S8_S8_EEEEZZNS1_29radix_sort_onesweep_iterationIS3_Lb0ENS6_6detail15normal_iteratorINS6_10device_ptrIjEEEESG_NSD_INSE_IS9_EEEESI_jNS0_19identity_decomposerENS1_16block_id_wrapperIjLb1EEEEE10hipError_tT1_PNSt15iterator_traitsISN_E10value_typeET2_T3_PNSO_IST_E10value_typeET4_T5_PSY_SZ_PNS1_23onesweep_lookback_stateEbbT6_jjT7_P12ihipStream_tbENKUlT_T0_SN_SS_E_clIPjSG_PS9_SI_EEDaS16_S17_SN_SS_EUlS16_E_NS1_11comp_targetILNS1_3genE2ELNS1_11target_archE906ELNS1_3gpuE6ELNS1_3repE0EEENS1_47radix_sort_onesweep_sort_config_static_selectorELNS0_4arch9wavefront6targetE1EEEvSN_
	.globl	_ZN7rocprim17ROCPRIM_400000_NS6detail17trampoline_kernelINS0_14default_configENS1_35radix_sort_onesweep_config_selectorIjN6thrust23THRUST_200600_302600_NS5tupleIffNS6_9null_typeES8_S8_S8_S8_S8_S8_S8_EEEEZZNS1_29radix_sort_onesweep_iterationIS3_Lb0ENS6_6detail15normal_iteratorINS6_10device_ptrIjEEEESG_NSD_INSE_IS9_EEEESI_jNS0_19identity_decomposerENS1_16block_id_wrapperIjLb1EEEEE10hipError_tT1_PNSt15iterator_traitsISN_E10value_typeET2_T3_PNSO_IST_E10value_typeET4_T5_PSY_SZ_PNS1_23onesweep_lookback_stateEbbT6_jjT7_P12ihipStream_tbENKUlT_T0_SN_SS_E_clIPjSG_PS9_SI_EEDaS16_S17_SN_SS_EUlS16_E_NS1_11comp_targetILNS1_3genE2ELNS1_11target_archE906ELNS1_3gpuE6ELNS1_3repE0EEENS1_47radix_sort_onesweep_sort_config_static_selectorELNS0_4arch9wavefront6targetE1EEEvSN_
	.p2align	8
	.type	_ZN7rocprim17ROCPRIM_400000_NS6detail17trampoline_kernelINS0_14default_configENS1_35radix_sort_onesweep_config_selectorIjN6thrust23THRUST_200600_302600_NS5tupleIffNS6_9null_typeES8_S8_S8_S8_S8_S8_S8_EEEEZZNS1_29radix_sort_onesweep_iterationIS3_Lb0ENS6_6detail15normal_iteratorINS6_10device_ptrIjEEEESG_NSD_INSE_IS9_EEEESI_jNS0_19identity_decomposerENS1_16block_id_wrapperIjLb1EEEEE10hipError_tT1_PNSt15iterator_traitsISN_E10value_typeET2_T3_PNSO_IST_E10value_typeET4_T5_PSY_SZ_PNS1_23onesweep_lookback_stateEbbT6_jjT7_P12ihipStream_tbENKUlT_T0_SN_SS_E_clIPjSG_PS9_SI_EEDaS16_S17_SN_SS_EUlS16_E_NS1_11comp_targetILNS1_3genE2ELNS1_11target_archE906ELNS1_3gpuE6ELNS1_3repE0EEENS1_47radix_sort_onesweep_sort_config_static_selectorELNS0_4arch9wavefront6targetE1EEEvSN_,@function
_ZN7rocprim17ROCPRIM_400000_NS6detail17trampoline_kernelINS0_14default_configENS1_35radix_sort_onesweep_config_selectorIjN6thrust23THRUST_200600_302600_NS5tupleIffNS6_9null_typeES8_S8_S8_S8_S8_S8_S8_EEEEZZNS1_29radix_sort_onesweep_iterationIS3_Lb0ENS6_6detail15normal_iteratorINS6_10device_ptrIjEEEESG_NSD_INSE_IS9_EEEESI_jNS0_19identity_decomposerENS1_16block_id_wrapperIjLb1EEEEE10hipError_tT1_PNSt15iterator_traitsISN_E10value_typeET2_T3_PNSO_IST_E10value_typeET4_T5_PSY_SZ_PNS1_23onesweep_lookback_stateEbbT6_jjT7_P12ihipStream_tbENKUlT_T0_SN_SS_E_clIPjSG_PS9_SI_EEDaS16_S17_SN_SS_EUlS16_E_NS1_11comp_targetILNS1_3genE2ELNS1_11target_archE906ELNS1_3gpuE6ELNS1_3repE0EEENS1_47radix_sort_onesweep_sort_config_static_selectorELNS0_4arch9wavefront6targetE1EEEvSN_: ; @_ZN7rocprim17ROCPRIM_400000_NS6detail17trampoline_kernelINS0_14default_configENS1_35radix_sort_onesweep_config_selectorIjN6thrust23THRUST_200600_302600_NS5tupleIffNS6_9null_typeES8_S8_S8_S8_S8_S8_S8_EEEEZZNS1_29radix_sort_onesweep_iterationIS3_Lb0ENS6_6detail15normal_iteratorINS6_10device_ptrIjEEEESG_NSD_INSE_IS9_EEEESI_jNS0_19identity_decomposerENS1_16block_id_wrapperIjLb1EEEEE10hipError_tT1_PNSt15iterator_traitsISN_E10value_typeET2_T3_PNSO_IST_E10value_typeET4_T5_PSY_SZ_PNS1_23onesweep_lookback_stateEbbT6_jjT7_P12ihipStream_tbENKUlT_T0_SN_SS_E_clIPjSG_PS9_SI_EEDaS16_S17_SN_SS_EUlS16_E_NS1_11comp_targetILNS1_3genE2ELNS1_11target_archE906ELNS1_3gpuE6ELNS1_3repE0EEENS1_47radix_sort_onesweep_sort_config_static_selectorELNS0_4arch9wavefront6targetE1EEEvSN_
; %bb.0:
	.section	.rodata,"a",@progbits
	.p2align	6, 0x0
	.amdhsa_kernel _ZN7rocprim17ROCPRIM_400000_NS6detail17trampoline_kernelINS0_14default_configENS1_35radix_sort_onesweep_config_selectorIjN6thrust23THRUST_200600_302600_NS5tupleIffNS6_9null_typeES8_S8_S8_S8_S8_S8_S8_EEEEZZNS1_29radix_sort_onesweep_iterationIS3_Lb0ENS6_6detail15normal_iteratorINS6_10device_ptrIjEEEESG_NSD_INSE_IS9_EEEESI_jNS0_19identity_decomposerENS1_16block_id_wrapperIjLb1EEEEE10hipError_tT1_PNSt15iterator_traitsISN_E10value_typeET2_T3_PNSO_IST_E10value_typeET4_T5_PSY_SZ_PNS1_23onesweep_lookback_stateEbbT6_jjT7_P12ihipStream_tbENKUlT_T0_SN_SS_E_clIPjSG_PS9_SI_EEDaS16_S17_SN_SS_EUlS16_E_NS1_11comp_targetILNS1_3genE2ELNS1_11target_archE906ELNS1_3gpuE6ELNS1_3repE0EEENS1_47radix_sort_onesweep_sort_config_static_selectorELNS0_4arch9wavefront6targetE1EEEvSN_
		.amdhsa_group_segment_fixed_size 0
		.amdhsa_private_segment_fixed_size 0
		.amdhsa_kernarg_size 88
		.amdhsa_user_sgpr_count 6
		.amdhsa_user_sgpr_private_segment_buffer 1
		.amdhsa_user_sgpr_dispatch_ptr 0
		.amdhsa_user_sgpr_queue_ptr 0
		.amdhsa_user_sgpr_kernarg_segment_ptr 1
		.amdhsa_user_sgpr_dispatch_id 0
		.amdhsa_user_sgpr_flat_scratch_init 0
		.amdhsa_user_sgpr_kernarg_preload_length 0
		.amdhsa_user_sgpr_kernarg_preload_offset 0
		.amdhsa_user_sgpr_private_segment_size 0
		.amdhsa_uses_dynamic_stack 0
		.amdhsa_system_sgpr_private_segment_wavefront_offset 0
		.amdhsa_system_sgpr_workgroup_id_x 1
		.amdhsa_system_sgpr_workgroup_id_y 0
		.amdhsa_system_sgpr_workgroup_id_z 0
		.amdhsa_system_sgpr_workgroup_info 0
		.amdhsa_system_vgpr_workitem_id 0
		.amdhsa_next_free_vgpr 1
		.amdhsa_next_free_sgpr 0
		.amdhsa_accum_offset 4
		.amdhsa_reserve_vcc 0
		.amdhsa_reserve_flat_scratch 0
		.amdhsa_float_round_mode_32 0
		.amdhsa_float_round_mode_16_64 0
		.amdhsa_float_denorm_mode_32 3
		.amdhsa_float_denorm_mode_16_64 3
		.amdhsa_dx10_clamp 1
		.amdhsa_ieee_mode 1
		.amdhsa_fp16_overflow 0
		.amdhsa_tg_split 0
		.amdhsa_exception_fp_ieee_invalid_op 0
		.amdhsa_exception_fp_denorm_src 0
		.amdhsa_exception_fp_ieee_div_zero 0
		.amdhsa_exception_fp_ieee_overflow 0
		.amdhsa_exception_fp_ieee_underflow 0
		.amdhsa_exception_fp_ieee_inexact 0
		.amdhsa_exception_int_div_zero 0
	.end_amdhsa_kernel
	.section	.text._ZN7rocprim17ROCPRIM_400000_NS6detail17trampoline_kernelINS0_14default_configENS1_35radix_sort_onesweep_config_selectorIjN6thrust23THRUST_200600_302600_NS5tupleIffNS6_9null_typeES8_S8_S8_S8_S8_S8_S8_EEEEZZNS1_29radix_sort_onesweep_iterationIS3_Lb0ENS6_6detail15normal_iteratorINS6_10device_ptrIjEEEESG_NSD_INSE_IS9_EEEESI_jNS0_19identity_decomposerENS1_16block_id_wrapperIjLb1EEEEE10hipError_tT1_PNSt15iterator_traitsISN_E10value_typeET2_T3_PNSO_IST_E10value_typeET4_T5_PSY_SZ_PNS1_23onesweep_lookback_stateEbbT6_jjT7_P12ihipStream_tbENKUlT_T0_SN_SS_E_clIPjSG_PS9_SI_EEDaS16_S17_SN_SS_EUlS16_E_NS1_11comp_targetILNS1_3genE2ELNS1_11target_archE906ELNS1_3gpuE6ELNS1_3repE0EEENS1_47radix_sort_onesweep_sort_config_static_selectorELNS0_4arch9wavefront6targetE1EEEvSN_,"axG",@progbits,_ZN7rocprim17ROCPRIM_400000_NS6detail17trampoline_kernelINS0_14default_configENS1_35radix_sort_onesweep_config_selectorIjN6thrust23THRUST_200600_302600_NS5tupleIffNS6_9null_typeES8_S8_S8_S8_S8_S8_S8_EEEEZZNS1_29radix_sort_onesweep_iterationIS3_Lb0ENS6_6detail15normal_iteratorINS6_10device_ptrIjEEEESG_NSD_INSE_IS9_EEEESI_jNS0_19identity_decomposerENS1_16block_id_wrapperIjLb1EEEEE10hipError_tT1_PNSt15iterator_traitsISN_E10value_typeET2_T3_PNSO_IST_E10value_typeET4_T5_PSY_SZ_PNS1_23onesweep_lookback_stateEbbT6_jjT7_P12ihipStream_tbENKUlT_T0_SN_SS_E_clIPjSG_PS9_SI_EEDaS16_S17_SN_SS_EUlS16_E_NS1_11comp_targetILNS1_3genE2ELNS1_11target_archE906ELNS1_3gpuE6ELNS1_3repE0EEENS1_47radix_sort_onesweep_sort_config_static_selectorELNS0_4arch9wavefront6targetE1EEEvSN_,comdat
.Lfunc_end196:
	.size	_ZN7rocprim17ROCPRIM_400000_NS6detail17trampoline_kernelINS0_14default_configENS1_35radix_sort_onesweep_config_selectorIjN6thrust23THRUST_200600_302600_NS5tupleIffNS6_9null_typeES8_S8_S8_S8_S8_S8_S8_EEEEZZNS1_29radix_sort_onesweep_iterationIS3_Lb0ENS6_6detail15normal_iteratorINS6_10device_ptrIjEEEESG_NSD_INSE_IS9_EEEESI_jNS0_19identity_decomposerENS1_16block_id_wrapperIjLb1EEEEE10hipError_tT1_PNSt15iterator_traitsISN_E10value_typeET2_T3_PNSO_IST_E10value_typeET4_T5_PSY_SZ_PNS1_23onesweep_lookback_stateEbbT6_jjT7_P12ihipStream_tbENKUlT_T0_SN_SS_E_clIPjSG_PS9_SI_EEDaS16_S17_SN_SS_EUlS16_E_NS1_11comp_targetILNS1_3genE2ELNS1_11target_archE906ELNS1_3gpuE6ELNS1_3repE0EEENS1_47radix_sort_onesweep_sort_config_static_selectorELNS0_4arch9wavefront6targetE1EEEvSN_, .Lfunc_end196-_ZN7rocprim17ROCPRIM_400000_NS6detail17trampoline_kernelINS0_14default_configENS1_35radix_sort_onesweep_config_selectorIjN6thrust23THRUST_200600_302600_NS5tupleIffNS6_9null_typeES8_S8_S8_S8_S8_S8_S8_EEEEZZNS1_29radix_sort_onesweep_iterationIS3_Lb0ENS6_6detail15normal_iteratorINS6_10device_ptrIjEEEESG_NSD_INSE_IS9_EEEESI_jNS0_19identity_decomposerENS1_16block_id_wrapperIjLb1EEEEE10hipError_tT1_PNSt15iterator_traitsISN_E10value_typeET2_T3_PNSO_IST_E10value_typeET4_T5_PSY_SZ_PNS1_23onesweep_lookback_stateEbbT6_jjT7_P12ihipStream_tbENKUlT_T0_SN_SS_E_clIPjSG_PS9_SI_EEDaS16_S17_SN_SS_EUlS16_E_NS1_11comp_targetILNS1_3genE2ELNS1_11target_archE906ELNS1_3gpuE6ELNS1_3repE0EEENS1_47radix_sort_onesweep_sort_config_static_selectorELNS0_4arch9wavefront6targetE1EEEvSN_
                                        ; -- End function
	.section	.AMDGPU.csdata,"",@progbits
; Kernel info:
; codeLenInByte = 0
; NumSgprs: 4
; NumVgprs: 0
; NumAgprs: 0
; TotalNumVgprs: 0
; ScratchSize: 0
; MemoryBound: 0
; FloatMode: 240
; IeeeMode: 1
; LDSByteSize: 0 bytes/workgroup (compile time only)
; SGPRBlocks: 0
; VGPRBlocks: 0
; NumSGPRsForWavesPerEU: 4
; NumVGPRsForWavesPerEU: 1
; AccumOffset: 4
; Occupancy: 8
; WaveLimiterHint : 0
; COMPUTE_PGM_RSRC2:SCRATCH_EN: 0
; COMPUTE_PGM_RSRC2:USER_SGPR: 6
; COMPUTE_PGM_RSRC2:TRAP_HANDLER: 0
; COMPUTE_PGM_RSRC2:TGID_X_EN: 1
; COMPUTE_PGM_RSRC2:TGID_Y_EN: 0
; COMPUTE_PGM_RSRC2:TGID_Z_EN: 0
; COMPUTE_PGM_RSRC2:TIDIG_COMP_CNT: 0
; COMPUTE_PGM_RSRC3_GFX90A:ACCUM_OFFSET: 0
; COMPUTE_PGM_RSRC3_GFX90A:TG_SPLIT: 0
	.section	.text._ZN7rocprim17ROCPRIM_400000_NS6detail17trampoline_kernelINS0_14default_configENS1_35radix_sort_onesweep_config_selectorIjN6thrust23THRUST_200600_302600_NS5tupleIffNS6_9null_typeES8_S8_S8_S8_S8_S8_S8_EEEEZZNS1_29radix_sort_onesweep_iterationIS3_Lb0ENS6_6detail15normal_iteratorINS6_10device_ptrIjEEEESG_NSD_INSE_IS9_EEEESI_jNS0_19identity_decomposerENS1_16block_id_wrapperIjLb1EEEEE10hipError_tT1_PNSt15iterator_traitsISN_E10value_typeET2_T3_PNSO_IST_E10value_typeET4_T5_PSY_SZ_PNS1_23onesweep_lookback_stateEbbT6_jjT7_P12ihipStream_tbENKUlT_T0_SN_SS_E_clIPjSG_PS9_SI_EEDaS16_S17_SN_SS_EUlS16_E_NS1_11comp_targetILNS1_3genE4ELNS1_11target_archE910ELNS1_3gpuE8ELNS1_3repE0EEENS1_47radix_sort_onesweep_sort_config_static_selectorELNS0_4arch9wavefront6targetE1EEEvSN_,"axG",@progbits,_ZN7rocprim17ROCPRIM_400000_NS6detail17trampoline_kernelINS0_14default_configENS1_35radix_sort_onesweep_config_selectorIjN6thrust23THRUST_200600_302600_NS5tupleIffNS6_9null_typeES8_S8_S8_S8_S8_S8_S8_EEEEZZNS1_29radix_sort_onesweep_iterationIS3_Lb0ENS6_6detail15normal_iteratorINS6_10device_ptrIjEEEESG_NSD_INSE_IS9_EEEESI_jNS0_19identity_decomposerENS1_16block_id_wrapperIjLb1EEEEE10hipError_tT1_PNSt15iterator_traitsISN_E10value_typeET2_T3_PNSO_IST_E10value_typeET4_T5_PSY_SZ_PNS1_23onesweep_lookback_stateEbbT6_jjT7_P12ihipStream_tbENKUlT_T0_SN_SS_E_clIPjSG_PS9_SI_EEDaS16_S17_SN_SS_EUlS16_E_NS1_11comp_targetILNS1_3genE4ELNS1_11target_archE910ELNS1_3gpuE8ELNS1_3repE0EEENS1_47radix_sort_onesweep_sort_config_static_selectorELNS0_4arch9wavefront6targetE1EEEvSN_,comdat
	.protected	_ZN7rocprim17ROCPRIM_400000_NS6detail17trampoline_kernelINS0_14default_configENS1_35radix_sort_onesweep_config_selectorIjN6thrust23THRUST_200600_302600_NS5tupleIffNS6_9null_typeES8_S8_S8_S8_S8_S8_S8_EEEEZZNS1_29radix_sort_onesweep_iterationIS3_Lb0ENS6_6detail15normal_iteratorINS6_10device_ptrIjEEEESG_NSD_INSE_IS9_EEEESI_jNS0_19identity_decomposerENS1_16block_id_wrapperIjLb1EEEEE10hipError_tT1_PNSt15iterator_traitsISN_E10value_typeET2_T3_PNSO_IST_E10value_typeET4_T5_PSY_SZ_PNS1_23onesweep_lookback_stateEbbT6_jjT7_P12ihipStream_tbENKUlT_T0_SN_SS_E_clIPjSG_PS9_SI_EEDaS16_S17_SN_SS_EUlS16_E_NS1_11comp_targetILNS1_3genE4ELNS1_11target_archE910ELNS1_3gpuE8ELNS1_3repE0EEENS1_47radix_sort_onesweep_sort_config_static_selectorELNS0_4arch9wavefront6targetE1EEEvSN_ ; -- Begin function _ZN7rocprim17ROCPRIM_400000_NS6detail17trampoline_kernelINS0_14default_configENS1_35radix_sort_onesweep_config_selectorIjN6thrust23THRUST_200600_302600_NS5tupleIffNS6_9null_typeES8_S8_S8_S8_S8_S8_S8_EEEEZZNS1_29radix_sort_onesweep_iterationIS3_Lb0ENS6_6detail15normal_iteratorINS6_10device_ptrIjEEEESG_NSD_INSE_IS9_EEEESI_jNS0_19identity_decomposerENS1_16block_id_wrapperIjLb1EEEEE10hipError_tT1_PNSt15iterator_traitsISN_E10value_typeET2_T3_PNSO_IST_E10value_typeET4_T5_PSY_SZ_PNS1_23onesweep_lookback_stateEbbT6_jjT7_P12ihipStream_tbENKUlT_T0_SN_SS_E_clIPjSG_PS9_SI_EEDaS16_S17_SN_SS_EUlS16_E_NS1_11comp_targetILNS1_3genE4ELNS1_11target_archE910ELNS1_3gpuE8ELNS1_3repE0EEENS1_47radix_sort_onesweep_sort_config_static_selectorELNS0_4arch9wavefront6targetE1EEEvSN_
	.globl	_ZN7rocprim17ROCPRIM_400000_NS6detail17trampoline_kernelINS0_14default_configENS1_35radix_sort_onesweep_config_selectorIjN6thrust23THRUST_200600_302600_NS5tupleIffNS6_9null_typeES8_S8_S8_S8_S8_S8_S8_EEEEZZNS1_29radix_sort_onesweep_iterationIS3_Lb0ENS6_6detail15normal_iteratorINS6_10device_ptrIjEEEESG_NSD_INSE_IS9_EEEESI_jNS0_19identity_decomposerENS1_16block_id_wrapperIjLb1EEEEE10hipError_tT1_PNSt15iterator_traitsISN_E10value_typeET2_T3_PNSO_IST_E10value_typeET4_T5_PSY_SZ_PNS1_23onesweep_lookback_stateEbbT6_jjT7_P12ihipStream_tbENKUlT_T0_SN_SS_E_clIPjSG_PS9_SI_EEDaS16_S17_SN_SS_EUlS16_E_NS1_11comp_targetILNS1_3genE4ELNS1_11target_archE910ELNS1_3gpuE8ELNS1_3repE0EEENS1_47radix_sort_onesweep_sort_config_static_selectorELNS0_4arch9wavefront6targetE1EEEvSN_
	.p2align	8
	.type	_ZN7rocprim17ROCPRIM_400000_NS6detail17trampoline_kernelINS0_14default_configENS1_35radix_sort_onesweep_config_selectorIjN6thrust23THRUST_200600_302600_NS5tupleIffNS6_9null_typeES8_S8_S8_S8_S8_S8_S8_EEEEZZNS1_29radix_sort_onesweep_iterationIS3_Lb0ENS6_6detail15normal_iteratorINS6_10device_ptrIjEEEESG_NSD_INSE_IS9_EEEESI_jNS0_19identity_decomposerENS1_16block_id_wrapperIjLb1EEEEE10hipError_tT1_PNSt15iterator_traitsISN_E10value_typeET2_T3_PNSO_IST_E10value_typeET4_T5_PSY_SZ_PNS1_23onesweep_lookback_stateEbbT6_jjT7_P12ihipStream_tbENKUlT_T0_SN_SS_E_clIPjSG_PS9_SI_EEDaS16_S17_SN_SS_EUlS16_E_NS1_11comp_targetILNS1_3genE4ELNS1_11target_archE910ELNS1_3gpuE8ELNS1_3repE0EEENS1_47radix_sort_onesweep_sort_config_static_selectorELNS0_4arch9wavefront6targetE1EEEvSN_,@function
_ZN7rocprim17ROCPRIM_400000_NS6detail17trampoline_kernelINS0_14default_configENS1_35radix_sort_onesweep_config_selectorIjN6thrust23THRUST_200600_302600_NS5tupleIffNS6_9null_typeES8_S8_S8_S8_S8_S8_S8_EEEEZZNS1_29radix_sort_onesweep_iterationIS3_Lb0ENS6_6detail15normal_iteratorINS6_10device_ptrIjEEEESG_NSD_INSE_IS9_EEEESI_jNS0_19identity_decomposerENS1_16block_id_wrapperIjLb1EEEEE10hipError_tT1_PNSt15iterator_traitsISN_E10value_typeET2_T3_PNSO_IST_E10value_typeET4_T5_PSY_SZ_PNS1_23onesweep_lookback_stateEbbT6_jjT7_P12ihipStream_tbENKUlT_T0_SN_SS_E_clIPjSG_PS9_SI_EEDaS16_S17_SN_SS_EUlS16_E_NS1_11comp_targetILNS1_3genE4ELNS1_11target_archE910ELNS1_3gpuE8ELNS1_3repE0EEENS1_47radix_sort_onesweep_sort_config_static_selectorELNS0_4arch9wavefront6targetE1EEEvSN_: ; @_ZN7rocprim17ROCPRIM_400000_NS6detail17trampoline_kernelINS0_14default_configENS1_35radix_sort_onesweep_config_selectorIjN6thrust23THRUST_200600_302600_NS5tupleIffNS6_9null_typeES8_S8_S8_S8_S8_S8_S8_EEEEZZNS1_29radix_sort_onesweep_iterationIS3_Lb0ENS6_6detail15normal_iteratorINS6_10device_ptrIjEEEESG_NSD_INSE_IS9_EEEESI_jNS0_19identity_decomposerENS1_16block_id_wrapperIjLb1EEEEE10hipError_tT1_PNSt15iterator_traitsISN_E10value_typeET2_T3_PNSO_IST_E10value_typeET4_T5_PSY_SZ_PNS1_23onesweep_lookback_stateEbbT6_jjT7_P12ihipStream_tbENKUlT_T0_SN_SS_E_clIPjSG_PS9_SI_EEDaS16_S17_SN_SS_EUlS16_E_NS1_11comp_targetILNS1_3genE4ELNS1_11target_archE910ELNS1_3gpuE8ELNS1_3repE0EEENS1_47radix_sort_onesweep_sort_config_static_selectorELNS0_4arch9wavefront6targetE1EEEvSN_
; %bb.0:
	s_load_dwordx4 s[52:55], s[4:5], 0x28
	s_load_dwordx2 s[42:43], s[4:5], 0x38
	s_load_dwordx4 s[56:59], s[4:5], 0x44
	v_and_b32_e32 v18, 0x3ff, v0
	v_cmp_eq_u32_e64 s[0:1], 0, v18
	s_and_saveexec_b64 s[2:3], s[0:1]
	s_cbranch_execz .LBB197_4
; %bb.1:
	s_mov_b64 s[10:11], exec
	v_mbcnt_lo_u32_b32 v1, s10, 0
	v_mbcnt_hi_u32_b32 v1, s11, v1
	v_cmp_eq_u32_e32 vcc, 0, v1
                                        ; implicit-def: $vgpr2
	s_and_saveexec_b64 s[8:9], vcc
	s_cbranch_execz .LBB197_3
; %bb.2:
	s_load_dwordx2 s[12:13], s[4:5], 0x50
	s_bcnt1_i32_b64 s7, s[10:11]
	v_mov_b32_e32 v2, 0
	v_mov_b32_e32 v3, s7
	s_waitcnt lgkmcnt(0)
	global_atomic_add v2, v2, v3, s[12:13] glc
.LBB197_3:
	s_or_b64 exec, exec, s[8:9]
	s_waitcnt vmcnt(0)
	v_readfirstlane_b32 s7, v2
	v_add_u32_e32 v1, s7, v1
	v_mov_b32_e32 v2, 0
	ds_write_b32 v2, v1 offset:10272
.LBB197_4:
	s_or_b64 exec, exec, s[2:3]
	v_mov_b32_e32 v1, 0
	s_load_dwordx8 s[44:51], s[4:5], 0x0
	s_load_dword s2, s[4:5], 0x20
	s_waitcnt lgkmcnt(0)
	s_barrier
	ds_read_b32 v1, v1 offset:10272
	v_mbcnt_lo_u32_b32 v19, -1, 0
	s_waitcnt lgkmcnt(0)
	s_barrier
	v_cmp_le_u32_e32 vcc, s58, v1
	v_readfirstlane_b32 s33, v1
	v_lshlrev_b32_e32 v1, 4, v18
	s_cbranch_vccz .LBB197_99
; %bb.5:
	s_lshl_b32 s3, s58, 13
	s_lshl_b32 s58, s33, 13
	s_mov_b32 s59, 0
	s_sub_i32 s7, s2, s3
	s_lshl_b64 s[2:3], s[58:59], 2
	v_mbcnt_hi_u32_b32 v6, -1, v19
	s_add_u32 s2, s44, s2
	v_and_b32_e32 v23, 63, v6
	s_addc_u32 s3, s45, s3
	v_lshlrev_b32_e32 v2, 2, v23
	v_and_b32_e32 v22, 0x3c00, v1
	v_mov_b32_e32 v3, s3
	v_add_co_u32_e32 v2, vcc, s2, v2
	v_addc_co_u32_e32 v3, vcc, 0, v3, vcc
	v_lshlrev_b32_e32 v4, 2, v22
	v_add_co_u32_e32 v2, vcc, v2, v4
	v_or_b32_e32 v4, v23, v22
	v_addc_co_u32_e32 v3, vcc, 0, v3, vcc
	v_cmp_gt_u32_e64 s[34:35], s7, v4
	v_mov_b32_e32 v24, -1
	v_mov_b32_e32 v25, -1
	s_and_saveexec_b64 s[2:3], s[34:35]
	s_cbranch_execz .LBB197_7
; %bb.6:
	global_load_dword v25, v[2:3], off
.LBB197_7:
	s_or_b64 exec, exec, s[2:3]
	v_or_b32_e32 v5, 64, v4
	v_cmp_gt_u32_e64 s[30:31], s7, v5
	v_mov_b32_e32 v26, -1
	s_and_saveexec_b64 s[2:3], s[30:31]
	s_cbranch_execz .LBB197_9
; %bb.8:
	global_load_dword v26, v[2:3], off offset:256
.LBB197_9:
	s_or_b64 exec, exec, s[2:3]
	v_or_b32_e32 v5, 0x80, v4
	v_cmp_gt_u32_e64 s[28:29], s7, v5
	s_and_saveexec_b64 s[2:3], s[28:29]
	s_cbranch_execz .LBB197_11
; %bb.10:
	global_load_dword v24, v[2:3], off offset:512
.LBB197_11:
	s_or_b64 exec, exec, s[2:3]
	v_or_b32_e32 v5, 0xc0, v4
	v_cmp_gt_u32_e64 s[26:27], s7, v5
	v_mov_b32_e32 v27, -1
	v_mov_b32_e32 v28, -1
	s_and_saveexec_b64 s[2:3], s[26:27]
	s_cbranch_execz .LBB197_13
; %bb.12:
	global_load_dword v28, v[2:3], off offset:768
.LBB197_13:
	s_or_b64 exec, exec, s[2:3]
	v_or_b32_e32 v5, 0x100, v4
	v_cmp_gt_u32_e64 s[24:25], s7, v5
	s_and_saveexec_b64 s[2:3], s[24:25]
	s_cbranch_execz .LBB197_15
; %bb.14:
	global_load_dword v27, v[2:3], off offset:1024
.LBB197_15:
	s_or_b64 exec, exec, s[2:3]
	v_or_b32_e32 v5, 0x140, v4
	v_cmp_gt_u32_e64 s[22:23], s7, v5
	v_mov_b32_e32 v29, -1
	;; [unrolled: 18-line block ×3, first 2 shown]
	v_mov_b32_e32 v32, -1
	s_and_saveexec_b64 s[2:3], s[18:19]
	s_cbranch_execz .LBB197_21
; %bb.20:
	global_load_dword v32, v[2:3], off offset:1792
.LBB197_21:
	s_or_b64 exec, exec, s[2:3]
	v_or_b32_e32 v5, 0x200, v4
	v_cmp_gt_u32_e32 vcc, s7, v5
	s_and_saveexec_b64 s[2:3], vcc
	s_cbranch_execz .LBB197_23
; %bb.22:
	global_load_dword v31, v[2:3], off offset:2048
.LBB197_23:
	s_or_b64 exec, exec, s[2:3]
	v_or_b32_e32 v5, 0x240, v4
	v_cmp_gt_u32_e64 s[16:17], s7, v5
	v_mov_b32_e32 v33, -1
	v_mov_b32_e32 v34, -1
	s_and_saveexec_b64 s[2:3], s[16:17]
	s_cbranch_execz .LBB197_25
; %bb.24:
	global_load_dword v34, v[2:3], off offset:2304
.LBB197_25:
	s_or_b64 exec, exec, s[2:3]
	v_or_b32_e32 v5, 0x280, v4
	v_cmp_gt_u32_e64 s[14:15], s7, v5
	s_and_saveexec_b64 s[2:3], s[14:15]
	s_cbranch_execz .LBB197_27
; %bb.26:
	global_load_dword v33, v[2:3], off offset:2560
.LBB197_27:
	s_or_b64 exec, exec, s[2:3]
	v_or_b32_e32 v5, 0x2c0, v4
	v_cmp_gt_u32_e64 s[12:13], s7, v5
	v_mov_b32_e32 v35, -1
	v_mov_b32_e32 v36, -1
	s_and_saveexec_b64 s[2:3], s[12:13]
	s_cbranch_execz .LBB197_29
; %bb.28:
	global_load_dword v36, v[2:3], off offset:2816
.LBB197_29:
	s_or_b64 exec, exec, s[2:3]
	v_or_b32_e32 v5, 0x300, v4
	v_cmp_gt_u32_e64 s[10:11], s7, v5
	s_and_saveexec_b64 s[2:3], s[10:11]
	;; [unrolled: 18-line block ×3, first 2 shown]
	s_cbranch_execz .LBB197_35
; %bb.34:
	global_load_dword v37, v[2:3], off offset:3584
.LBB197_35:
	s_or_b64 exec, exec, s[2:3]
	v_or_b32_e32 v4, 0x3c0, v4
	v_cmp_gt_u32_e64 s[2:3], s7, v4
	v_mov_b32_e32 v39, -1
	s_and_saveexec_b64 s[36:37], s[2:3]
	s_cbranch_execz .LBB197_37
; %bb.36:
	global_load_dword v39, v[2:3], off offset:3840
.LBB197_37:
	s_or_b64 exec, exec, s[36:37]
	s_load_dword s36, s[4:5], 0x64
	s_load_dword s68, s[4:5], 0x58
	s_add_u32 s37, s4, 0x58
	s_addc_u32 s40, s5, 0
	v_mov_b32_e32 v2, 0
	s_waitcnt lgkmcnt(0)
	s_lshr_b32 s41, s36, 16
	s_cmp_lt_u32 s6, s68
	s_cselect_b32 s36, 12, 18
	s_add_u32 s36, s37, s36
	s_addc_u32 s37, s40, 0
	global_load_ushort v4, v2, s[36:37]
	s_lshl_b32 s36, -1, s57
	s_waitcnt vmcnt(1)
	v_lshrrev_b32_e32 v8, s56, v25
	s_not_b32 s69, s36
	v_and_b32_e32 v8, s69, v8
	v_and_b32_e32 v10, 1, v8
	v_bfe_u32 v3, v0, 10, 10
	v_bfe_u32 v5, v0, 20, 10
	v_add_co_u32_e64 v11, s[36:37], -1, v10
	v_mad_u32_u24 v5, v5, s41, v3
	v_lshlrev_b32_e32 v3, 30, v8
	v_addc_co_u32_e64 v12, s[36:37], 0, -1, s[36:37]
	v_cmp_ne_u32_e64 s[36:37], 0, v10
	v_cmp_gt_i64_e64 s[40:41], 0, v[2:3]
	v_not_b32_e32 v10, v3
	v_lshlrev_b32_e32 v3, 29, v8
	v_xor_b32_e32 v12, s37, v12
	v_xor_b32_e32 v11, s36, v11
	v_ashrrev_i32_e32 v10, 31, v10
	v_cmp_gt_i64_e64 s[36:37], 0, v[2:3]
	v_not_b32_e32 v13, v3
	v_lshlrev_b32_e32 v3, 28, v8
	v_and_b32_e32 v12, exec_hi, v12
	v_and_b32_e32 v11, exec_lo, v11
	v_xor_b32_e32 v14, s41, v10
	v_xor_b32_e32 v10, s40, v10
	v_ashrrev_i32_e32 v13, 31, v13
	v_cmp_gt_i64_e64 s[40:41], 0, v[2:3]
	v_not_b32_e32 v15, v3
	v_lshlrev_b32_e32 v3, 27, v8
	v_and_b32_e32 v12, v12, v14
	v_and_b32_e32 v10, v11, v10
	v_xor_b32_e32 v11, s37, v13
	v_xor_b32_e32 v13, s36, v13
	v_ashrrev_i32_e32 v14, 31, v15
	v_cmp_gt_i64_e64 s[36:37], 0, v[2:3]
	v_not_b32_e32 v15, v3
	v_lshlrev_b32_e32 v3, 26, v8
	v_and_b32_e32 v11, v12, v11
	v_and_b32_e32 v10, v10, v13
	;; [unrolled: 8-line block ×3, first 2 shown]
	v_xor_b32_e32 v12, s37, v14
	v_xor_b32_e32 v13, s36, v14
	v_ashrrev_i32_e32 v14, 31, v15
	v_cmp_gt_i64_e64 s[36:37], 0, v[2:3]
	v_not_b32_e32 v15, v3
	v_lshlrev_b32_e32 v3, 24, v8
	v_lshl_add_u32 v9, v8, 3, v8
	v_and_b32_e32 v8, v11, v12
	v_and_b32_e32 v10, v10, v13
	v_xor_b32_e32 v11, s41, v14
	v_xor_b32_e32 v12, s40, v14
	v_ashrrev_i32_e32 v13, 31, v15
	v_cmp_gt_i64_e64 s[40:41], 0, v[2:3]
	v_not_b32_e32 v3, v3
	v_and_b32_e32 v8, v8, v11
	v_and_b32_e32 v10, v10, v12
	v_xor_b32_e32 v11, s37, v13
	v_xor_b32_e32 v12, s36, v13
	v_ashrrev_i32_e32 v3, 31, v3
	v_and_b32_e32 v8, v8, v11
	v_and_b32_e32 v10, v10, v12
	v_mul_u32_u24_e32 v7, 5, v18
	v_lshlrev_b32_e32 v7, 2, v7
	ds_write2_b32 v7, v2, v2 offset0:8 offset1:9
	ds_write2_b32 v7, v2, v2 offset0:10 offset1:11
	ds_write_b32 v7, v2 offset:48
	s_waitcnt lgkmcnt(0)
	s_barrier
	s_waitcnt lgkmcnt(0)
	; wave barrier
	s_waitcnt vmcnt(0)
	v_mad_u64_u32 v[4:5], s[36:37], v5, v4, v[18:19]
	v_lshrrev_b32_e32 v21, 6, v4
	v_xor_b32_e32 v4, s41, v3
	v_xor_b32_e32 v3, s40, v3
	v_and_b32_e32 v5, v8, v4
	v_and_b32_e32 v4, v10, v3
	v_mbcnt_lo_u32_b32 v3, v4, 0
	v_mbcnt_hi_u32_b32 v8, v5, v3
	v_cmp_eq_u32_e64 s[36:37], 0, v8
	v_cmp_ne_u64_e64 s[40:41], 0, v[4:5]
	v_add_lshl_u32 v12, v21, v9, 2
	s_and_b64 s[40:41], s[40:41], s[36:37]
	s_and_saveexec_b64 s[36:37], s[40:41]
	s_cbranch_execz .LBB197_39
; %bb.38:
	v_bcnt_u32_b32 v3, v4, 0
	v_bcnt_u32_b32 v3, v5, v3
	ds_write_b32 v12, v3 offset:32
.LBB197_39:
	s_or_b64 exec, exec, s[36:37]
	v_lshrrev_b32_e32 v3, s56, v26
	v_and_b32_e32 v4, s69, v3
	v_lshl_add_u32 v3, v4, 3, v4
	v_add_lshl_u32 v13, v21, v3, 2
	v_and_b32_e32 v3, 1, v4
	v_add_co_u32_e64 v5, s[36:37], -1, v3
	v_addc_co_u32_e64 v10, s[36:37], 0, -1, s[36:37]
	v_cmp_ne_u32_e64 s[36:37], 0, v3
	v_xor_b32_e32 v3, s37, v10
	v_and_b32_e32 v10, exec_hi, v3
	v_lshlrev_b32_e32 v3, 30, v4
	v_xor_b32_e32 v5, s36, v5
	v_cmp_gt_i64_e64 s[36:37], 0, v[2:3]
	v_not_b32_e32 v3, v3
	v_ashrrev_i32_e32 v3, 31, v3
	v_and_b32_e32 v5, exec_lo, v5
	v_xor_b32_e32 v11, s37, v3
	v_xor_b32_e32 v3, s36, v3
	v_and_b32_e32 v5, v5, v3
	v_lshlrev_b32_e32 v3, 29, v4
	v_cmp_gt_i64_e64 s[36:37], 0, v[2:3]
	v_not_b32_e32 v3, v3
	v_ashrrev_i32_e32 v3, 31, v3
	v_and_b32_e32 v10, v10, v11
	v_xor_b32_e32 v11, s37, v3
	v_xor_b32_e32 v3, s36, v3
	v_and_b32_e32 v5, v5, v3
	v_lshlrev_b32_e32 v3, 28, v4
	v_cmp_gt_i64_e64 s[36:37], 0, v[2:3]
	v_not_b32_e32 v3, v3
	v_ashrrev_i32_e32 v3, 31, v3
	v_and_b32_e32 v10, v10, v11
	;; [unrolled: 8-line block ×5, first 2 shown]
	v_xor_b32_e32 v11, s37, v3
	v_xor_b32_e32 v3, s36, v3
	v_and_b32_e32 v5, v5, v3
	v_lshlrev_b32_e32 v3, 24, v4
	v_cmp_gt_i64_e64 s[36:37], 0, v[2:3]
	v_not_b32_e32 v2, v3
	v_ashrrev_i32_e32 v2, 31, v2
	v_xor_b32_e32 v3, s37, v2
	v_xor_b32_e32 v2, s36, v2
	; wave barrier
	ds_read_b32 v9, v13 offset:32
	v_and_b32_e32 v10, v10, v11
	v_and_b32_e32 v2, v5, v2
	;; [unrolled: 1-line block ×3, first 2 shown]
	v_mbcnt_lo_u32_b32 v4, v2, 0
	v_mbcnt_hi_u32_b32 v10, v3, v4
	v_cmp_eq_u32_e64 s[36:37], 0, v10
	v_cmp_ne_u64_e64 s[40:41], 0, v[2:3]
	s_and_b64 s[40:41], s[40:41], s[36:37]
	; wave barrier
	s_and_saveexec_b64 s[36:37], s[40:41]
	s_cbranch_execz .LBB197_41
; %bb.40:
	v_bcnt_u32_b32 v2, v2, 0
	v_bcnt_u32_b32 v2, v3, v2
	s_waitcnt lgkmcnt(0)
	v_add_u32_e32 v2, v9, v2
	ds_write_b32 v13, v2 offset:32
.LBB197_41:
	s_or_b64 exec, exec, s[36:37]
	v_lshrrev_b32_e32 v2, s56, v24
	v_and_b32_e32 v4, s69, v2
	v_and_b32_e32 v3, 1, v4
	v_add_co_u32_e64 v5, s[36:37], -1, v3
	v_addc_co_u32_e64 v14, s[36:37], 0, -1, s[36:37]
	v_cmp_ne_u32_e64 s[36:37], 0, v3
	v_lshl_add_u32 v2, v4, 3, v4
	v_xor_b32_e32 v3, s37, v14
	v_add_lshl_u32 v16, v21, v2, 2
	v_mov_b32_e32 v2, 0
	v_and_b32_e32 v14, exec_hi, v3
	v_lshlrev_b32_e32 v3, 30, v4
	v_xor_b32_e32 v5, s36, v5
	v_cmp_gt_i64_e64 s[36:37], 0, v[2:3]
	v_not_b32_e32 v3, v3
	v_ashrrev_i32_e32 v3, 31, v3
	v_and_b32_e32 v5, exec_lo, v5
	v_xor_b32_e32 v15, s37, v3
	v_xor_b32_e32 v3, s36, v3
	v_and_b32_e32 v5, v5, v3
	v_lshlrev_b32_e32 v3, 29, v4
	v_cmp_gt_i64_e64 s[36:37], 0, v[2:3]
	v_not_b32_e32 v3, v3
	v_ashrrev_i32_e32 v3, 31, v3
	v_and_b32_e32 v14, v14, v15
	v_xor_b32_e32 v15, s37, v3
	v_xor_b32_e32 v3, s36, v3
	v_and_b32_e32 v5, v5, v3
	v_lshlrev_b32_e32 v3, 28, v4
	v_cmp_gt_i64_e64 s[36:37], 0, v[2:3]
	v_not_b32_e32 v3, v3
	v_ashrrev_i32_e32 v3, 31, v3
	v_and_b32_e32 v14, v14, v15
	v_xor_b32_e32 v15, s37, v3
	v_xor_b32_e32 v3, s36, v3
	v_and_b32_e32 v5, v5, v3
	v_lshlrev_b32_e32 v3, 27, v4
	v_cmp_gt_i64_e64 s[36:37], 0, v[2:3]
	v_not_b32_e32 v3, v3
	v_ashrrev_i32_e32 v3, 31, v3
	v_and_b32_e32 v14, v14, v15
	v_xor_b32_e32 v15, s37, v3
	v_xor_b32_e32 v3, s36, v3
	v_and_b32_e32 v5, v5, v3
	v_lshlrev_b32_e32 v3, 26, v4
	v_cmp_gt_i64_e64 s[36:37], 0, v[2:3]
	v_not_b32_e32 v3, v3
	v_ashrrev_i32_e32 v3, 31, v3
	v_and_b32_e32 v14, v14, v15
	v_xor_b32_e32 v15, s37, v3
	v_xor_b32_e32 v3, s36, v3
	v_and_b32_e32 v5, v5, v3
	v_lshlrev_b32_e32 v3, 25, v4
	v_cmp_gt_i64_e64 s[36:37], 0, v[2:3]
	v_not_b32_e32 v3, v3
	v_ashrrev_i32_e32 v3, 31, v3
	v_and_b32_e32 v14, v14, v15
	v_xor_b32_e32 v15, s37, v3
	v_xor_b32_e32 v3, s36, v3
	v_and_b32_e32 v14, v14, v15
	v_and_b32_e32 v15, v5, v3
	v_lshlrev_b32_e32 v3, 24, v4
	v_cmp_gt_i64_e64 s[36:37], 0, v[2:3]
	v_not_b32_e32 v3, v3
	v_ashrrev_i32_e32 v3, 31, v3
	v_xor_b32_e32 v4, s37, v3
	v_xor_b32_e32 v3, s36, v3
	; wave barrier
	ds_read_b32 v11, v16 offset:32
	v_and_b32_e32 v5, v14, v4
	v_and_b32_e32 v4, v15, v3
	v_mbcnt_lo_u32_b32 v3, v4, 0
	v_mbcnt_hi_u32_b32 v14, v5, v3
	v_cmp_eq_u32_e64 s[36:37], 0, v14
	v_cmp_ne_u64_e64 s[40:41], 0, v[4:5]
	s_and_b64 s[40:41], s[40:41], s[36:37]
	; wave barrier
	s_and_saveexec_b64 s[36:37], s[40:41]
	s_cbranch_execz .LBB197_43
; %bb.42:
	v_bcnt_u32_b32 v3, v4, 0
	v_bcnt_u32_b32 v3, v5, v3
	s_waitcnt lgkmcnt(0)
	v_add_u32_e32 v3, v11, v3
	ds_write_b32 v16, v3 offset:32
.LBB197_43:
	s_or_b64 exec, exec, s[36:37]
	v_lshrrev_b32_e32 v3, s56, v28
	v_and_b32_e32 v4, s69, v3
	v_lshl_add_u32 v3, v4, 3, v4
	v_add_lshl_u32 v40, v21, v3, 2
	v_and_b32_e32 v3, 1, v4
	v_add_co_u32_e64 v5, s[36:37], -1, v3
	v_addc_co_u32_e64 v17, s[36:37], 0, -1, s[36:37]
	v_cmp_ne_u32_e64 s[36:37], 0, v3
	v_xor_b32_e32 v3, s37, v17
	v_and_b32_e32 v17, exec_hi, v3
	v_lshlrev_b32_e32 v3, 30, v4
	v_xor_b32_e32 v5, s36, v5
	v_cmp_gt_i64_e64 s[36:37], 0, v[2:3]
	v_not_b32_e32 v3, v3
	v_ashrrev_i32_e32 v3, 31, v3
	v_and_b32_e32 v5, exec_lo, v5
	v_xor_b32_e32 v20, s37, v3
	v_xor_b32_e32 v3, s36, v3
	v_and_b32_e32 v5, v5, v3
	v_lshlrev_b32_e32 v3, 29, v4
	v_cmp_gt_i64_e64 s[36:37], 0, v[2:3]
	v_not_b32_e32 v3, v3
	v_ashrrev_i32_e32 v3, 31, v3
	v_and_b32_e32 v17, v17, v20
	v_xor_b32_e32 v20, s37, v3
	v_xor_b32_e32 v3, s36, v3
	v_and_b32_e32 v5, v5, v3
	v_lshlrev_b32_e32 v3, 28, v4
	v_cmp_gt_i64_e64 s[36:37], 0, v[2:3]
	v_not_b32_e32 v3, v3
	v_ashrrev_i32_e32 v3, 31, v3
	v_and_b32_e32 v17, v17, v20
	;; [unrolled: 8-line block ×5, first 2 shown]
	v_xor_b32_e32 v20, s37, v3
	v_xor_b32_e32 v3, s36, v3
	v_and_b32_e32 v5, v5, v3
	v_lshlrev_b32_e32 v3, 24, v4
	v_cmp_gt_i64_e64 s[36:37], 0, v[2:3]
	v_not_b32_e32 v2, v3
	v_ashrrev_i32_e32 v2, 31, v2
	v_xor_b32_e32 v3, s37, v2
	v_xor_b32_e32 v2, s36, v2
	; wave barrier
	ds_read_b32 v15, v40 offset:32
	v_and_b32_e32 v17, v17, v20
	v_and_b32_e32 v2, v5, v2
	;; [unrolled: 1-line block ×3, first 2 shown]
	v_mbcnt_lo_u32_b32 v4, v2, 0
	v_mbcnt_hi_u32_b32 v17, v3, v4
	v_cmp_eq_u32_e64 s[36:37], 0, v17
	v_cmp_ne_u64_e64 s[40:41], 0, v[2:3]
	s_and_b64 s[40:41], s[40:41], s[36:37]
	; wave barrier
	s_and_saveexec_b64 s[36:37], s[40:41]
	s_cbranch_execz .LBB197_45
; %bb.44:
	v_bcnt_u32_b32 v2, v2, 0
	v_bcnt_u32_b32 v2, v3, v2
	s_waitcnt lgkmcnt(0)
	v_add_u32_e32 v2, v15, v2
	ds_write_b32 v40, v2 offset:32
.LBB197_45:
	s_or_b64 exec, exec, s[36:37]
	v_lshrrev_b32_e32 v2, s56, v27
	v_and_b32_e32 v4, s69, v2
	v_and_b32_e32 v3, 1, v4
	v_add_co_u32_e64 v5, s[36:37], -1, v3
	v_addc_co_u32_e64 v41, s[36:37], 0, -1, s[36:37]
	v_cmp_ne_u32_e64 s[36:37], 0, v3
	v_lshl_add_u32 v2, v4, 3, v4
	v_xor_b32_e32 v3, s37, v41
	v_add_lshl_u32 v43, v21, v2, 2
	v_mov_b32_e32 v2, 0
	v_and_b32_e32 v41, exec_hi, v3
	v_lshlrev_b32_e32 v3, 30, v4
	v_xor_b32_e32 v5, s36, v5
	v_cmp_gt_i64_e64 s[36:37], 0, v[2:3]
	v_not_b32_e32 v3, v3
	v_ashrrev_i32_e32 v3, 31, v3
	v_and_b32_e32 v5, exec_lo, v5
	v_xor_b32_e32 v42, s37, v3
	v_xor_b32_e32 v3, s36, v3
	v_and_b32_e32 v5, v5, v3
	v_lshlrev_b32_e32 v3, 29, v4
	v_cmp_gt_i64_e64 s[36:37], 0, v[2:3]
	v_not_b32_e32 v3, v3
	v_ashrrev_i32_e32 v3, 31, v3
	v_and_b32_e32 v41, v41, v42
	v_xor_b32_e32 v42, s37, v3
	v_xor_b32_e32 v3, s36, v3
	v_and_b32_e32 v5, v5, v3
	v_lshlrev_b32_e32 v3, 28, v4
	v_cmp_gt_i64_e64 s[36:37], 0, v[2:3]
	v_not_b32_e32 v3, v3
	v_ashrrev_i32_e32 v3, 31, v3
	v_and_b32_e32 v41, v41, v42
	;; [unrolled: 8-line block ×5, first 2 shown]
	v_xor_b32_e32 v42, s37, v3
	v_xor_b32_e32 v3, s36, v3
	v_and_b32_e32 v41, v41, v42
	v_and_b32_e32 v42, v5, v3
	v_lshlrev_b32_e32 v3, 24, v4
	v_cmp_gt_i64_e64 s[36:37], 0, v[2:3]
	v_not_b32_e32 v3, v3
	v_ashrrev_i32_e32 v3, 31, v3
	v_xor_b32_e32 v4, s37, v3
	v_xor_b32_e32 v3, s36, v3
	; wave barrier
	ds_read_b32 v20, v43 offset:32
	v_and_b32_e32 v5, v41, v4
	v_and_b32_e32 v4, v42, v3
	v_mbcnt_lo_u32_b32 v3, v4, 0
	v_mbcnt_hi_u32_b32 v41, v5, v3
	v_cmp_eq_u32_e64 s[36:37], 0, v41
	v_cmp_ne_u64_e64 s[40:41], 0, v[4:5]
	s_and_b64 s[40:41], s[40:41], s[36:37]
	; wave barrier
	s_and_saveexec_b64 s[36:37], s[40:41]
	s_cbranch_execz .LBB197_47
; %bb.46:
	v_bcnt_u32_b32 v3, v4, 0
	v_bcnt_u32_b32 v3, v5, v3
	s_waitcnt lgkmcnt(0)
	v_add_u32_e32 v3, v20, v3
	ds_write_b32 v43, v3 offset:32
.LBB197_47:
	s_or_b64 exec, exec, s[36:37]
	v_lshrrev_b32_e32 v3, s56, v30
	v_and_b32_e32 v4, s69, v3
	v_lshl_add_u32 v3, v4, 3, v4
	v_add_lshl_u32 v46, v21, v3, 2
	v_and_b32_e32 v3, 1, v4
	v_add_co_u32_e64 v5, s[36:37], -1, v3
	v_addc_co_u32_e64 v44, s[36:37], 0, -1, s[36:37]
	v_cmp_ne_u32_e64 s[36:37], 0, v3
	v_xor_b32_e32 v3, s37, v44
	v_and_b32_e32 v44, exec_hi, v3
	v_lshlrev_b32_e32 v3, 30, v4
	v_xor_b32_e32 v5, s36, v5
	v_cmp_gt_i64_e64 s[36:37], 0, v[2:3]
	v_not_b32_e32 v3, v3
	v_ashrrev_i32_e32 v3, 31, v3
	v_and_b32_e32 v5, exec_lo, v5
	v_xor_b32_e32 v45, s37, v3
	v_xor_b32_e32 v3, s36, v3
	v_and_b32_e32 v5, v5, v3
	v_lshlrev_b32_e32 v3, 29, v4
	v_cmp_gt_i64_e64 s[36:37], 0, v[2:3]
	v_not_b32_e32 v3, v3
	v_ashrrev_i32_e32 v3, 31, v3
	v_and_b32_e32 v44, v44, v45
	v_xor_b32_e32 v45, s37, v3
	v_xor_b32_e32 v3, s36, v3
	v_and_b32_e32 v5, v5, v3
	v_lshlrev_b32_e32 v3, 28, v4
	v_cmp_gt_i64_e64 s[36:37], 0, v[2:3]
	v_not_b32_e32 v3, v3
	v_ashrrev_i32_e32 v3, 31, v3
	v_and_b32_e32 v44, v44, v45
	;; [unrolled: 8-line block ×5, first 2 shown]
	v_xor_b32_e32 v45, s37, v3
	v_xor_b32_e32 v3, s36, v3
	v_and_b32_e32 v5, v5, v3
	v_lshlrev_b32_e32 v3, 24, v4
	v_cmp_gt_i64_e64 s[36:37], 0, v[2:3]
	v_not_b32_e32 v2, v3
	v_ashrrev_i32_e32 v2, 31, v2
	v_xor_b32_e32 v3, s37, v2
	v_xor_b32_e32 v2, s36, v2
	; wave barrier
	ds_read_b32 v42, v46 offset:32
	v_and_b32_e32 v44, v44, v45
	v_and_b32_e32 v2, v5, v2
	;; [unrolled: 1-line block ×3, first 2 shown]
	v_mbcnt_lo_u32_b32 v4, v2, 0
	v_mbcnt_hi_u32_b32 v44, v3, v4
	v_cmp_eq_u32_e64 s[36:37], 0, v44
	v_cmp_ne_u64_e64 s[40:41], 0, v[2:3]
	s_and_b64 s[40:41], s[40:41], s[36:37]
	; wave barrier
	s_and_saveexec_b64 s[36:37], s[40:41]
	s_cbranch_execz .LBB197_49
; %bb.48:
	v_bcnt_u32_b32 v2, v2, 0
	v_bcnt_u32_b32 v2, v3, v2
	s_waitcnt lgkmcnt(0)
	v_add_u32_e32 v2, v42, v2
	ds_write_b32 v46, v2 offset:32
.LBB197_49:
	s_or_b64 exec, exec, s[36:37]
	v_lshrrev_b32_e32 v2, s56, v29
	v_and_b32_e32 v4, s69, v2
	v_and_b32_e32 v3, 1, v4
	v_add_co_u32_e64 v5, s[36:37], -1, v3
	v_addc_co_u32_e64 v47, s[36:37], 0, -1, s[36:37]
	v_cmp_ne_u32_e64 s[36:37], 0, v3
	v_lshl_add_u32 v2, v4, 3, v4
	v_xor_b32_e32 v3, s37, v47
	v_add_lshl_u32 v49, v21, v2, 2
	v_mov_b32_e32 v2, 0
	v_and_b32_e32 v47, exec_hi, v3
	v_lshlrev_b32_e32 v3, 30, v4
	v_xor_b32_e32 v5, s36, v5
	v_cmp_gt_i64_e64 s[36:37], 0, v[2:3]
	v_not_b32_e32 v3, v3
	v_ashrrev_i32_e32 v3, 31, v3
	v_and_b32_e32 v5, exec_lo, v5
	v_xor_b32_e32 v48, s37, v3
	v_xor_b32_e32 v3, s36, v3
	v_and_b32_e32 v5, v5, v3
	v_lshlrev_b32_e32 v3, 29, v4
	v_cmp_gt_i64_e64 s[36:37], 0, v[2:3]
	v_not_b32_e32 v3, v3
	v_ashrrev_i32_e32 v3, 31, v3
	v_and_b32_e32 v47, v47, v48
	v_xor_b32_e32 v48, s37, v3
	v_xor_b32_e32 v3, s36, v3
	v_and_b32_e32 v5, v5, v3
	v_lshlrev_b32_e32 v3, 28, v4
	v_cmp_gt_i64_e64 s[36:37], 0, v[2:3]
	v_not_b32_e32 v3, v3
	v_ashrrev_i32_e32 v3, 31, v3
	v_and_b32_e32 v47, v47, v48
	;; [unrolled: 8-line block ×5, first 2 shown]
	v_xor_b32_e32 v48, s37, v3
	v_xor_b32_e32 v3, s36, v3
	v_and_b32_e32 v47, v47, v48
	v_and_b32_e32 v48, v5, v3
	v_lshlrev_b32_e32 v3, 24, v4
	v_cmp_gt_i64_e64 s[36:37], 0, v[2:3]
	v_not_b32_e32 v3, v3
	v_ashrrev_i32_e32 v3, 31, v3
	v_xor_b32_e32 v4, s37, v3
	v_xor_b32_e32 v3, s36, v3
	; wave barrier
	ds_read_b32 v45, v49 offset:32
	v_and_b32_e32 v5, v47, v4
	v_and_b32_e32 v4, v48, v3
	v_mbcnt_lo_u32_b32 v3, v4, 0
	v_mbcnt_hi_u32_b32 v47, v5, v3
	v_cmp_eq_u32_e64 s[36:37], 0, v47
	v_cmp_ne_u64_e64 s[40:41], 0, v[4:5]
	s_and_b64 s[40:41], s[40:41], s[36:37]
	; wave barrier
	s_and_saveexec_b64 s[36:37], s[40:41]
	s_cbranch_execz .LBB197_51
; %bb.50:
	v_bcnt_u32_b32 v3, v4, 0
	v_bcnt_u32_b32 v3, v5, v3
	s_waitcnt lgkmcnt(0)
	v_add_u32_e32 v3, v45, v3
	ds_write_b32 v49, v3 offset:32
.LBB197_51:
	s_or_b64 exec, exec, s[36:37]
	v_lshrrev_b32_e32 v3, s56, v32
	v_and_b32_e32 v4, s69, v3
	v_lshl_add_u32 v3, v4, 3, v4
	v_add_lshl_u32 v52, v21, v3, 2
	v_and_b32_e32 v3, 1, v4
	v_add_co_u32_e64 v5, s[36:37], -1, v3
	v_addc_co_u32_e64 v50, s[36:37], 0, -1, s[36:37]
	v_cmp_ne_u32_e64 s[36:37], 0, v3
	v_xor_b32_e32 v3, s37, v50
	v_and_b32_e32 v50, exec_hi, v3
	v_lshlrev_b32_e32 v3, 30, v4
	v_xor_b32_e32 v5, s36, v5
	v_cmp_gt_i64_e64 s[36:37], 0, v[2:3]
	v_not_b32_e32 v3, v3
	v_ashrrev_i32_e32 v3, 31, v3
	v_and_b32_e32 v5, exec_lo, v5
	v_xor_b32_e32 v51, s37, v3
	v_xor_b32_e32 v3, s36, v3
	v_and_b32_e32 v5, v5, v3
	v_lshlrev_b32_e32 v3, 29, v4
	v_cmp_gt_i64_e64 s[36:37], 0, v[2:3]
	v_not_b32_e32 v3, v3
	v_ashrrev_i32_e32 v3, 31, v3
	v_and_b32_e32 v50, v50, v51
	v_xor_b32_e32 v51, s37, v3
	v_xor_b32_e32 v3, s36, v3
	v_and_b32_e32 v5, v5, v3
	v_lshlrev_b32_e32 v3, 28, v4
	v_cmp_gt_i64_e64 s[36:37], 0, v[2:3]
	v_not_b32_e32 v3, v3
	v_ashrrev_i32_e32 v3, 31, v3
	v_and_b32_e32 v50, v50, v51
	;; [unrolled: 8-line block ×5, first 2 shown]
	v_xor_b32_e32 v51, s37, v3
	v_xor_b32_e32 v3, s36, v3
	v_and_b32_e32 v5, v5, v3
	v_lshlrev_b32_e32 v3, 24, v4
	v_cmp_gt_i64_e64 s[36:37], 0, v[2:3]
	v_not_b32_e32 v2, v3
	v_ashrrev_i32_e32 v2, 31, v2
	v_xor_b32_e32 v3, s37, v2
	v_xor_b32_e32 v2, s36, v2
	; wave barrier
	ds_read_b32 v48, v52 offset:32
	v_and_b32_e32 v50, v50, v51
	v_and_b32_e32 v2, v5, v2
	;; [unrolled: 1-line block ×3, first 2 shown]
	v_mbcnt_lo_u32_b32 v4, v2, 0
	v_mbcnt_hi_u32_b32 v50, v3, v4
	v_cmp_eq_u32_e64 s[36:37], 0, v50
	v_cmp_ne_u64_e64 s[40:41], 0, v[2:3]
	s_and_b64 s[40:41], s[40:41], s[36:37]
	; wave barrier
	s_and_saveexec_b64 s[36:37], s[40:41]
	s_cbranch_execz .LBB197_53
; %bb.52:
	v_bcnt_u32_b32 v2, v2, 0
	v_bcnt_u32_b32 v2, v3, v2
	s_waitcnt lgkmcnt(0)
	v_add_u32_e32 v2, v48, v2
	ds_write_b32 v52, v2 offset:32
.LBB197_53:
	s_or_b64 exec, exec, s[36:37]
	v_lshrrev_b32_e32 v2, s56, v31
	v_and_b32_e32 v4, s69, v2
	v_and_b32_e32 v3, 1, v4
	v_add_co_u32_e64 v5, s[36:37], -1, v3
	v_addc_co_u32_e64 v53, s[36:37], 0, -1, s[36:37]
	v_cmp_ne_u32_e64 s[36:37], 0, v3
	v_lshl_add_u32 v2, v4, 3, v4
	v_xor_b32_e32 v3, s37, v53
	v_add_lshl_u32 v55, v21, v2, 2
	v_mov_b32_e32 v2, 0
	v_and_b32_e32 v53, exec_hi, v3
	v_lshlrev_b32_e32 v3, 30, v4
	v_xor_b32_e32 v5, s36, v5
	v_cmp_gt_i64_e64 s[36:37], 0, v[2:3]
	v_not_b32_e32 v3, v3
	v_ashrrev_i32_e32 v3, 31, v3
	v_and_b32_e32 v5, exec_lo, v5
	v_xor_b32_e32 v54, s37, v3
	v_xor_b32_e32 v3, s36, v3
	v_and_b32_e32 v5, v5, v3
	v_lshlrev_b32_e32 v3, 29, v4
	v_cmp_gt_i64_e64 s[36:37], 0, v[2:3]
	v_not_b32_e32 v3, v3
	v_ashrrev_i32_e32 v3, 31, v3
	v_and_b32_e32 v53, v53, v54
	v_xor_b32_e32 v54, s37, v3
	v_xor_b32_e32 v3, s36, v3
	v_and_b32_e32 v5, v5, v3
	v_lshlrev_b32_e32 v3, 28, v4
	v_cmp_gt_i64_e64 s[36:37], 0, v[2:3]
	v_not_b32_e32 v3, v3
	v_ashrrev_i32_e32 v3, 31, v3
	v_and_b32_e32 v53, v53, v54
	v_xor_b32_e32 v54, s37, v3
	v_xor_b32_e32 v3, s36, v3
	v_and_b32_e32 v5, v5, v3
	v_lshlrev_b32_e32 v3, 27, v4
	v_cmp_gt_i64_e64 s[36:37], 0, v[2:3]
	v_not_b32_e32 v3, v3
	v_ashrrev_i32_e32 v3, 31, v3
	v_and_b32_e32 v53, v53, v54
	v_xor_b32_e32 v54, s37, v3
	v_xor_b32_e32 v3, s36, v3
	v_and_b32_e32 v5, v5, v3
	v_lshlrev_b32_e32 v3, 26, v4
	v_cmp_gt_i64_e64 s[36:37], 0, v[2:3]
	v_not_b32_e32 v3, v3
	v_ashrrev_i32_e32 v3, 31, v3
	v_and_b32_e32 v53, v53, v54
	v_xor_b32_e32 v54, s37, v3
	v_xor_b32_e32 v3, s36, v3
	v_and_b32_e32 v5, v5, v3
	v_lshlrev_b32_e32 v3, 25, v4
	v_cmp_gt_i64_e64 s[36:37], 0, v[2:3]
	v_not_b32_e32 v3, v3
	v_ashrrev_i32_e32 v3, 31, v3
	v_and_b32_e32 v53, v53, v54
	v_xor_b32_e32 v54, s37, v3
	v_xor_b32_e32 v3, s36, v3
	v_and_b32_e32 v53, v53, v54
	v_and_b32_e32 v54, v5, v3
	v_lshlrev_b32_e32 v3, 24, v4
	v_cmp_gt_i64_e64 s[36:37], 0, v[2:3]
	v_not_b32_e32 v3, v3
	v_ashrrev_i32_e32 v3, 31, v3
	v_xor_b32_e32 v4, s37, v3
	v_xor_b32_e32 v3, s36, v3
	; wave barrier
	ds_read_b32 v51, v55 offset:32
	v_and_b32_e32 v5, v53, v4
	v_and_b32_e32 v4, v54, v3
	v_mbcnt_lo_u32_b32 v3, v4, 0
	v_mbcnt_hi_u32_b32 v53, v5, v3
	v_cmp_eq_u32_e64 s[36:37], 0, v53
	v_cmp_ne_u64_e64 s[40:41], 0, v[4:5]
	s_and_b64 s[40:41], s[40:41], s[36:37]
	; wave barrier
	s_and_saveexec_b64 s[36:37], s[40:41]
	s_cbranch_execz .LBB197_55
; %bb.54:
	v_bcnt_u32_b32 v3, v4, 0
	v_bcnt_u32_b32 v3, v5, v3
	s_waitcnt lgkmcnt(0)
	v_add_u32_e32 v3, v51, v3
	ds_write_b32 v55, v3 offset:32
.LBB197_55:
	s_or_b64 exec, exec, s[36:37]
	v_lshrrev_b32_e32 v3, s56, v34
	v_and_b32_e32 v4, s69, v3
	v_lshl_add_u32 v3, v4, 3, v4
	v_add_lshl_u32 v58, v21, v3, 2
	v_and_b32_e32 v3, 1, v4
	v_add_co_u32_e64 v5, s[36:37], -1, v3
	v_addc_co_u32_e64 v56, s[36:37], 0, -1, s[36:37]
	v_cmp_ne_u32_e64 s[36:37], 0, v3
	v_xor_b32_e32 v3, s37, v56
	v_and_b32_e32 v56, exec_hi, v3
	v_lshlrev_b32_e32 v3, 30, v4
	v_xor_b32_e32 v5, s36, v5
	v_cmp_gt_i64_e64 s[36:37], 0, v[2:3]
	v_not_b32_e32 v3, v3
	v_ashrrev_i32_e32 v3, 31, v3
	v_and_b32_e32 v5, exec_lo, v5
	v_xor_b32_e32 v57, s37, v3
	v_xor_b32_e32 v3, s36, v3
	v_and_b32_e32 v5, v5, v3
	v_lshlrev_b32_e32 v3, 29, v4
	v_cmp_gt_i64_e64 s[36:37], 0, v[2:3]
	v_not_b32_e32 v3, v3
	v_ashrrev_i32_e32 v3, 31, v3
	v_and_b32_e32 v56, v56, v57
	v_xor_b32_e32 v57, s37, v3
	v_xor_b32_e32 v3, s36, v3
	v_and_b32_e32 v5, v5, v3
	v_lshlrev_b32_e32 v3, 28, v4
	v_cmp_gt_i64_e64 s[36:37], 0, v[2:3]
	v_not_b32_e32 v3, v3
	v_ashrrev_i32_e32 v3, 31, v3
	v_and_b32_e32 v56, v56, v57
	;; [unrolled: 8-line block ×5, first 2 shown]
	v_xor_b32_e32 v57, s37, v3
	v_xor_b32_e32 v3, s36, v3
	v_and_b32_e32 v5, v5, v3
	v_lshlrev_b32_e32 v3, 24, v4
	v_cmp_gt_i64_e64 s[36:37], 0, v[2:3]
	v_not_b32_e32 v2, v3
	v_ashrrev_i32_e32 v2, 31, v2
	v_xor_b32_e32 v3, s37, v2
	v_xor_b32_e32 v2, s36, v2
	; wave barrier
	ds_read_b32 v54, v58 offset:32
	v_and_b32_e32 v56, v56, v57
	v_and_b32_e32 v2, v5, v2
	;; [unrolled: 1-line block ×3, first 2 shown]
	v_mbcnt_lo_u32_b32 v4, v2, 0
	v_mbcnt_hi_u32_b32 v56, v3, v4
	v_cmp_eq_u32_e64 s[36:37], 0, v56
	v_cmp_ne_u64_e64 s[40:41], 0, v[2:3]
	s_and_b64 s[40:41], s[40:41], s[36:37]
	; wave barrier
	s_and_saveexec_b64 s[36:37], s[40:41]
	s_cbranch_execz .LBB197_57
; %bb.56:
	v_bcnt_u32_b32 v2, v2, 0
	v_bcnt_u32_b32 v2, v3, v2
	s_waitcnt lgkmcnt(0)
	v_add_u32_e32 v2, v54, v2
	ds_write_b32 v58, v2 offset:32
.LBB197_57:
	s_or_b64 exec, exec, s[36:37]
	v_lshrrev_b32_e32 v2, s56, v33
	v_and_b32_e32 v4, s69, v2
	v_and_b32_e32 v3, 1, v4
	v_add_co_u32_e64 v5, s[36:37], -1, v3
	v_addc_co_u32_e64 v59, s[36:37], 0, -1, s[36:37]
	v_cmp_ne_u32_e64 s[36:37], 0, v3
	v_lshl_add_u32 v2, v4, 3, v4
	v_xor_b32_e32 v3, s37, v59
	v_add_lshl_u32 v61, v21, v2, 2
	v_mov_b32_e32 v2, 0
	v_and_b32_e32 v59, exec_hi, v3
	v_lshlrev_b32_e32 v3, 30, v4
	v_xor_b32_e32 v5, s36, v5
	v_cmp_gt_i64_e64 s[36:37], 0, v[2:3]
	v_not_b32_e32 v3, v3
	v_ashrrev_i32_e32 v3, 31, v3
	v_and_b32_e32 v5, exec_lo, v5
	v_xor_b32_e32 v60, s37, v3
	v_xor_b32_e32 v3, s36, v3
	v_and_b32_e32 v5, v5, v3
	v_lshlrev_b32_e32 v3, 29, v4
	v_cmp_gt_i64_e64 s[36:37], 0, v[2:3]
	v_not_b32_e32 v3, v3
	v_ashrrev_i32_e32 v3, 31, v3
	v_and_b32_e32 v59, v59, v60
	v_xor_b32_e32 v60, s37, v3
	v_xor_b32_e32 v3, s36, v3
	v_and_b32_e32 v5, v5, v3
	v_lshlrev_b32_e32 v3, 28, v4
	v_cmp_gt_i64_e64 s[36:37], 0, v[2:3]
	v_not_b32_e32 v3, v3
	v_ashrrev_i32_e32 v3, 31, v3
	v_and_b32_e32 v59, v59, v60
	;; [unrolled: 8-line block ×5, first 2 shown]
	v_xor_b32_e32 v60, s37, v3
	v_xor_b32_e32 v3, s36, v3
	v_and_b32_e32 v59, v59, v60
	v_and_b32_e32 v60, v5, v3
	v_lshlrev_b32_e32 v3, 24, v4
	v_cmp_gt_i64_e64 s[36:37], 0, v[2:3]
	v_not_b32_e32 v3, v3
	v_ashrrev_i32_e32 v3, 31, v3
	v_xor_b32_e32 v4, s37, v3
	v_xor_b32_e32 v3, s36, v3
	; wave barrier
	ds_read_b32 v57, v61 offset:32
	v_and_b32_e32 v5, v59, v4
	v_and_b32_e32 v4, v60, v3
	v_mbcnt_lo_u32_b32 v3, v4, 0
	v_mbcnt_hi_u32_b32 v59, v5, v3
	v_cmp_eq_u32_e64 s[36:37], 0, v59
	v_cmp_ne_u64_e64 s[40:41], 0, v[4:5]
	s_and_b64 s[40:41], s[40:41], s[36:37]
	; wave barrier
	s_and_saveexec_b64 s[36:37], s[40:41]
	s_cbranch_execz .LBB197_59
; %bb.58:
	v_bcnt_u32_b32 v3, v4, 0
	v_bcnt_u32_b32 v3, v5, v3
	s_waitcnt lgkmcnt(0)
	v_add_u32_e32 v3, v57, v3
	ds_write_b32 v61, v3 offset:32
.LBB197_59:
	s_or_b64 exec, exec, s[36:37]
	v_lshrrev_b32_e32 v3, s56, v36
	v_and_b32_e32 v4, s69, v3
	v_lshl_add_u32 v3, v4, 3, v4
	v_add_lshl_u32 v62, v21, v3, 2
	v_and_b32_e32 v3, 1, v4
	v_add_co_u32_e64 v5, s[36:37], -1, v3
	v_addc_co_u32_e64 v63, s[36:37], 0, -1, s[36:37]
	v_cmp_ne_u32_e64 s[36:37], 0, v3
	v_xor_b32_e32 v3, s37, v63
	v_and_b32_e32 v63, exec_hi, v3
	v_lshlrev_b32_e32 v3, 30, v4
	v_xor_b32_e32 v5, s36, v5
	v_cmp_gt_i64_e64 s[36:37], 0, v[2:3]
	v_not_b32_e32 v3, v3
	v_ashrrev_i32_e32 v3, 31, v3
	v_and_b32_e32 v5, exec_lo, v5
	v_xor_b32_e32 v64, s37, v3
	v_xor_b32_e32 v3, s36, v3
	v_and_b32_e32 v5, v5, v3
	v_lshlrev_b32_e32 v3, 29, v4
	v_cmp_gt_i64_e64 s[36:37], 0, v[2:3]
	v_not_b32_e32 v3, v3
	v_ashrrev_i32_e32 v3, 31, v3
	v_and_b32_e32 v63, v63, v64
	v_xor_b32_e32 v64, s37, v3
	v_xor_b32_e32 v3, s36, v3
	v_and_b32_e32 v5, v5, v3
	v_lshlrev_b32_e32 v3, 28, v4
	v_cmp_gt_i64_e64 s[36:37], 0, v[2:3]
	v_not_b32_e32 v3, v3
	v_ashrrev_i32_e32 v3, 31, v3
	v_and_b32_e32 v63, v63, v64
	;; [unrolled: 8-line block ×5, first 2 shown]
	v_xor_b32_e32 v64, s37, v3
	v_xor_b32_e32 v3, s36, v3
	v_and_b32_e32 v5, v5, v3
	v_lshlrev_b32_e32 v3, 24, v4
	v_cmp_gt_i64_e64 s[36:37], 0, v[2:3]
	v_not_b32_e32 v2, v3
	v_ashrrev_i32_e32 v2, 31, v2
	v_xor_b32_e32 v3, s37, v2
	v_xor_b32_e32 v2, s36, v2
	; wave barrier
	ds_read_b32 v60, v62 offset:32
	v_and_b32_e32 v63, v63, v64
	v_and_b32_e32 v2, v5, v2
	;; [unrolled: 1-line block ×3, first 2 shown]
	v_mbcnt_lo_u32_b32 v4, v2, 0
	v_mbcnt_hi_u32_b32 v66, v3, v4
	v_cmp_eq_u32_e64 s[36:37], 0, v66
	v_cmp_ne_u64_e64 s[40:41], 0, v[2:3]
	s_and_b64 s[40:41], s[40:41], s[36:37]
	; wave barrier
	s_and_saveexec_b64 s[36:37], s[40:41]
	s_cbranch_execz .LBB197_61
; %bb.60:
	v_bcnt_u32_b32 v2, v2, 0
	v_bcnt_u32_b32 v2, v3, v2
	s_waitcnt lgkmcnt(0)
	v_add_u32_e32 v2, v60, v2
	ds_write_b32 v62, v2 offset:32
.LBB197_61:
	s_or_b64 exec, exec, s[36:37]
	v_lshrrev_b32_e32 v2, s56, v35
	v_and_b32_e32 v4, s69, v2
	v_and_b32_e32 v3, 1, v4
	v_add_co_u32_e64 v5, s[36:37], -1, v3
	v_addc_co_u32_e64 v64, s[36:37], 0, -1, s[36:37]
	v_cmp_ne_u32_e64 s[36:37], 0, v3
	v_lshl_add_u32 v2, v4, 3, v4
	v_xor_b32_e32 v3, s37, v64
	v_add_lshl_u32 v63, v21, v2, 2
	v_mov_b32_e32 v2, 0
	v_and_b32_e32 v64, exec_hi, v3
	v_lshlrev_b32_e32 v3, 30, v4
	v_xor_b32_e32 v5, s36, v5
	v_cmp_gt_i64_e64 s[36:37], 0, v[2:3]
	v_not_b32_e32 v3, v3
	v_ashrrev_i32_e32 v3, 31, v3
	v_and_b32_e32 v5, exec_lo, v5
	v_xor_b32_e32 v67, s37, v3
	v_xor_b32_e32 v3, s36, v3
	v_and_b32_e32 v5, v5, v3
	v_lshlrev_b32_e32 v3, 29, v4
	v_cmp_gt_i64_e64 s[36:37], 0, v[2:3]
	v_not_b32_e32 v3, v3
	v_ashrrev_i32_e32 v3, 31, v3
	v_and_b32_e32 v64, v64, v67
	v_xor_b32_e32 v67, s37, v3
	v_xor_b32_e32 v3, s36, v3
	v_and_b32_e32 v5, v5, v3
	v_lshlrev_b32_e32 v3, 28, v4
	v_cmp_gt_i64_e64 s[36:37], 0, v[2:3]
	v_not_b32_e32 v3, v3
	v_ashrrev_i32_e32 v3, 31, v3
	v_and_b32_e32 v64, v64, v67
	;; [unrolled: 8-line block ×5, first 2 shown]
	v_xor_b32_e32 v67, s37, v3
	v_xor_b32_e32 v3, s36, v3
	v_and_b32_e32 v64, v64, v67
	v_and_b32_e32 v67, v5, v3
	v_lshlrev_b32_e32 v3, 24, v4
	v_cmp_gt_i64_e64 s[36:37], 0, v[2:3]
	v_not_b32_e32 v3, v3
	v_ashrrev_i32_e32 v3, 31, v3
	v_xor_b32_e32 v4, s37, v3
	v_xor_b32_e32 v3, s36, v3
	; wave barrier
	ds_read_b32 v65, v63 offset:32
	v_and_b32_e32 v5, v64, v4
	v_and_b32_e32 v4, v67, v3
	v_mbcnt_lo_u32_b32 v3, v4, 0
	v_mbcnt_hi_u32_b32 v67, v5, v3
	v_cmp_eq_u32_e64 s[36:37], 0, v67
	v_cmp_ne_u64_e64 s[40:41], 0, v[4:5]
	s_and_b64 s[40:41], s[40:41], s[36:37]
	; wave barrier
	s_and_saveexec_b64 s[36:37], s[40:41]
	s_cbranch_execz .LBB197_63
; %bb.62:
	v_bcnt_u32_b32 v3, v4, 0
	v_bcnt_u32_b32 v3, v5, v3
	s_waitcnt lgkmcnt(0)
	v_add_u32_e32 v3, v65, v3
	ds_write_b32 v63, v3 offset:32
.LBB197_63:
	s_or_b64 exec, exec, s[36:37]
	v_lshrrev_b32_e32 v3, s56, v38
	v_and_b32_e32 v4, s69, v3
	v_lshl_add_u32 v3, v4, 3, v4
	v_add_lshl_u32 v70, v21, v3, 2
	v_and_b32_e32 v3, 1, v4
	v_add_co_u32_e64 v5, s[36:37], -1, v3
	v_addc_co_u32_e64 v68, s[36:37], 0, -1, s[36:37]
	v_cmp_ne_u32_e64 s[36:37], 0, v3
	v_xor_b32_e32 v3, s37, v68
	v_and_b32_e32 v68, exec_hi, v3
	v_lshlrev_b32_e32 v3, 30, v4
	v_xor_b32_e32 v5, s36, v5
	v_cmp_gt_i64_e64 s[36:37], 0, v[2:3]
	v_not_b32_e32 v3, v3
	v_ashrrev_i32_e32 v3, 31, v3
	v_and_b32_e32 v5, exec_lo, v5
	v_xor_b32_e32 v69, s37, v3
	v_xor_b32_e32 v3, s36, v3
	v_and_b32_e32 v5, v5, v3
	v_lshlrev_b32_e32 v3, 29, v4
	v_cmp_gt_i64_e64 s[36:37], 0, v[2:3]
	v_not_b32_e32 v3, v3
	v_ashrrev_i32_e32 v3, 31, v3
	v_and_b32_e32 v68, v68, v69
	v_xor_b32_e32 v69, s37, v3
	v_xor_b32_e32 v3, s36, v3
	v_and_b32_e32 v5, v5, v3
	v_lshlrev_b32_e32 v3, 28, v4
	v_cmp_gt_i64_e64 s[36:37], 0, v[2:3]
	v_not_b32_e32 v3, v3
	v_ashrrev_i32_e32 v3, 31, v3
	v_and_b32_e32 v68, v68, v69
	;; [unrolled: 8-line block ×5, first 2 shown]
	v_xor_b32_e32 v69, s37, v3
	v_xor_b32_e32 v3, s36, v3
	v_and_b32_e32 v5, v5, v3
	v_lshlrev_b32_e32 v3, 24, v4
	v_cmp_gt_i64_e64 s[36:37], 0, v[2:3]
	v_not_b32_e32 v2, v3
	v_ashrrev_i32_e32 v2, 31, v2
	v_xor_b32_e32 v3, s37, v2
	v_xor_b32_e32 v2, s36, v2
	; wave barrier
	ds_read_b32 v64, v70 offset:32
	v_and_b32_e32 v68, v68, v69
	v_and_b32_e32 v2, v5, v2
	v_and_b32_e32 v3, v68, v3
	v_mbcnt_lo_u32_b32 v4, v2, 0
	v_mbcnt_hi_u32_b32 v68, v3, v4
	v_cmp_eq_u32_e64 s[36:37], 0, v68
	v_cmp_ne_u64_e64 s[40:41], 0, v[2:3]
	s_and_b64 s[40:41], s[40:41], s[36:37]
	; wave barrier
	s_and_saveexec_b64 s[36:37], s[40:41]
	s_cbranch_execz .LBB197_65
; %bb.64:
	v_bcnt_u32_b32 v2, v2, 0
	v_bcnt_u32_b32 v2, v3, v2
	s_waitcnt lgkmcnt(0)
	v_add_u32_e32 v2, v64, v2
	ds_write_b32 v70, v2 offset:32
.LBB197_65:
	s_or_b64 exec, exec, s[36:37]
	v_lshrrev_b32_e32 v2, s56, v37
	v_and_b32_e32 v4, s69, v2
	v_and_b32_e32 v3, 1, v4
	v_add_co_u32_e64 v5, s[36:37], -1, v3
	v_addc_co_u32_e64 v71, s[36:37], 0, -1, s[36:37]
	v_cmp_ne_u32_e64 s[36:37], 0, v3
	v_lshl_add_u32 v2, v4, 3, v4
	v_xor_b32_e32 v3, s37, v71
	v_add_lshl_u32 v72, v21, v2, 2
	v_mov_b32_e32 v2, 0
	v_and_b32_e32 v71, exec_hi, v3
	v_lshlrev_b32_e32 v3, 30, v4
	v_xor_b32_e32 v5, s36, v5
	v_cmp_gt_i64_e64 s[36:37], 0, v[2:3]
	v_not_b32_e32 v3, v3
	v_ashrrev_i32_e32 v3, 31, v3
	v_and_b32_e32 v5, exec_lo, v5
	v_xor_b32_e32 v73, s37, v3
	v_xor_b32_e32 v3, s36, v3
	v_and_b32_e32 v5, v5, v3
	v_lshlrev_b32_e32 v3, 29, v4
	v_cmp_gt_i64_e64 s[36:37], 0, v[2:3]
	v_not_b32_e32 v3, v3
	v_ashrrev_i32_e32 v3, 31, v3
	v_and_b32_e32 v71, v71, v73
	v_xor_b32_e32 v73, s37, v3
	v_xor_b32_e32 v3, s36, v3
	v_and_b32_e32 v5, v5, v3
	v_lshlrev_b32_e32 v3, 28, v4
	v_cmp_gt_i64_e64 s[36:37], 0, v[2:3]
	v_not_b32_e32 v3, v3
	v_ashrrev_i32_e32 v3, 31, v3
	v_and_b32_e32 v71, v71, v73
	;; [unrolled: 8-line block ×5, first 2 shown]
	v_xor_b32_e32 v73, s37, v3
	v_xor_b32_e32 v3, s36, v3
	v_and_b32_e32 v71, v71, v73
	v_and_b32_e32 v73, v5, v3
	v_lshlrev_b32_e32 v3, 24, v4
	v_cmp_gt_i64_e64 s[36:37], 0, v[2:3]
	v_not_b32_e32 v3, v3
	v_ashrrev_i32_e32 v3, 31, v3
	v_xor_b32_e32 v4, s37, v3
	v_xor_b32_e32 v3, s36, v3
	; wave barrier
	ds_read_b32 v69, v72 offset:32
	v_and_b32_e32 v5, v71, v4
	v_and_b32_e32 v4, v73, v3
	v_mbcnt_lo_u32_b32 v3, v4, 0
	v_mbcnt_hi_u32_b32 v71, v5, v3
	v_cmp_eq_u32_e64 s[36:37], 0, v71
	v_cmp_ne_u64_e64 s[40:41], 0, v[4:5]
	s_and_b64 s[40:41], s[40:41], s[36:37]
	; wave barrier
	s_and_saveexec_b64 s[36:37], s[40:41]
	s_cbranch_execz .LBB197_67
; %bb.66:
	v_bcnt_u32_b32 v3, v4, 0
	v_bcnt_u32_b32 v3, v5, v3
	s_waitcnt lgkmcnt(0)
	v_add_u32_e32 v3, v69, v3
	ds_write_b32 v72, v3 offset:32
.LBB197_67:
	s_or_b64 exec, exec, s[36:37]
	v_lshrrev_b32_e32 v3, s56, v39
	v_and_b32_e32 v4, s69, v3
	v_lshl_add_u32 v3, v4, 3, v4
	v_add_lshl_u32 v74, v21, v3, 2
	v_and_b32_e32 v3, 1, v4
	v_add_co_u32_e64 v5, s[36:37], -1, v3
	v_addc_co_u32_e64 v73, s[36:37], 0, -1, s[36:37]
	v_cmp_ne_u32_e64 s[36:37], 0, v3
	v_xor_b32_e32 v3, s37, v73
	v_and_b32_e32 v73, exec_hi, v3
	v_lshlrev_b32_e32 v3, 30, v4
	v_xor_b32_e32 v5, s36, v5
	v_cmp_gt_i64_e64 s[36:37], 0, v[2:3]
	v_not_b32_e32 v3, v3
	v_ashrrev_i32_e32 v3, 31, v3
	v_and_b32_e32 v5, exec_lo, v5
	v_xor_b32_e32 v76, s37, v3
	v_xor_b32_e32 v3, s36, v3
	v_and_b32_e32 v5, v5, v3
	v_lshlrev_b32_e32 v3, 29, v4
	v_cmp_gt_i64_e64 s[36:37], 0, v[2:3]
	v_not_b32_e32 v3, v3
	v_ashrrev_i32_e32 v3, 31, v3
	v_and_b32_e32 v73, v73, v76
	v_xor_b32_e32 v76, s37, v3
	v_xor_b32_e32 v3, s36, v3
	v_and_b32_e32 v5, v5, v3
	v_lshlrev_b32_e32 v3, 28, v4
	v_cmp_gt_i64_e64 s[36:37], 0, v[2:3]
	v_not_b32_e32 v3, v3
	v_ashrrev_i32_e32 v3, 31, v3
	v_and_b32_e32 v73, v73, v76
	;; [unrolled: 8-line block ×5, first 2 shown]
	v_xor_b32_e32 v76, s37, v3
	v_xor_b32_e32 v3, s36, v3
	v_and_b32_e32 v5, v5, v3
	v_lshlrev_b32_e32 v3, 24, v4
	v_cmp_gt_i64_e64 s[36:37], 0, v[2:3]
	v_not_b32_e32 v2, v3
	v_ashrrev_i32_e32 v2, 31, v2
	v_xor_b32_e32 v3, s37, v2
	v_xor_b32_e32 v2, s36, v2
	; wave barrier
	ds_read_b32 v21, v74 offset:32
	v_and_b32_e32 v73, v73, v76
	v_and_b32_e32 v2, v5, v2
	;; [unrolled: 1-line block ×3, first 2 shown]
	v_mbcnt_lo_u32_b32 v4, v2, 0
	v_mbcnt_hi_u32_b32 v73, v3, v4
	v_cmp_eq_u32_e64 s[36:37], 0, v73
	v_cmp_ne_u64_e64 s[40:41], 0, v[2:3]
	v_add_u32_e32 v75, 32, v7
	s_and_b64 s[40:41], s[40:41], s[36:37]
	; wave barrier
	s_and_saveexec_b64 s[36:37], s[40:41]
	s_cbranch_execz .LBB197_69
; %bb.68:
	v_bcnt_u32_b32 v2, v2, 0
	v_bcnt_u32_b32 v2, v3, v2
	s_waitcnt lgkmcnt(0)
	v_add_u32_e32 v2, v21, v2
	ds_write_b32 v74, v2 offset:32
.LBB197_69:
	s_or_b64 exec, exec, s[36:37]
	; wave barrier
	s_waitcnt lgkmcnt(0)
	s_barrier
	ds_read2_b32 v[4:5], v7 offset0:8 offset1:9
	ds_read2_b32 v[2:3], v75 offset0:2 offset1:3
	ds_read_b32 v76, v75 offset:16
	s_waitcnt lgkmcnt(1)
	v_add3_u32 v77, v5, v4, v2
	s_waitcnt lgkmcnt(0)
	v_add3_u32 v76, v77, v3, v76
	v_and_b32_e32 v77, 15, v6
	v_cmp_ne_u32_e64 s[36:37], 0, v77
	v_mov_b32_dpp v78, v76 row_shr:1 row_mask:0xf bank_mask:0xf
	v_cndmask_b32_e64 v78, 0, v78, s[36:37]
	v_add_u32_e32 v76, v78, v76
	v_cmp_lt_u32_e64 s[36:37], 1, v77
	s_nop 0
	v_mov_b32_dpp v78, v76 row_shr:2 row_mask:0xf bank_mask:0xf
	v_cndmask_b32_e64 v78, 0, v78, s[36:37]
	v_add_u32_e32 v76, v76, v78
	v_cmp_lt_u32_e64 s[36:37], 3, v77
	s_nop 0
	;; [unrolled: 5-line block ×3, first 2 shown]
	v_mov_b32_dpp v78, v76 row_shr:8 row_mask:0xf bank_mask:0xf
	v_cndmask_b32_e64 v77, 0, v78, s[36:37]
	v_add_u32_e32 v76, v76, v77
	v_bfe_i32 v78, v6, 4, 1
	v_cmp_lt_u32_e64 s[36:37], 31, v6
	v_mov_b32_dpp v77, v76 row_bcast:15 row_mask:0xf bank_mask:0xf
	v_and_b32_e32 v77, v78, v77
	v_add_u32_e32 v76, v76, v77
	v_and_b32_e32 v78, 0x3c0, v18
	v_min_u32_e32 v78, 0x1c0, v78
	v_mov_b32_dpp v77, v76 row_bcast:31 row_mask:0xf bank_mask:0xf
	v_cndmask_b32_e64 v77, 0, v77, s[36:37]
	v_or_b32_e32 v78, 63, v78
	v_add_u32_e32 v76, v76, v77
	v_lshrrev_b32_e32 v77, 6, v18
	v_cmp_eq_u32_e64 s[36:37], v78, v18
	s_and_saveexec_b64 s[40:41], s[36:37]
	s_cbranch_execz .LBB197_71
; %bb.70:
	v_lshlrev_b32_e32 v78, 2, v77
	ds_write_b32 v78, v76
.LBB197_71:
	s_or_b64 exec, exec, s[40:41]
	v_cmp_gt_u32_e64 s[36:37], 8, v18
	s_waitcnt lgkmcnt(0)
	s_barrier
	s_and_saveexec_b64 s[60:61], s[36:37]
	s_cbranch_execz .LBB197_73
; %bb.72:
	v_lshlrev_b32_e32 v78, 2, v18
	ds_read_b32 v79, v78
	v_and_b32_e32 v80, 7, v6
	v_cmp_ne_u32_e64 s[36:37], 0, v80
	v_cmp_lt_u32_e64 s[40:41], 1, v80
	s_waitcnt lgkmcnt(0)
	v_mov_b32_dpp v81, v79 row_shr:1 row_mask:0xf bank_mask:0xf
	v_cndmask_b32_e64 v81, 0, v81, s[36:37]
	v_add_u32_e32 v79, v81, v79
	v_cmp_lt_u32_e64 s[36:37], 3, v80
	s_nop 0
	v_mov_b32_dpp v81, v79 row_shr:2 row_mask:0xf bank_mask:0xf
	v_cndmask_b32_e64 v81, 0, v81, s[40:41]
	v_add_u32_e32 v79, v79, v81
	s_nop 1
	v_mov_b32_dpp v81, v79 row_shr:4 row_mask:0xf bank_mask:0xf
	v_cndmask_b32_e64 v80, 0, v81, s[36:37]
	v_add_u32_e32 v79, v79, v80
	ds_write_b32 v78, v79
.LBB197_73:
	s_or_b64 exec, exec, s[60:61]
	v_cmp_lt_u32_e64 s[36:37], 63, v18
	v_mov_b32_e32 v78, 0
	s_waitcnt lgkmcnt(0)
	s_barrier
	s_and_saveexec_b64 s[40:41], s[36:37]
	s_cbranch_execz .LBB197_75
; %bb.74:
	v_lshl_add_u32 v77, v77, 2, -4
	ds_read_b32 v78, v77
.LBB197_75:
	s_or_b64 exec, exec, s[40:41]
	v_add_u32_e32 v77, -1, v6
	v_and_b32_e32 v79, 64, v6
	v_cmp_lt_i32_e64 s[36:37], v77, v79
	v_cndmask_b32_e64 v77, v77, v6, s[36:37]
	s_waitcnt lgkmcnt(0)
	v_add_u32_e32 v76, v78, v76
	v_lshlrev_b32_e32 v77, 2, v77
	ds_bpermute_b32 v76, v77, v76
	v_cmp_eq_u32_e64 s[36:37], 0, v6
	s_waitcnt lgkmcnt(0)
	v_cndmask_b32_e64 v6, v76, v78, s[36:37]
	v_cndmask_b32_e64 v6, v6, 0, s[0:1]
	v_add_u32_e32 v4, v6, v4
	v_add_u32_e32 v5, v4, v5
	v_add_u32_e32 v2, v5, v2
	v_add_u32_e32 v3, v2, v3
	ds_write2_b32 v7, v6, v4 offset0:8 offset1:9
	ds_write2_b32 v75, v5, v2 offset0:2 offset1:3
	ds_write_b32 v75, v3 offset:16
	s_waitcnt lgkmcnt(0)
	s_barrier
	ds_read_b32 v78, v12 offset:32
	ds_read_b32 v12, v13 offset:32
	;; [unrolled: 1-line block ×16, first 2 shown]
	s_movk_i32 s36, 0x100
	v_cmp_gt_u32_e64 s[36:37], s36, v18
                                        ; implicit-def: $vgpr55
                                        ; implicit-def: $vgpr58
	s_and_saveexec_b64 s[60:61], s[36:37]
	s_cbranch_execz .LBB197_79
; %bb.76:
	v_mul_u32_u24_e32 v2, 9, v18
	v_lshlrev_b32_e32 v3, 2, v2
	ds_read_b32 v55, v3 offset:32
	s_movk_i32 s40, 0xff
	v_cmp_ne_u32_e64 s[40:41], s40, v18
	v_mov_b32_e32 v2, 0x2000
	s_and_saveexec_b64 s[62:63], s[40:41]
	s_cbranch_execz .LBB197_78
; %bb.77:
	ds_read_b32 v2, v3 offset:68
.LBB197_78:
	s_or_b64 exec, exec, s[62:63]
	s_waitcnt lgkmcnt(0)
	v_sub_u32_e32 v58, v2, v55
.LBB197_79:
	s_or_b64 exec, exec, s[60:61]
	s_waitcnt lgkmcnt(0)
	s_barrier
	s_and_saveexec_b64 s[60:61], s[36:37]
	s_cbranch_execz .LBB197_89
; %bb.80:
	v_lshl_or_b32 v2, s33, 8, v18
	v_mov_b32_e32 v3, 0
	v_lshlrev_b64 v[4:5], 2, v[2:3]
	v_mov_b32_e32 v40, s43
	v_add_co_u32_e64 v4, s[40:41], s42, v4
	v_addc_co_u32_e64 v5, s[40:41], v40, v5, s[40:41]
	v_or_b32_e32 v2, 2.0, v58
	s_mov_b64 s[62:63], 0
	s_brev_b32 s70, 1
	s_mov_b32 s71, s33
	v_mov_b32_e32 v43, 0
	global_store_dword v[4:5], v2, off
                                        ; implicit-def: $sgpr40_sgpr41
	s_branch .LBB197_82
.LBB197_81:                             ;   in Loop: Header=BB197_82 Depth=1
	s_or_b64 exec, exec, s[64:65]
	v_and_b32_e32 v6, 0x3fffffff, v61
	v_add_u32_e32 v43, v6, v43
	v_cmp_eq_u32_e64 s[40:41], s70, v2
	s_and_b64 s[64:65], exec, s[40:41]
	s_or_b64 s[62:63], s[64:65], s[62:63]
	s_andn2_b64 exec, exec, s[62:63]
	s_cbranch_execz .LBB197_88
.LBB197_82:                             ; =>This Loop Header: Depth=1
                                        ;     Child Loop BB197_85 Depth 2
	s_or_b64 s[40:41], s[40:41], exec
	s_cmp_eq_u32 s71, 0
	s_cbranch_scc1 .LBB197_87
; %bb.83:                               ;   in Loop: Header=BB197_82 Depth=1
	s_add_i32 s71, s71, -1
	v_lshl_or_b32 v2, s71, 8, v18
	v_lshlrev_b64 v[6:7], 2, v[2:3]
	v_add_co_u32_e64 v6, s[40:41], s42, v6
	v_addc_co_u32_e64 v7, s[40:41], v40, v7, s[40:41]
	global_load_dword v61, v[6:7], off glc
	s_waitcnt vmcnt(0)
	v_and_b32_e32 v2, -2.0, v61
	v_cmp_eq_u32_e64 s[40:41], 0, v2
	s_and_saveexec_b64 s[64:65], s[40:41]
	s_cbranch_execz .LBB197_81
; %bb.84:                               ;   in Loop: Header=BB197_82 Depth=1
	s_mov_b64 s[66:67], 0
.LBB197_85:                             ;   Parent Loop BB197_82 Depth=1
                                        ; =>  This Inner Loop Header: Depth=2
	global_load_dword v61, v[6:7], off glc
	s_waitcnt vmcnt(0)
	v_and_b32_e32 v2, -2.0, v61
	v_cmp_ne_u32_e64 s[40:41], 0, v2
	s_or_b64 s[66:67], s[40:41], s[66:67]
	s_andn2_b64 exec, exec, s[66:67]
	s_cbranch_execnz .LBB197_85
; %bb.86:                               ;   in Loop: Header=BB197_82 Depth=1
	s_or_b64 exec, exec, s[66:67]
	s_branch .LBB197_81
.LBB197_87:                             ;   in Loop: Header=BB197_82 Depth=1
                                        ; implicit-def: $sgpr71
	s_and_b64 s[64:65], exec, s[40:41]
	s_or_b64 s[62:63], s[64:65], s[62:63]
	s_andn2_b64 exec, exec, s[62:63]
	s_cbranch_execnz .LBB197_82
.LBB197_88:
	s_or_b64 exec, exec, s[62:63]
	v_add_u32_e32 v2, v43, v58
	v_or_b32_e32 v2, 0x80000000, v2
	global_store_dword v[4:5], v2, off
	v_lshlrev_b32_e32 v2, 2, v18
	global_load_dword v3, v2, s[52:53]
	v_sub_u32_e32 v4, v43, v55
	s_waitcnt vmcnt(0)
	v_add_u32_e32 v3, v4, v3
	ds_write_b32 v2, v3
.LBB197_89:
	s_or_b64 exec, exec, s[60:61]
	v_lshlrev_b32_e32 v40, 2, v18
	v_add_u32_e32 v61, v78, v8
	s_movk_i32 s62, 0x400
	v_add_u32_e32 v43, 0x400, v40
	v_add3_u32 v62, v73, v62, v21
	v_add3_u32 v63, v71, v63, v69
	;; [unrolled: 1-line block ×15, first 2 shown]
	s_mov_b32 s63, 0
	v_mov_b32_e32 v21, 0
	s_movk_i32 s64, 0x200
	s_movk_i32 s65, 0x600
	v_mov_b32_e32 v41, v18
	s_mov_b32 s66, 0
                                        ; implicit-def: $vgpr2_vgpr3_vgpr4_vgpr5_vgpr6_vgpr7_vgpr8_vgpr9_vgpr10_vgpr11_vgpr12_vgpr13_vgpr14_vgpr15_vgpr16_vgpr17
	s_branch .LBB197_91
.LBB197_90:                             ;   in Loop: Header=BB197_91 Depth=1
	s_or_b64 exec, exec, s[60:61]
	s_addk_i32 s66, 0xf800
	s_add_i32 s63, s63, 4
	s_cmpk_eq_i32 s66, 0xe000
	v_add_u32_e32 v41, 0x800, v41
	s_barrier
	s_cbranch_scc1 .LBB197_100
.LBB197_91:                             ; =>This Inner Loop Header: Depth=1
	v_add_u32_e32 v20, s66, v61
	v_min_u32_e32 v20, 0x800, v20
	v_lshlrev_b32_e32 v20, 2, v20
	ds_write_b32 v20, v25 offset:1024
	v_add_u32_e32 v20, s66, v71
	v_min_u32_e32 v20, 0x800, v20
	v_lshlrev_b32_e32 v20, 2, v20
	ds_write_b32 v20, v26 offset:1024
	v_add_u32_e32 v20, s66, v70
	v_min_u32_e32 v20, 0x800, v20
	v_lshlrev_b32_e32 v20, 2, v20
	ds_write_b32 v20, v24 offset:1024
	v_add_u32_e32 v20, s66, v69
	v_min_u32_e32 v20, 0x800, v20
	v_lshlrev_b32_e32 v20, 2, v20
	ds_write_b32 v20, v28 offset:1024
	v_add_u32_e32 v20, s66, v68
	v_min_u32_e32 v20, 0x800, v20
	v_lshlrev_b32_e32 v20, 2, v20
	ds_write_b32 v20, v27 offset:1024
	v_add_u32_e32 v20, s66, v67
	v_min_u32_e32 v20, 0x800, v20
	v_lshlrev_b32_e32 v20, 2, v20
	ds_write_b32 v20, v30 offset:1024
	v_add_u32_e32 v20, s66, v66
	v_min_u32_e32 v20, 0x800, v20
	v_lshlrev_b32_e32 v20, 2, v20
	ds_write_b32 v20, v29 offset:1024
	v_add_u32_e32 v20, s66, v59
	v_min_u32_e32 v20, 0x800, v20
	v_lshlrev_b32_e32 v20, 2, v20
	ds_write_b32 v20, v32 offset:1024
	v_add_u32_e32 v20, s66, v56
	v_min_u32_e32 v20, 0x800, v20
	v_lshlrev_b32_e32 v20, 2, v20
	ds_write_b32 v20, v31 offset:1024
	v_add_u32_e32 v20, s66, v54
	v_min_u32_e32 v20, 0x800, v20
	v_lshlrev_b32_e32 v20, 2, v20
	ds_write_b32 v20, v34 offset:1024
	v_add_u32_e32 v20, s66, v57
	v_min_u32_e32 v20, 0x800, v20
	v_lshlrev_b32_e32 v20, 2, v20
	ds_write_b32 v20, v33 offset:1024
	v_add_u32_e32 v20, s66, v60
	v_min_u32_e32 v20, 0x800, v20
	v_lshlrev_b32_e32 v20, 2, v20
	ds_write_b32 v20, v36 offset:1024
	v_add_u32_e32 v20, s66, v65
	v_min_u32_e32 v20, 0x800, v20
	v_lshlrev_b32_e32 v20, 2, v20
	ds_write_b32 v20, v35 offset:1024
	v_add_u32_e32 v20, s66, v64
	v_min_u32_e32 v20, 0x800, v20
	v_lshlrev_b32_e32 v20, 2, v20
	ds_write_b32 v20, v38 offset:1024
	v_add_u32_e32 v20, s66, v63
	v_min_u32_e32 v20, 0x800, v20
	v_lshlrev_b32_e32 v20, 2, v20
	ds_write_b32 v20, v37 offset:1024
	v_add_u32_e32 v20, s66, v62
	v_min_u32_e32 v20, 0x800, v20
	v_lshlrev_b32_e32 v20, 2, v20
	v_cmp_gt_u32_e64 s[40:41], s7, v41
	ds_write_b32 v20, v39 offset:1024
	s_waitcnt lgkmcnt(0)
	s_barrier
	s_and_saveexec_b64 s[60:61], s[40:41]
	s_cbranch_execz .LBB197_93
; %bb.92:                               ;   in Loop: Header=BB197_91 Depth=1
	ds_read_b32 v42, v40 offset:1024
	v_mov_b32_e32 v47, s47
	s_waitcnt lgkmcnt(0)
	v_lshrrev_b32_e32 v20, s56, v42
	v_and_b32_e32 v46, s69, v20
	v_lshlrev_b32_e32 v20, 2, v46
	ds_read_b32 v20, v20
	s_waitcnt lgkmcnt(0)
	v_add_u32_e32 v20, v41, v20
	v_lshlrev_b64 v[44:45], 2, v[20:21]
	v_add_co_u32_e64 v44, s[40:41], s46, v44
	v_addc_co_u32_e64 v45, s[40:41], v47, v45, s[40:41]
	global_store_dword v[44:45], v42, off
	s_set_gpr_idx_on s63, gpr_idx(DST)
	v_mov_b32_e32 v2, v46
	s_set_gpr_idx_off
.LBB197_93:                             ;   in Loop: Header=BB197_91 Depth=1
	s_or_b64 exec, exec, s[60:61]
	v_add_u32_e32 v20, 0x200, v41
	v_cmp_gt_u32_e64 s[40:41], s7, v20
	s_and_saveexec_b64 s[60:61], s[40:41]
	s_cbranch_execz .LBB197_95
; %bb.94:                               ;   in Loop: Header=BB197_91 Depth=1
	ds_read_b32 v42, v43 offset:2048
	v_mov_b32_e32 v47, s47
	s_add_i32 s67, s63, 1
	s_waitcnt lgkmcnt(0)
	v_lshrrev_b32_e32 v20, s56, v42
	v_and_b32_e32 v46, s69, v20
	v_lshlrev_b32_e32 v20, 2, v46
	ds_read_b32 v20, v20
	s_waitcnt lgkmcnt(0)
	v_add3_u32 v20, v41, v20, s64
	v_lshlrev_b64 v[44:45], 2, v[20:21]
	v_add_co_u32_e64 v44, s[40:41], s46, v44
	v_addc_co_u32_e64 v45, s[40:41], v47, v45, s[40:41]
	global_store_dword v[44:45], v42, off
	s_set_gpr_idx_on s67, gpr_idx(DST)
	v_mov_b32_e32 v2, v46
	s_set_gpr_idx_off
.LBB197_95:                             ;   in Loop: Header=BB197_91 Depth=1
	s_or_b64 exec, exec, s[60:61]
	v_add_u32_e32 v20, 0x400, v41
	v_cmp_gt_u32_e64 s[40:41], s7, v20
	s_and_saveexec_b64 s[60:61], s[40:41]
	s_cbranch_execz .LBB197_97
; %bb.96:                               ;   in Loop: Header=BB197_91 Depth=1
	ds_read_b32 v42, v43 offset:4096
	v_mov_b32_e32 v47, s47
	s_add_i32 s67, s63, 2
	s_waitcnt lgkmcnt(0)
	v_lshrrev_b32_e32 v20, s56, v42
	v_and_b32_e32 v46, s69, v20
	v_lshlrev_b32_e32 v20, 2, v46
	ds_read_b32 v20, v20
	s_waitcnt lgkmcnt(0)
	v_add3_u32 v20, v41, v20, s62
	v_lshlrev_b64 v[44:45], 2, v[20:21]
	v_add_co_u32_e64 v44, s[40:41], s46, v44
	v_addc_co_u32_e64 v45, s[40:41], v47, v45, s[40:41]
	global_store_dword v[44:45], v42, off
	s_set_gpr_idx_on s67, gpr_idx(DST)
	v_mov_b32_e32 v2, v46
	s_set_gpr_idx_off
.LBB197_97:                             ;   in Loop: Header=BB197_91 Depth=1
	s_or_b64 exec, exec, s[60:61]
	v_add_u32_e32 v20, 0x600, v41
	v_cmp_gt_u32_e64 s[40:41], s7, v20
	s_and_saveexec_b64 s[60:61], s[40:41]
	s_cbranch_execz .LBB197_90
; %bb.98:                               ;   in Loop: Header=BB197_91 Depth=1
	ds_read_b32 v42, v43 offset:6144
	v_mov_b32_e32 v47, s47
	s_add_i32 s67, s63, 3
	s_waitcnt lgkmcnt(0)
	v_lshrrev_b32_e32 v20, s56, v42
	v_and_b32_e32 v46, s69, v20
	v_lshlrev_b32_e32 v20, 2, v46
	ds_read_b32 v20, v20
	s_waitcnt lgkmcnt(0)
	v_add3_u32 v20, v41, v20, s65
	v_lshlrev_b64 v[44:45], 2, v[20:21]
	v_add_co_u32_e64 v44, s[40:41], s46, v44
	v_addc_co_u32_e64 v45, s[40:41], v47, v45, s[40:41]
	global_store_dword v[44:45], v42, off
	s_set_gpr_idx_on s67, gpr_idx(DST)
	v_mov_b32_e32 v2, v46
	s_set_gpr_idx_off
	s_branch .LBB197_90
.LBB197_99:
	s_mov_b64 s[8:9], 0
                                        ; implicit-def: $vgpr2
	s_cbranch_execnz .LBB197_141
	s_branch .LBB197_200
.LBB197_100:
	s_lshl_b64 s[40:41], s[58:59], 3
	s_add_u32 s40, s48, s40
	s_addc_u32 s41, s49, s41
	v_lshlrev_b32_e32 v20, 3, v23
	v_mov_b32_e32 v21, s41
	v_add_co_u32_e64 v20, s[40:41], s40, v20
	v_addc_co_u32_e64 v21, s[40:41], 0, v21, s[40:41]
	v_lshlrev_b32_e32 v22, 3, v22
	v_add_co_u32_e64 v40, s[40:41], v20, v22
	v_addc_co_u32_e64 v41, s[40:41], 0, v21, s[40:41]
	v_mov_b32_e32 v20, 0
	v_mov_b32_e32 v22, 0
	;; [unrolled: 1-line block ×3, first 2 shown]
	s_and_saveexec_b64 s[40:41], s[34:35]
	s_cbranch_execz .LBB197_102
; %bb.101:
	global_load_dwordx2 v[22:23], v[40:41], off
.LBB197_102:
	s_or_b64 exec, exec, s[40:41]
	v_mov_b32_e32 v21, 0
	s_and_saveexec_b64 s[34:35], s[30:31]
	s_cbranch_execz .LBB197_104
; %bb.103:
	global_load_dwordx2 v[20:21], v[40:41], off offset:512
.LBB197_104:
	s_or_b64 exec, exec, s[34:35]
	v_mov_b32_e32 v24, 0
	v_mov_b32_e32 v26, 0
	v_mov_b32_e32 v27, 0
	s_and_saveexec_b64 s[30:31], s[28:29]
	s_cbranch_execz .LBB197_106
; %bb.105:
	global_load_dwordx2 v[26:27], v[40:41], off offset:1024
.LBB197_106:
	s_or_b64 exec, exec, s[30:31]
	v_mov_b32_e32 v25, 0
	s_and_saveexec_b64 s[28:29], s[26:27]
	s_cbranch_execz .LBB197_108
; %bb.107:
	global_load_dwordx2 v[24:25], v[40:41], off offset:1536
.LBB197_108:
	s_or_b64 exec, exec, s[28:29]
	v_mov_b32_e32 v28, 0
	v_mov_b32_e32 v30, 0
	v_mov_b32_e32 v31, 0
	s_and_saveexec_b64 s[26:27], s[24:25]
	s_cbranch_execz .LBB197_110
; %bb.109:
	global_load_dwordx2 v[30:31], v[40:41], off offset:2048
.LBB197_110:
	;; [unrolled: 16-line block ×3, first 2 shown]
	s_or_b64 exec, exec, s[22:23]
	v_mov_b32_e32 v33, 0
	s_and_saveexec_b64 s[20:21], s[18:19]
	s_cbranch_execz .LBB197_116
; %bb.115:
	global_load_dwordx2 v[32:33], v[40:41], off offset:3584
.LBB197_116:
	s_or_b64 exec, exec, s[20:21]
	v_mov_b32_e32 v36, 0
	v_mov_b32_e32 v38, 0
	;; [unrolled: 1-line block ×3, first 2 shown]
	s_and_saveexec_b64 s[18:19], vcc
	s_cbranch_execz .LBB197_118
; %bb.117:
	v_add_co_u32_e32 v38, vcc, 0x1000, v40
	v_addc_co_u32_e32 v39, vcc, 0, v41, vcc
	global_load_dwordx2 v[38:39], v[38:39], off
.LBB197_118:
	s_or_b64 exec, exec, s[18:19]
	v_mov_b32_e32 v37, 0
	s_and_saveexec_b64 s[18:19], s[16:17]
	s_cbranch_execz .LBB197_120
; %bb.119:
	v_add_co_u32_e32 v36, vcc, 0x1000, v40
	v_addc_co_u32_e32 v37, vcc, 0, v41, vcc
	global_load_dwordx2 v[36:37], v[36:37], off offset:512
.LBB197_120:
	s_or_b64 exec, exec, s[18:19]
	v_mov_b32_e32 v42, 0
	v_mov_b32_e32 v44, 0
	v_mov_b32_e32 v45, 0
	s_and_saveexec_b64 s[16:17], s[14:15]
	s_cbranch_execz .LBB197_122
; %bb.121:
	v_add_co_u32_e32 v44, vcc, 0x1000, v40
	v_addc_co_u32_e32 v45, vcc, 0, v41, vcc
	global_load_dwordx2 v[44:45], v[44:45], off offset:1024
.LBB197_122:
	s_or_b64 exec, exec, s[16:17]
	v_mov_b32_e32 v43, 0
	s_and_saveexec_b64 s[14:15], s[12:13]
	s_cbranch_execz .LBB197_124
; %bb.123:
	v_add_co_u32_e32 v42, vcc, 0x1000, v40
	v_addc_co_u32_e32 v43, vcc, 0, v41, vcc
	global_load_dwordx2 v[42:43], v[42:43], off offset:1536
.LBB197_124:
	s_or_b64 exec, exec, s[14:15]
	v_mov_b32_e32 v46, 0
	v_mov_b32_e32 v48, 0
	v_mov_b32_e32 v49, 0
	s_and_saveexec_b64 s[12:13], s[10:11]
	s_cbranch_execz .LBB197_126
; %bb.125:
	v_add_co_u32_e32 v48, vcc, 0x1000, v40
	v_addc_co_u32_e32 v49, vcc, 0, v41, vcc
	global_load_dwordx2 v[48:49], v[48:49], off offset:2048
.LBB197_126:
	;; [unrolled: 20-line block ×3, first 2 shown]
	s_or_b64 exec, exec, s[8:9]
	s_mov_b32 s10, 0
	v_mov_b32_e32 v51, 0
	s_and_saveexec_b64 s[8:9], s[2:3]
	s_cbranch_execz .LBB197_132
; %bb.131:
	v_add_co_u32_e32 v40, vcc, 0x1000, v40
	v_addc_co_u32_e32 v41, vcc, 0, v41, vcc
	global_load_dwordx2 v[50:51], v[40:41], off offset:3584
.LBB197_132:
	s_or_b64 exec, exec, s[8:9]
	v_lshlrev_b32_e32 v72, 3, v18
	v_add_u32_e32 v73, 0x400, v72
	v_mov_b32_e32 v41, 0
	s_movk_i32 s8, 0x200
	s_mov_b32 s9, 0
	v_mov_b32_e32 v74, v18
	s_waitcnt vmcnt(0)
	s_branch .LBB197_134
.LBB197_133:                            ;   in Loop: Header=BB197_134 Depth=1
	s_or_b64 exec, exec, s[2:3]
	s_addk_i32 s9, 0xfc00
	s_add_i32 s10, s10, 2
	s_cmpk_eq_i32 s9, 0xe000
	v_add_u32_e32 v74, 0x400, v74
	s_barrier
	s_cbranch_scc1 .LBB197_138
.LBB197_134:                            ; =>This Inner Loop Header: Depth=1
	v_add_u32_e32 v40, s9, v61
	v_min_u32_e32 v40, 0x400, v40
	v_lshlrev_b32_e32 v40, 3, v40
	ds_write_b64 v40, v[22:23] offset:1024
	v_add_u32_e32 v40, s9, v71
	v_min_u32_e32 v40, 0x400, v40
	v_lshlrev_b32_e32 v40, 3, v40
	ds_write_b64 v40, v[20:21] offset:1024
	;; [unrolled: 4-line block ×15, first 2 shown]
	v_add_u32_e32 v40, s9, v62
	v_min_u32_e32 v40, 0x400, v40
	v_lshlrev_b32_e32 v40, 3, v40
	v_cmp_gt_u32_e32 vcc, s7, v74
	ds_write_b64 v40, v[50:51] offset:1024
	s_waitcnt lgkmcnt(0)
	s_barrier
	s_and_saveexec_b64 s[2:3], vcc
	s_cbranch_execz .LBB197_136
; %bb.135:                              ;   in Loop: Header=BB197_134 Depth=1
	s_set_gpr_idx_on s10, gpr_idx(SRC0)
	v_mov_b32_e32 v40, v2
	s_set_gpr_idx_off
	v_lshlrev_b32_e32 v40, 2, v40
	ds_read_b32 v40, v40
	ds_read_b64 v[76:77], v72 offset:1024
	v_mov_b32_e32 v75, s51
	s_waitcnt lgkmcnt(1)
	v_add_u32_e32 v40, v74, v40
	v_lshlrev_b64 v[78:79], 3, v[40:41]
	v_add_co_u32_e32 v78, vcc, s50, v78
	v_addc_co_u32_e32 v79, vcc, v75, v79, vcc
	s_waitcnt lgkmcnt(0)
	global_store_dwordx2 v[78:79], v[76:77], off
.LBB197_136:                            ;   in Loop: Header=BB197_134 Depth=1
	s_or_b64 exec, exec, s[2:3]
	v_add_u32_e32 v40, 0x200, v74
	v_cmp_gt_u32_e32 vcc, s7, v40
	s_and_saveexec_b64 s[2:3], vcc
	s_cbranch_execz .LBB197_133
; %bb.137:                              ;   in Loop: Header=BB197_134 Depth=1
	s_add_i32 s11, s10, 1
	s_set_gpr_idx_on s11, gpr_idx(SRC0)
	v_mov_b32_e32 v40, v2
	s_set_gpr_idx_off
	v_lshlrev_b32_e32 v40, 2, v40
	ds_read_b32 v40, v40
	ds_read_b64 v[76:77], v73 offset:4096
	v_mov_b32_e32 v75, s51
	s_waitcnt lgkmcnt(1)
	v_add3_u32 v40, v74, v40, s8
	v_lshlrev_b64 v[78:79], 3, v[40:41]
	v_add_co_u32_e32 v78, vcc, s50, v78
	v_addc_co_u32_e32 v79, vcc, v75, v79, vcc
	s_waitcnt lgkmcnt(0)
	global_store_dwordx2 v[78:79], v[76:77], off
	s_branch .LBB197_133
.LBB197_138:
	s_add_i32 s68, s68, -1
	s_cmp_eq_u32 s68, s33
	s_cselect_b64 s[2:3], -1, 0
	s_and_b64 s[10:11], s[36:37], s[2:3]
	s_mov_b64 s[2:3], 0
	s_mov_b64 s[8:9], 0
                                        ; implicit-def: $vgpr2
	s_and_saveexec_b64 s[12:13], s[10:11]
	s_xor_b64 s[10:11], exec, s[12:13]
; %bb.139:
	s_mov_b64 s[8:9], exec
	v_add_u32_e32 v2, v55, v58
; %bb.140:
	s_or_b64 exec, exec, s[10:11]
	s_and_b64 vcc, exec, s[2:3]
	s_cbranch_vccz .LBB197_200
.LBB197_141:
	s_lshl_b32 s10, s33, 13
	s_mov_b32 s11, 0
	v_mbcnt_hi_u32_b32 v4, -1, v19
	s_lshl_b64 s[2:3], s[10:11], 2
	v_and_b32_e32 v20, 63, v4
	s_add_u32 s2, s44, s2
	v_and_b32_e32 v19, 0x3c00, v1
	v_lshlrev_b32_e32 v1, 2, v20
	v_add_co_u32_e32 v1, vcc, s2, v1
	s_load_dword s14, s[4:5], 0x58
	s_load_dword s2, s[4:5], 0x64
	s_addc_u32 s3, s45, s3
	v_mov_b32_e32 v3, s3
	s_add_u32 s3, s4, 0x58
	v_addc_co_u32_e32 v3, vcc, 0, v3, vcc
	v_lshlrev_b32_e32 v5, 2, v19
	s_addc_u32 s4, s5, 0
	s_waitcnt lgkmcnt(0)
	s_lshr_b32 s5, s2, 16
	v_add_co_u32_e32 v6, vcc, v1, v5
	s_cmp_lt_u32 s6, s14
	v_addc_co_u32_e32 v7, vcc, 0, v3, vcc
	s_cselect_b32 s2, 12, 18
	global_load_dword v21, v[6:7], off
	s_add_u32 s2, s3, s2
	v_mov_b32_e32 v2, 0
	s_addc_u32 s3, s4, 0
	global_load_ushort v1, v2, s[2:3]
	v_mul_u32_u24_e32 v5, 5, v18
	v_lshlrev_b32_e32 v5, 2, v5
	ds_write2_b32 v5, v2, v2 offset0:8 offset1:9
	ds_write2_b32 v5, v2, v2 offset0:10 offset1:11
	ds_write_b32 v5, v2 offset:48
	global_load_dword v22, v[6:7], off offset:256
	global_load_dword v23, v[6:7], off offset:512
	;; [unrolled: 1-line block ×15, first 2 shown]
	v_bfe_u32 v3, v0, 10, 10
	v_bfe_u32 v0, v0, 20, 10
	s_lshl_b32 s2, -1, s57
	v_mad_u32_u24 v0, v0, s5, v3
	s_not_b32 s15, s2
	s_waitcnt lgkmcnt(0)
	s_barrier
	s_waitcnt lgkmcnt(0)
	; wave barrier
	s_waitcnt vmcnt(16)
	v_lshrrev_b32_e32 v3, s56, v21
	v_and_b32_e32 v6, s15, v3
	v_and_b32_e32 v8, 1, v6
	v_lshlrev_b32_e32 v3, 30, v6
	s_waitcnt vmcnt(15)
	v_mad_u64_u32 v[0:1], s[2:3], v0, v1, v[18:19]
	v_add_co_u32_e32 v1, vcc, -1, v8
	v_addc_co_u32_e64 v9, s[2:3], 0, -1, vcc
	v_cmp_ne_u32_e32 vcc, 0, v8
	v_cmp_gt_i64_e64 s[2:3], 0, v[2:3]
	v_not_b32_e32 v8, v3
	v_lshlrev_b32_e32 v3, 29, v6
	v_lshl_add_u32 v7, v6, 3, v6
	v_lshrrev_b32_e32 v16, 6, v0
	v_xor_b32_e32 v0, vcc_hi, v9
	v_xor_b32_e32 v1, vcc_lo, v1
	v_ashrrev_i32_e32 v8, 31, v8
	v_cmp_gt_i64_e32 vcc, 0, v[2:3]
	v_not_b32_e32 v10, v3
	v_lshlrev_b32_e32 v3, 28, v6
	v_add_lshl_u32 v9, v16, v7, 2
	v_and_b32_e32 v0, exec_hi, v0
	v_and_b32_e32 v1, exec_lo, v1
	v_xor_b32_e32 v7, s3, v8
	v_xor_b32_e32 v8, s2, v8
	v_ashrrev_i32_e32 v10, 31, v10
	v_cmp_gt_i64_e64 s[2:3], 0, v[2:3]
	v_not_b32_e32 v3, v3
	v_and_b32_e32 v0, v0, v7
	v_and_b32_e32 v1, v1, v8
	v_xor_b32_e32 v7, vcc_hi, v10
	v_xor_b32_e32 v8, vcc_lo, v10
	v_ashrrev_i32_e32 v3, 31, v3
	v_and_b32_e32 v0, v0, v7
	v_and_b32_e32 v1, v1, v8
	v_xor_b32_e32 v7, s3, v3
	v_xor_b32_e32 v3, s2, v3
	v_and_b32_e32 v1, v1, v3
	v_lshlrev_b32_e32 v3, 27, v6
	v_cmp_gt_i64_e32 vcc, 0, v[2:3]
	v_not_b32_e32 v3, v3
	v_ashrrev_i32_e32 v3, 31, v3
	v_and_b32_e32 v0, v0, v7
	v_xor_b32_e32 v7, vcc_hi, v3
	v_xor_b32_e32 v3, vcc_lo, v3
	v_and_b32_e32 v1, v1, v3
	v_lshlrev_b32_e32 v3, 26, v6
	v_cmp_gt_i64_e32 vcc, 0, v[2:3]
	v_not_b32_e32 v3, v3
	v_ashrrev_i32_e32 v3, 31, v3
	v_and_b32_e32 v0, v0, v7
	v_xor_b32_e32 v7, vcc_hi, v3
	v_xor_b32_e32 v3, vcc_lo, v3
	;; [unrolled: 8-line block ×3, first 2 shown]
	v_and_b32_e32 v0, v0, v7
	v_and_b32_e32 v7, v1, v3
	v_lshlrev_b32_e32 v3, 24, v6
	v_not_b32_e32 v1, v3
	v_cmp_gt_i64_e32 vcc, 0, v[2:3]
	v_ashrrev_i32_e32 v1, 31, v1
	v_xor_b32_e32 v3, vcc_hi, v1
	v_xor_b32_e32 v6, vcc_lo, v1
	v_and_b32_e32 v1, v0, v3
	v_and_b32_e32 v0, v7, v6
	v_mbcnt_lo_u32_b32 v3, v0, 0
	v_mbcnt_hi_u32_b32 v6, v1, v3
	v_cmp_eq_u32_e32 vcc, 0, v6
	v_cmp_ne_u64_e64 s[2:3], 0, v[0:1]
	s_and_b64 s[4:5], s[2:3], vcc
	s_and_saveexec_b64 s[2:3], s[4:5]
	s_cbranch_execz .LBB197_143
; %bb.142:
	v_bcnt_u32_b32 v0, v0, 0
	v_bcnt_u32_b32 v0, v1, v0
	ds_write_b32 v9, v0 offset:32
.LBB197_143:
	s_or_b64 exec, exec, s[2:3]
	s_waitcnt vmcnt(14)
	v_lshrrev_b32_e32 v0, s56, v22
	v_and_b32_e32 v0, s15, v0
	v_lshl_add_u32 v1, v0, 3, v0
	v_add_lshl_u32 v11, v16, v1, 2
	v_and_b32_e32 v1, 1, v0
	v_add_co_u32_e32 v3, vcc, -1, v1
	v_addc_co_u32_e64 v8, s[2:3], 0, -1, vcc
	v_cmp_ne_u32_e32 vcc, 0, v1
	v_xor_b32_e32 v3, vcc_lo, v3
	v_xor_b32_e32 v1, vcc_hi, v8
	v_and_b32_e32 v8, exec_lo, v3
	v_lshlrev_b32_e32 v3, 30, v0
	v_cmp_gt_i64_e32 vcc, 0, v[2:3]
	v_not_b32_e32 v3, v3
	v_ashrrev_i32_e32 v3, 31, v3
	v_xor_b32_e32 v10, vcc_hi, v3
	v_xor_b32_e32 v3, vcc_lo, v3
	v_and_b32_e32 v8, v8, v3
	v_lshlrev_b32_e32 v3, 29, v0
	v_cmp_gt_i64_e32 vcc, 0, v[2:3]
	v_not_b32_e32 v3, v3
	v_and_b32_e32 v1, exec_hi, v1
	v_ashrrev_i32_e32 v3, 31, v3
	v_and_b32_e32 v1, v1, v10
	v_xor_b32_e32 v10, vcc_hi, v3
	v_xor_b32_e32 v3, vcc_lo, v3
	v_and_b32_e32 v8, v8, v3
	v_lshlrev_b32_e32 v3, 28, v0
	v_cmp_gt_i64_e32 vcc, 0, v[2:3]
	v_not_b32_e32 v3, v3
	v_ashrrev_i32_e32 v3, 31, v3
	v_and_b32_e32 v1, v1, v10
	v_xor_b32_e32 v10, vcc_hi, v3
	v_xor_b32_e32 v3, vcc_lo, v3
	v_and_b32_e32 v8, v8, v3
	v_lshlrev_b32_e32 v3, 27, v0
	v_cmp_gt_i64_e32 vcc, 0, v[2:3]
	v_not_b32_e32 v3, v3
	;; [unrolled: 8-line block ×4, first 2 shown]
	v_ashrrev_i32_e32 v3, 31, v3
	v_and_b32_e32 v1, v1, v10
	v_xor_b32_e32 v10, vcc_hi, v3
	v_xor_b32_e32 v3, vcc_lo, v3
	v_and_b32_e32 v8, v8, v3
	v_lshlrev_b32_e32 v3, 24, v0
	v_not_b32_e32 v0, v3
	v_cmp_gt_i64_e32 vcc, 0, v[2:3]
	v_ashrrev_i32_e32 v0, 31, v0
	v_xor_b32_e32 v2, vcc_hi, v0
	v_xor_b32_e32 v0, vcc_lo, v0
	; wave barrier
	ds_read_b32 v7, v11 offset:32
	v_and_b32_e32 v1, v1, v10
	v_and_b32_e32 v0, v8, v0
	v_and_b32_e32 v1, v1, v2
	v_mbcnt_lo_u32_b32 v2, v0, 0
	v_mbcnt_hi_u32_b32 v8, v1, v2
	v_cmp_eq_u32_e32 vcc, 0, v8
	v_cmp_ne_u64_e64 s[2:3], 0, v[0:1]
	s_and_b64 s[4:5], s[2:3], vcc
	; wave barrier
	s_and_saveexec_b64 s[2:3], s[4:5]
	s_cbranch_execz .LBB197_145
; %bb.144:
	v_bcnt_u32_b32 v0, v0, 0
	v_bcnt_u32_b32 v0, v1, v0
	s_waitcnt lgkmcnt(0)
	v_add_u32_e32 v0, v7, v0
	ds_write_b32 v11, v0 offset:32
.LBB197_145:
	s_or_b64 exec, exec, s[2:3]
	s_waitcnt vmcnt(13)
	v_lshrrev_b32_e32 v0, s56, v23
	v_and_b32_e32 v2, s15, v0
	v_and_b32_e32 v1, 1, v2
	v_add_co_u32_e32 v3, vcc, -1, v1
	v_addc_co_u32_e64 v12, s[2:3], 0, -1, vcc
	v_cmp_ne_u32_e32 vcc, 0, v1
	v_lshl_add_u32 v0, v2, 3, v2
	v_xor_b32_e32 v1, vcc_hi, v12
	v_add_lshl_u32 v14, v16, v0, 2
	v_mov_b32_e32 v0, 0
	v_and_b32_e32 v12, exec_hi, v1
	v_lshlrev_b32_e32 v1, 30, v2
	v_xor_b32_e32 v3, vcc_lo, v3
	v_cmp_gt_i64_e32 vcc, 0, v[0:1]
	v_not_b32_e32 v1, v1
	v_ashrrev_i32_e32 v1, 31, v1
	v_and_b32_e32 v3, exec_lo, v3
	v_xor_b32_e32 v13, vcc_hi, v1
	v_xor_b32_e32 v1, vcc_lo, v1
	v_and_b32_e32 v3, v3, v1
	v_lshlrev_b32_e32 v1, 29, v2
	v_cmp_gt_i64_e32 vcc, 0, v[0:1]
	v_not_b32_e32 v1, v1
	v_ashrrev_i32_e32 v1, 31, v1
	v_and_b32_e32 v12, v12, v13
	v_xor_b32_e32 v13, vcc_hi, v1
	v_xor_b32_e32 v1, vcc_lo, v1
	v_and_b32_e32 v3, v3, v1
	v_lshlrev_b32_e32 v1, 28, v2
	v_cmp_gt_i64_e32 vcc, 0, v[0:1]
	v_not_b32_e32 v1, v1
	v_ashrrev_i32_e32 v1, 31, v1
	v_and_b32_e32 v12, v12, v13
	;; [unrolled: 8-line block ×5, first 2 shown]
	v_xor_b32_e32 v13, vcc_hi, v1
	v_xor_b32_e32 v1, vcc_lo, v1
	v_and_b32_e32 v12, v12, v13
	v_and_b32_e32 v13, v3, v1
	v_lshlrev_b32_e32 v1, 24, v2
	v_cmp_gt_i64_e32 vcc, 0, v[0:1]
	v_not_b32_e32 v1, v1
	v_ashrrev_i32_e32 v1, 31, v1
	v_xor_b32_e32 v2, vcc_hi, v1
	v_xor_b32_e32 v1, vcc_lo, v1
	; wave barrier
	ds_read_b32 v10, v14 offset:32
	v_and_b32_e32 v3, v12, v2
	v_and_b32_e32 v2, v13, v1
	v_mbcnt_lo_u32_b32 v1, v2, 0
	v_mbcnt_hi_u32_b32 v12, v3, v1
	v_cmp_eq_u32_e32 vcc, 0, v12
	v_cmp_ne_u64_e64 s[2:3], 0, v[2:3]
	s_and_b64 s[4:5], s[2:3], vcc
	; wave barrier
	s_and_saveexec_b64 s[2:3], s[4:5]
	s_cbranch_execz .LBB197_147
; %bb.146:
	v_bcnt_u32_b32 v1, v2, 0
	v_bcnt_u32_b32 v1, v3, v1
	s_waitcnt lgkmcnt(0)
	v_add_u32_e32 v1, v10, v1
	ds_write_b32 v14, v1 offset:32
.LBB197_147:
	s_or_b64 exec, exec, s[2:3]
	s_waitcnt vmcnt(12)
	v_lshrrev_b32_e32 v1, s56, v24
	v_and_b32_e32 v2, s15, v1
	v_lshl_add_u32 v1, v2, 3, v2
	v_add_lshl_u32 v37, v16, v1, 2
	v_and_b32_e32 v1, 1, v2
	v_add_co_u32_e32 v3, vcc, -1, v1
	v_addc_co_u32_e64 v15, s[2:3], 0, -1, vcc
	v_cmp_ne_u32_e32 vcc, 0, v1
	v_xor_b32_e32 v1, vcc_hi, v15
	v_and_b32_e32 v15, exec_hi, v1
	v_lshlrev_b32_e32 v1, 30, v2
	v_xor_b32_e32 v3, vcc_lo, v3
	v_cmp_gt_i64_e32 vcc, 0, v[0:1]
	v_not_b32_e32 v1, v1
	v_ashrrev_i32_e32 v1, 31, v1
	v_and_b32_e32 v3, exec_lo, v3
	v_xor_b32_e32 v17, vcc_hi, v1
	v_xor_b32_e32 v1, vcc_lo, v1
	v_and_b32_e32 v3, v3, v1
	v_lshlrev_b32_e32 v1, 29, v2
	v_cmp_gt_i64_e32 vcc, 0, v[0:1]
	v_not_b32_e32 v1, v1
	v_ashrrev_i32_e32 v1, 31, v1
	v_and_b32_e32 v15, v15, v17
	v_xor_b32_e32 v17, vcc_hi, v1
	v_xor_b32_e32 v1, vcc_lo, v1
	v_and_b32_e32 v3, v3, v1
	v_lshlrev_b32_e32 v1, 28, v2
	v_cmp_gt_i64_e32 vcc, 0, v[0:1]
	v_not_b32_e32 v1, v1
	v_ashrrev_i32_e32 v1, 31, v1
	v_and_b32_e32 v15, v15, v17
	;; [unrolled: 8-line block ×5, first 2 shown]
	v_xor_b32_e32 v17, vcc_hi, v1
	v_xor_b32_e32 v1, vcc_lo, v1
	v_and_b32_e32 v3, v3, v1
	v_lshlrev_b32_e32 v1, 24, v2
	v_cmp_gt_i64_e32 vcc, 0, v[0:1]
	v_not_b32_e32 v0, v1
	v_ashrrev_i32_e32 v0, 31, v0
	v_xor_b32_e32 v1, vcc_hi, v0
	v_xor_b32_e32 v0, vcc_lo, v0
	; wave barrier
	ds_read_b32 v13, v37 offset:32
	v_and_b32_e32 v15, v15, v17
	v_and_b32_e32 v0, v3, v0
	;; [unrolled: 1-line block ×3, first 2 shown]
	v_mbcnt_lo_u32_b32 v2, v0, 0
	v_mbcnt_hi_u32_b32 v15, v1, v2
	v_cmp_eq_u32_e32 vcc, 0, v15
	v_cmp_ne_u64_e64 s[2:3], 0, v[0:1]
	s_and_b64 s[4:5], s[2:3], vcc
	; wave barrier
	s_and_saveexec_b64 s[2:3], s[4:5]
	s_cbranch_execz .LBB197_149
; %bb.148:
	v_bcnt_u32_b32 v0, v0, 0
	v_bcnt_u32_b32 v0, v1, v0
	s_waitcnt lgkmcnt(0)
	v_add_u32_e32 v0, v13, v0
	ds_write_b32 v37, v0 offset:32
.LBB197_149:
	s_or_b64 exec, exec, s[2:3]
	s_waitcnt vmcnt(11)
	v_lshrrev_b32_e32 v0, s56, v25
	v_and_b32_e32 v2, s15, v0
	v_and_b32_e32 v1, 1, v2
	v_add_co_u32_e32 v3, vcc, -1, v1
	v_addc_co_u32_e64 v38, s[2:3], 0, -1, vcc
	v_cmp_ne_u32_e32 vcc, 0, v1
	v_lshl_add_u32 v0, v2, 3, v2
	v_xor_b32_e32 v1, vcc_hi, v38
	v_add_lshl_u32 v40, v16, v0, 2
	v_mov_b32_e32 v0, 0
	v_and_b32_e32 v38, exec_hi, v1
	v_lshlrev_b32_e32 v1, 30, v2
	v_xor_b32_e32 v3, vcc_lo, v3
	v_cmp_gt_i64_e32 vcc, 0, v[0:1]
	v_not_b32_e32 v1, v1
	v_ashrrev_i32_e32 v1, 31, v1
	v_and_b32_e32 v3, exec_lo, v3
	v_xor_b32_e32 v39, vcc_hi, v1
	v_xor_b32_e32 v1, vcc_lo, v1
	v_and_b32_e32 v3, v3, v1
	v_lshlrev_b32_e32 v1, 29, v2
	v_cmp_gt_i64_e32 vcc, 0, v[0:1]
	v_not_b32_e32 v1, v1
	v_ashrrev_i32_e32 v1, 31, v1
	v_and_b32_e32 v38, v38, v39
	v_xor_b32_e32 v39, vcc_hi, v1
	v_xor_b32_e32 v1, vcc_lo, v1
	v_and_b32_e32 v3, v3, v1
	v_lshlrev_b32_e32 v1, 28, v2
	v_cmp_gt_i64_e32 vcc, 0, v[0:1]
	v_not_b32_e32 v1, v1
	v_ashrrev_i32_e32 v1, 31, v1
	v_and_b32_e32 v38, v38, v39
	;; [unrolled: 8-line block ×5, first 2 shown]
	v_xor_b32_e32 v39, vcc_hi, v1
	v_xor_b32_e32 v1, vcc_lo, v1
	v_and_b32_e32 v38, v38, v39
	v_and_b32_e32 v39, v3, v1
	v_lshlrev_b32_e32 v1, 24, v2
	v_cmp_gt_i64_e32 vcc, 0, v[0:1]
	v_not_b32_e32 v1, v1
	v_ashrrev_i32_e32 v1, 31, v1
	v_xor_b32_e32 v2, vcc_hi, v1
	v_xor_b32_e32 v1, vcc_lo, v1
	; wave barrier
	ds_read_b32 v17, v40 offset:32
	v_and_b32_e32 v3, v38, v2
	v_and_b32_e32 v2, v39, v1
	v_mbcnt_lo_u32_b32 v1, v2, 0
	v_mbcnt_hi_u32_b32 v38, v3, v1
	v_cmp_eq_u32_e32 vcc, 0, v38
	v_cmp_ne_u64_e64 s[2:3], 0, v[2:3]
	s_and_b64 s[4:5], s[2:3], vcc
	; wave barrier
	s_and_saveexec_b64 s[2:3], s[4:5]
	s_cbranch_execz .LBB197_151
; %bb.150:
	v_bcnt_u32_b32 v1, v2, 0
	v_bcnt_u32_b32 v1, v3, v1
	s_waitcnt lgkmcnt(0)
	v_add_u32_e32 v1, v17, v1
	ds_write_b32 v40, v1 offset:32
.LBB197_151:
	s_or_b64 exec, exec, s[2:3]
	s_waitcnt vmcnt(10)
	v_lshrrev_b32_e32 v1, s56, v26
	v_and_b32_e32 v2, s15, v1
	v_lshl_add_u32 v1, v2, 3, v2
	v_add_lshl_u32 v43, v16, v1, 2
	v_and_b32_e32 v1, 1, v2
	v_add_co_u32_e32 v3, vcc, -1, v1
	v_addc_co_u32_e64 v41, s[2:3], 0, -1, vcc
	v_cmp_ne_u32_e32 vcc, 0, v1
	v_xor_b32_e32 v1, vcc_hi, v41
	v_and_b32_e32 v41, exec_hi, v1
	v_lshlrev_b32_e32 v1, 30, v2
	v_xor_b32_e32 v3, vcc_lo, v3
	v_cmp_gt_i64_e32 vcc, 0, v[0:1]
	v_not_b32_e32 v1, v1
	v_ashrrev_i32_e32 v1, 31, v1
	v_and_b32_e32 v3, exec_lo, v3
	v_xor_b32_e32 v42, vcc_hi, v1
	v_xor_b32_e32 v1, vcc_lo, v1
	v_and_b32_e32 v3, v3, v1
	v_lshlrev_b32_e32 v1, 29, v2
	v_cmp_gt_i64_e32 vcc, 0, v[0:1]
	v_not_b32_e32 v1, v1
	v_ashrrev_i32_e32 v1, 31, v1
	v_and_b32_e32 v41, v41, v42
	v_xor_b32_e32 v42, vcc_hi, v1
	v_xor_b32_e32 v1, vcc_lo, v1
	v_and_b32_e32 v3, v3, v1
	v_lshlrev_b32_e32 v1, 28, v2
	v_cmp_gt_i64_e32 vcc, 0, v[0:1]
	v_not_b32_e32 v1, v1
	v_ashrrev_i32_e32 v1, 31, v1
	v_and_b32_e32 v41, v41, v42
	;; [unrolled: 8-line block ×5, first 2 shown]
	v_xor_b32_e32 v42, vcc_hi, v1
	v_xor_b32_e32 v1, vcc_lo, v1
	v_and_b32_e32 v3, v3, v1
	v_lshlrev_b32_e32 v1, 24, v2
	v_cmp_gt_i64_e32 vcc, 0, v[0:1]
	v_not_b32_e32 v0, v1
	v_ashrrev_i32_e32 v0, 31, v0
	v_xor_b32_e32 v1, vcc_hi, v0
	v_xor_b32_e32 v0, vcc_lo, v0
	; wave barrier
	ds_read_b32 v39, v43 offset:32
	v_and_b32_e32 v41, v41, v42
	v_and_b32_e32 v0, v3, v0
	;; [unrolled: 1-line block ×3, first 2 shown]
	v_mbcnt_lo_u32_b32 v2, v0, 0
	v_mbcnt_hi_u32_b32 v41, v1, v2
	v_cmp_eq_u32_e32 vcc, 0, v41
	v_cmp_ne_u64_e64 s[2:3], 0, v[0:1]
	s_and_b64 s[4:5], s[2:3], vcc
	; wave barrier
	s_and_saveexec_b64 s[2:3], s[4:5]
	s_cbranch_execz .LBB197_153
; %bb.152:
	v_bcnt_u32_b32 v0, v0, 0
	v_bcnt_u32_b32 v0, v1, v0
	s_waitcnt lgkmcnt(0)
	v_add_u32_e32 v0, v39, v0
	ds_write_b32 v43, v0 offset:32
.LBB197_153:
	s_or_b64 exec, exec, s[2:3]
	s_waitcnt vmcnt(9)
	v_lshrrev_b32_e32 v0, s56, v27
	v_and_b32_e32 v2, s15, v0
	v_and_b32_e32 v1, 1, v2
	v_add_co_u32_e32 v3, vcc, -1, v1
	v_addc_co_u32_e64 v44, s[2:3], 0, -1, vcc
	v_cmp_ne_u32_e32 vcc, 0, v1
	v_lshl_add_u32 v0, v2, 3, v2
	v_xor_b32_e32 v1, vcc_hi, v44
	v_add_lshl_u32 v46, v16, v0, 2
	v_mov_b32_e32 v0, 0
	v_and_b32_e32 v44, exec_hi, v1
	v_lshlrev_b32_e32 v1, 30, v2
	v_xor_b32_e32 v3, vcc_lo, v3
	v_cmp_gt_i64_e32 vcc, 0, v[0:1]
	v_not_b32_e32 v1, v1
	v_ashrrev_i32_e32 v1, 31, v1
	v_and_b32_e32 v3, exec_lo, v3
	v_xor_b32_e32 v45, vcc_hi, v1
	v_xor_b32_e32 v1, vcc_lo, v1
	v_and_b32_e32 v3, v3, v1
	v_lshlrev_b32_e32 v1, 29, v2
	v_cmp_gt_i64_e32 vcc, 0, v[0:1]
	v_not_b32_e32 v1, v1
	v_ashrrev_i32_e32 v1, 31, v1
	v_and_b32_e32 v44, v44, v45
	v_xor_b32_e32 v45, vcc_hi, v1
	v_xor_b32_e32 v1, vcc_lo, v1
	v_and_b32_e32 v3, v3, v1
	v_lshlrev_b32_e32 v1, 28, v2
	v_cmp_gt_i64_e32 vcc, 0, v[0:1]
	v_not_b32_e32 v1, v1
	v_ashrrev_i32_e32 v1, 31, v1
	v_and_b32_e32 v44, v44, v45
	;; [unrolled: 8-line block ×5, first 2 shown]
	v_xor_b32_e32 v45, vcc_hi, v1
	v_xor_b32_e32 v1, vcc_lo, v1
	v_and_b32_e32 v44, v44, v45
	v_and_b32_e32 v45, v3, v1
	v_lshlrev_b32_e32 v1, 24, v2
	v_cmp_gt_i64_e32 vcc, 0, v[0:1]
	v_not_b32_e32 v1, v1
	v_ashrrev_i32_e32 v1, 31, v1
	v_xor_b32_e32 v2, vcc_hi, v1
	v_xor_b32_e32 v1, vcc_lo, v1
	; wave barrier
	ds_read_b32 v42, v46 offset:32
	v_and_b32_e32 v3, v44, v2
	v_and_b32_e32 v2, v45, v1
	v_mbcnt_lo_u32_b32 v1, v2, 0
	v_mbcnt_hi_u32_b32 v44, v3, v1
	v_cmp_eq_u32_e32 vcc, 0, v44
	v_cmp_ne_u64_e64 s[2:3], 0, v[2:3]
	s_and_b64 s[4:5], s[2:3], vcc
	; wave barrier
	s_and_saveexec_b64 s[2:3], s[4:5]
	s_cbranch_execz .LBB197_155
; %bb.154:
	v_bcnt_u32_b32 v1, v2, 0
	v_bcnt_u32_b32 v1, v3, v1
	s_waitcnt lgkmcnt(0)
	v_add_u32_e32 v1, v42, v1
	ds_write_b32 v46, v1 offset:32
.LBB197_155:
	s_or_b64 exec, exec, s[2:3]
	s_waitcnt vmcnt(8)
	v_lshrrev_b32_e32 v1, s56, v28
	v_and_b32_e32 v2, s15, v1
	v_lshl_add_u32 v1, v2, 3, v2
	v_add_lshl_u32 v49, v16, v1, 2
	v_and_b32_e32 v1, 1, v2
	v_add_co_u32_e32 v3, vcc, -1, v1
	v_addc_co_u32_e64 v47, s[2:3], 0, -1, vcc
	v_cmp_ne_u32_e32 vcc, 0, v1
	v_xor_b32_e32 v1, vcc_hi, v47
	v_and_b32_e32 v47, exec_hi, v1
	v_lshlrev_b32_e32 v1, 30, v2
	v_xor_b32_e32 v3, vcc_lo, v3
	v_cmp_gt_i64_e32 vcc, 0, v[0:1]
	v_not_b32_e32 v1, v1
	v_ashrrev_i32_e32 v1, 31, v1
	v_and_b32_e32 v3, exec_lo, v3
	v_xor_b32_e32 v48, vcc_hi, v1
	v_xor_b32_e32 v1, vcc_lo, v1
	v_and_b32_e32 v3, v3, v1
	v_lshlrev_b32_e32 v1, 29, v2
	v_cmp_gt_i64_e32 vcc, 0, v[0:1]
	v_not_b32_e32 v1, v1
	v_ashrrev_i32_e32 v1, 31, v1
	v_and_b32_e32 v47, v47, v48
	v_xor_b32_e32 v48, vcc_hi, v1
	v_xor_b32_e32 v1, vcc_lo, v1
	v_and_b32_e32 v3, v3, v1
	v_lshlrev_b32_e32 v1, 28, v2
	v_cmp_gt_i64_e32 vcc, 0, v[0:1]
	v_not_b32_e32 v1, v1
	v_ashrrev_i32_e32 v1, 31, v1
	v_and_b32_e32 v47, v47, v48
	;; [unrolled: 8-line block ×5, first 2 shown]
	v_xor_b32_e32 v48, vcc_hi, v1
	v_xor_b32_e32 v1, vcc_lo, v1
	v_and_b32_e32 v3, v3, v1
	v_lshlrev_b32_e32 v1, 24, v2
	v_cmp_gt_i64_e32 vcc, 0, v[0:1]
	v_not_b32_e32 v0, v1
	v_ashrrev_i32_e32 v0, 31, v0
	v_xor_b32_e32 v1, vcc_hi, v0
	v_xor_b32_e32 v0, vcc_lo, v0
	; wave barrier
	ds_read_b32 v45, v49 offset:32
	v_and_b32_e32 v47, v47, v48
	v_and_b32_e32 v0, v3, v0
	;; [unrolled: 1-line block ×3, first 2 shown]
	v_mbcnt_lo_u32_b32 v2, v0, 0
	v_mbcnt_hi_u32_b32 v47, v1, v2
	v_cmp_eq_u32_e32 vcc, 0, v47
	v_cmp_ne_u64_e64 s[2:3], 0, v[0:1]
	s_and_b64 s[4:5], s[2:3], vcc
	; wave barrier
	s_and_saveexec_b64 s[2:3], s[4:5]
	s_cbranch_execz .LBB197_157
; %bb.156:
	v_bcnt_u32_b32 v0, v0, 0
	v_bcnt_u32_b32 v0, v1, v0
	s_waitcnt lgkmcnt(0)
	v_add_u32_e32 v0, v45, v0
	ds_write_b32 v49, v0 offset:32
.LBB197_157:
	s_or_b64 exec, exec, s[2:3]
	s_waitcnt vmcnt(7)
	v_lshrrev_b32_e32 v0, s56, v29
	v_and_b32_e32 v2, s15, v0
	v_and_b32_e32 v1, 1, v2
	v_add_co_u32_e32 v3, vcc, -1, v1
	v_addc_co_u32_e64 v50, s[2:3], 0, -1, vcc
	v_cmp_ne_u32_e32 vcc, 0, v1
	v_lshl_add_u32 v0, v2, 3, v2
	v_xor_b32_e32 v1, vcc_hi, v50
	v_add_lshl_u32 v52, v16, v0, 2
	v_mov_b32_e32 v0, 0
	v_and_b32_e32 v50, exec_hi, v1
	v_lshlrev_b32_e32 v1, 30, v2
	v_xor_b32_e32 v3, vcc_lo, v3
	v_cmp_gt_i64_e32 vcc, 0, v[0:1]
	v_not_b32_e32 v1, v1
	v_ashrrev_i32_e32 v1, 31, v1
	v_and_b32_e32 v3, exec_lo, v3
	v_xor_b32_e32 v51, vcc_hi, v1
	v_xor_b32_e32 v1, vcc_lo, v1
	v_and_b32_e32 v3, v3, v1
	v_lshlrev_b32_e32 v1, 29, v2
	v_cmp_gt_i64_e32 vcc, 0, v[0:1]
	v_not_b32_e32 v1, v1
	v_ashrrev_i32_e32 v1, 31, v1
	v_and_b32_e32 v50, v50, v51
	v_xor_b32_e32 v51, vcc_hi, v1
	v_xor_b32_e32 v1, vcc_lo, v1
	v_and_b32_e32 v3, v3, v1
	v_lshlrev_b32_e32 v1, 28, v2
	v_cmp_gt_i64_e32 vcc, 0, v[0:1]
	v_not_b32_e32 v1, v1
	v_ashrrev_i32_e32 v1, 31, v1
	v_and_b32_e32 v50, v50, v51
	v_xor_b32_e32 v51, vcc_hi, v1
	v_xor_b32_e32 v1, vcc_lo, v1
	v_and_b32_e32 v3, v3, v1
	v_lshlrev_b32_e32 v1, 27, v2
	v_cmp_gt_i64_e32 vcc, 0, v[0:1]
	v_not_b32_e32 v1, v1
	v_ashrrev_i32_e32 v1, 31, v1
	v_and_b32_e32 v50, v50, v51
	v_xor_b32_e32 v51, vcc_hi, v1
	v_xor_b32_e32 v1, vcc_lo, v1
	v_and_b32_e32 v3, v3, v1
	v_lshlrev_b32_e32 v1, 26, v2
	v_cmp_gt_i64_e32 vcc, 0, v[0:1]
	v_not_b32_e32 v1, v1
	v_ashrrev_i32_e32 v1, 31, v1
	v_and_b32_e32 v50, v50, v51
	v_xor_b32_e32 v51, vcc_hi, v1
	v_xor_b32_e32 v1, vcc_lo, v1
	v_and_b32_e32 v3, v3, v1
	v_lshlrev_b32_e32 v1, 25, v2
	v_cmp_gt_i64_e32 vcc, 0, v[0:1]
	v_not_b32_e32 v1, v1
	v_ashrrev_i32_e32 v1, 31, v1
	v_and_b32_e32 v50, v50, v51
	v_xor_b32_e32 v51, vcc_hi, v1
	v_xor_b32_e32 v1, vcc_lo, v1
	v_and_b32_e32 v50, v50, v51
	v_and_b32_e32 v51, v3, v1
	v_lshlrev_b32_e32 v1, 24, v2
	v_cmp_gt_i64_e32 vcc, 0, v[0:1]
	v_not_b32_e32 v1, v1
	v_ashrrev_i32_e32 v1, 31, v1
	v_xor_b32_e32 v2, vcc_hi, v1
	v_xor_b32_e32 v1, vcc_lo, v1
	; wave barrier
	ds_read_b32 v48, v52 offset:32
	v_and_b32_e32 v3, v50, v2
	v_and_b32_e32 v2, v51, v1
	v_mbcnt_lo_u32_b32 v1, v2, 0
	v_mbcnt_hi_u32_b32 v50, v3, v1
	v_cmp_eq_u32_e32 vcc, 0, v50
	v_cmp_ne_u64_e64 s[2:3], 0, v[2:3]
	s_and_b64 s[4:5], s[2:3], vcc
	; wave barrier
	s_and_saveexec_b64 s[2:3], s[4:5]
	s_cbranch_execz .LBB197_159
; %bb.158:
	v_bcnt_u32_b32 v1, v2, 0
	v_bcnt_u32_b32 v1, v3, v1
	s_waitcnt lgkmcnt(0)
	v_add_u32_e32 v1, v48, v1
	ds_write_b32 v52, v1 offset:32
.LBB197_159:
	s_or_b64 exec, exec, s[2:3]
	s_waitcnt vmcnt(6)
	v_lshrrev_b32_e32 v1, s56, v30
	v_and_b32_e32 v2, s15, v1
	v_lshl_add_u32 v1, v2, 3, v2
	v_add_lshl_u32 v55, v16, v1, 2
	v_and_b32_e32 v1, 1, v2
	v_add_co_u32_e32 v3, vcc, -1, v1
	v_addc_co_u32_e64 v53, s[2:3], 0, -1, vcc
	v_cmp_ne_u32_e32 vcc, 0, v1
	v_xor_b32_e32 v1, vcc_hi, v53
	v_and_b32_e32 v53, exec_hi, v1
	v_lshlrev_b32_e32 v1, 30, v2
	v_xor_b32_e32 v3, vcc_lo, v3
	v_cmp_gt_i64_e32 vcc, 0, v[0:1]
	v_not_b32_e32 v1, v1
	v_ashrrev_i32_e32 v1, 31, v1
	v_and_b32_e32 v3, exec_lo, v3
	v_xor_b32_e32 v54, vcc_hi, v1
	v_xor_b32_e32 v1, vcc_lo, v1
	v_and_b32_e32 v3, v3, v1
	v_lshlrev_b32_e32 v1, 29, v2
	v_cmp_gt_i64_e32 vcc, 0, v[0:1]
	v_not_b32_e32 v1, v1
	v_ashrrev_i32_e32 v1, 31, v1
	v_and_b32_e32 v53, v53, v54
	v_xor_b32_e32 v54, vcc_hi, v1
	v_xor_b32_e32 v1, vcc_lo, v1
	v_and_b32_e32 v3, v3, v1
	v_lshlrev_b32_e32 v1, 28, v2
	v_cmp_gt_i64_e32 vcc, 0, v[0:1]
	v_not_b32_e32 v1, v1
	v_ashrrev_i32_e32 v1, 31, v1
	v_and_b32_e32 v53, v53, v54
	;; [unrolled: 8-line block ×5, first 2 shown]
	v_xor_b32_e32 v54, vcc_hi, v1
	v_xor_b32_e32 v1, vcc_lo, v1
	v_and_b32_e32 v3, v3, v1
	v_lshlrev_b32_e32 v1, 24, v2
	v_cmp_gt_i64_e32 vcc, 0, v[0:1]
	v_not_b32_e32 v0, v1
	v_ashrrev_i32_e32 v0, 31, v0
	v_xor_b32_e32 v1, vcc_hi, v0
	v_xor_b32_e32 v0, vcc_lo, v0
	; wave barrier
	ds_read_b32 v51, v55 offset:32
	v_and_b32_e32 v53, v53, v54
	v_and_b32_e32 v0, v3, v0
	;; [unrolled: 1-line block ×3, first 2 shown]
	v_mbcnt_lo_u32_b32 v2, v0, 0
	v_mbcnt_hi_u32_b32 v53, v1, v2
	v_cmp_eq_u32_e32 vcc, 0, v53
	v_cmp_ne_u64_e64 s[2:3], 0, v[0:1]
	s_and_b64 s[4:5], s[2:3], vcc
	; wave barrier
	s_and_saveexec_b64 s[2:3], s[4:5]
	s_cbranch_execz .LBB197_161
; %bb.160:
	v_bcnt_u32_b32 v0, v0, 0
	v_bcnt_u32_b32 v0, v1, v0
	s_waitcnt lgkmcnt(0)
	v_add_u32_e32 v0, v51, v0
	ds_write_b32 v55, v0 offset:32
.LBB197_161:
	s_or_b64 exec, exec, s[2:3]
	s_waitcnt vmcnt(5)
	v_lshrrev_b32_e32 v0, s56, v31
	v_and_b32_e32 v2, s15, v0
	v_and_b32_e32 v1, 1, v2
	v_add_co_u32_e32 v3, vcc, -1, v1
	v_addc_co_u32_e64 v56, s[2:3], 0, -1, vcc
	v_cmp_ne_u32_e32 vcc, 0, v1
	v_lshl_add_u32 v0, v2, 3, v2
	v_xor_b32_e32 v1, vcc_hi, v56
	v_add_lshl_u32 v58, v16, v0, 2
	v_mov_b32_e32 v0, 0
	v_and_b32_e32 v56, exec_hi, v1
	v_lshlrev_b32_e32 v1, 30, v2
	v_xor_b32_e32 v3, vcc_lo, v3
	v_cmp_gt_i64_e32 vcc, 0, v[0:1]
	v_not_b32_e32 v1, v1
	v_ashrrev_i32_e32 v1, 31, v1
	v_and_b32_e32 v3, exec_lo, v3
	v_xor_b32_e32 v57, vcc_hi, v1
	v_xor_b32_e32 v1, vcc_lo, v1
	v_and_b32_e32 v3, v3, v1
	v_lshlrev_b32_e32 v1, 29, v2
	v_cmp_gt_i64_e32 vcc, 0, v[0:1]
	v_not_b32_e32 v1, v1
	v_ashrrev_i32_e32 v1, 31, v1
	v_and_b32_e32 v56, v56, v57
	v_xor_b32_e32 v57, vcc_hi, v1
	v_xor_b32_e32 v1, vcc_lo, v1
	v_and_b32_e32 v3, v3, v1
	v_lshlrev_b32_e32 v1, 28, v2
	v_cmp_gt_i64_e32 vcc, 0, v[0:1]
	v_not_b32_e32 v1, v1
	v_ashrrev_i32_e32 v1, 31, v1
	v_and_b32_e32 v56, v56, v57
	;; [unrolled: 8-line block ×5, first 2 shown]
	v_xor_b32_e32 v57, vcc_hi, v1
	v_xor_b32_e32 v1, vcc_lo, v1
	v_and_b32_e32 v56, v56, v57
	v_and_b32_e32 v57, v3, v1
	v_lshlrev_b32_e32 v1, 24, v2
	v_cmp_gt_i64_e32 vcc, 0, v[0:1]
	v_not_b32_e32 v1, v1
	v_ashrrev_i32_e32 v1, 31, v1
	v_xor_b32_e32 v2, vcc_hi, v1
	v_xor_b32_e32 v1, vcc_lo, v1
	; wave barrier
	ds_read_b32 v54, v58 offset:32
	v_and_b32_e32 v3, v56, v2
	v_and_b32_e32 v2, v57, v1
	v_mbcnt_lo_u32_b32 v1, v2, 0
	v_mbcnt_hi_u32_b32 v56, v3, v1
	v_cmp_eq_u32_e32 vcc, 0, v56
	v_cmp_ne_u64_e64 s[2:3], 0, v[2:3]
	s_and_b64 s[4:5], s[2:3], vcc
	; wave barrier
	s_and_saveexec_b64 s[2:3], s[4:5]
	s_cbranch_execz .LBB197_163
; %bb.162:
	v_bcnt_u32_b32 v1, v2, 0
	v_bcnt_u32_b32 v1, v3, v1
	s_waitcnt lgkmcnt(0)
	v_add_u32_e32 v1, v54, v1
	ds_write_b32 v58, v1 offset:32
.LBB197_163:
	s_or_b64 exec, exec, s[2:3]
	s_waitcnt vmcnt(4)
	v_lshrrev_b32_e32 v1, s56, v32
	v_and_b32_e32 v2, s15, v1
	v_lshl_add_u32 v1, v2, 3, v2
	v_add_lshl_u32 v61, v16, v1, 2
	v_and_b32_e32 v1, 1, v2
	v_add_co_u32_e32 v3, vcc, -1, v1
	v_addc_co_u32_e64 v59, s[2:3], 0, -1, vcc
	v_cmp_ne_u32_e32 vcc, 0, v1
	v_xor_b32_e32 v1, vcc_hi, v59
	v_and_b32_e32 v59, exec_hi, v1
	v_lshlrev_b32_e32 v1, 30, v2
	v_xor_b32_e32 v3, vcc_lo, v3
	v_cmp_gt_i64_e32 vcc, 0, v[0:1]
	v_not_b32_e32 v1, v1
	v_ashrrev_i32_e32 v1, 31, v1
	v_and_b32_e32 v3, exec_lo, v3
	v_xor_b32_e32 v60, vcc_hi, v1
	v_xor_b32_e32 v1, vcc_lo, v1
	v_and_b32_e32 v3, v3, v1
	v_lshlrev_b32_e32 v1, 29, v2
	v_cmp_gt_i64_e32 vcc, 0, v[0:1]
	v_not_b32_e32 v1, v1
	v_ashrrev_i32_e32 v1, 31, v1
	v_and_b32_e32 v59, v59, v60
	v_xor_b32_e32 v60, vcc_hi, v1
	v_xor_b32_e32 v1, vcc_lo, v1
	v_and_b32_e32 v3, v3, v1
	v_lshlrev_b32_e32 v1, 28, v2
	v_cmp_gt_i64_e32 vcc, 0, v[0:1]
	v_not_b32_e32 v1, v1
	v_ashrrev_i32_e32 v1, 31, v1
	v_and_b32_e32 v59, v59, v60
	;; [unrolled: 8-line block ×5, first 2 shown]
	v_xor_b32_e32 v60, vcc_hi, v1
	v_xor_b32_e32 v1, vcc_lo, v1
	v_and_b32_e32 v3, v3, v1
	v_lshlrev_b32_e32 v1, 24, v2
	v_cmp_gt_i64_e32 vcc, 0, v[0:1]
	v_not_b32_e32 v0, v1
	v_ashrrev_i32_e32 v0, 31, v0
	v_xor_b32_e32 v1, vcc_hi, v0
	v_xor_b32_e32 v0, vcc_lo, v0
	; wave barrier
	ds_read_b32 v57, v61 offset:32
	v_and_b32_e32 v59, v59, v60
	v_and_b32_e32 v0, v3, v0
	;; [unrolled: 1-line block ×3, first 2 shown]
	v_mbcnt_lo_u32_b32 v2, v0, 0
	v_mbcnt_hi_u32_b32 v59, v1, v2
	v_cmp_eq_u32_e32 vcc, 0, v59
	v_cmp_ne_u64_e64 s[2:3], 0, v[0:1]
	s_and_b64 s[4:5], s[2:3], vcc
	; wave barrier
	s_and_saveexec_b64 s[2:3], s[4:5]
	s_cbranch_execz .LBB197_165
; %bb.164:
	v_bcnt_u32_b32 v0, v0, 0
	v_bcnt_u32_b32 v0, v1, v0
	s_waitcnt lgkmcnt(0)
	v_add_u32_e32 v0, v57, v0
	ds_write_b32 v61, v0 offset:32
.LBB197_165:
	s_or_b64 exec, exec, s[2:3]
	s_waitcnt vmcnt(3)
	v_lshrrev_b32_e32 v0, s56, v33
	v_and_b32_e32 v2, s15, v0
	v_and_b32_e32 v1, 1, v2
	v_add_co_u32_e32 v3, vcc, -1, v1
	v_addc_co_u32_e64 v62, s[2:3], 0, -1, vcc
	v_cmp_ne_u32_e32 vcc, 0, v1
	v_lshl_add_u32 v0, v2, 3, v2
	v_xor_b32_e32 v1, vcc_hi, v62
	v_add_lshl_u32 v64, v16, v0, 2
	v_mov_b32_e32 v0, 0
	v_and_b32_e32 v62, exec_hi, v1
	v_lshlrev_b32_e32 v1, 30, v2
	v_xor_b32_e32 v3, vcc_lo, v3
	v_cmp_gt_i64_e32 vcc, 0, v[0:1]
	v_not_b32_e32 v1, v1
	v_ashrrev_i32_e32 v1, 31, v1
	v_and_b32_e32 v3, exec_lo, v3
	v_xor_b32_e32 v63, vcc_hi, v1
	v_xor_b32_e32 v1, vcc_lo, v1
	v_and_b32_e32 v3, v3, v1
	v_lshlrev_b32_e32 v1, 29, v2
	v_cmp_gt_i64_e32 vcc, 0, v[0:1]
	v_not_b32_e32 v1, v1
	v_ashrrev_i32_e32 v1, 31, v1
	v_and_b32_e32 v62, v62, v63
	v_xor_b32_e32 v63, vcc_hi, v1
	v_xor_b32_e32 v1, vcc_lo, v1
	v_and_b32_e32 v3, v3, v1
	v_lshlrev_b32_e32 v1, 28, v2
	v_cmp_gt_i64_e32 vcc, 0, v[0:1]
	v_not_b32_e32 v1, v1
	v_ashrrev_i32_e32 v1, 31, v1
	v_and_b32_e32 v62, v62, v63
	;; [unrolled: 8-line block ×5, first 2 shown]
	v_xor_b32_e32 v63, vcc_hi, v1
	v_xor_b32_e32 v1, vcc_lo, v1
	v_and_b32_e32 v62, v62, v63
	v_and_b32_e32 v63, v3, v1
	v_lshlrev_b32_e32 v1, 24, v2
	v_cmp_gt_i64_e32 vcc, 0, v[0:1]
	v_not_b32_e32 v1, v1
	v_ashrrev_i32_e32 v1, 31, v1
	v_xor_b32_e32 v2, vcc_hi, v1
	v_xor_b32_e32 v1, vcc_lo, v1
	; wave barrier
	ds_read_b32 v60, v64 offset:32
	v_and_b32_e32 v3, v62, v2
	v_and_b32_e32 v2, v63, v1
	v_mbcnt_lo_u32_b32 v1, v2, 0
	v_mbcnt_hi_u32_b32 v62, v3, v1
	v_cmp_eq_u32_e32 vcc, 0, v62
	v_cmp_ne_u64_e64 s[2:3], 0, v[2:3]
	s_and_b64 s[4:5], s[2:3], vcc
	; wave barrier
	s_and_saveexec_b64 s[2:3], s[4:5]
	s_cbranch_execz .LBB197_167
; %bb.166:
	v_bcnt_u32_b32 v1, v2, 0
	v_bcnt_u32_b32 v1, v3, v1
	s_waitcnt lgkmcnt(0)
	v_add_u32_e32 v1, v60, v1
	ds_write_b32 v64, v1 offset:32
.LBB197_167:
	s_or_b64 exec, exec, s[2:3]
	s_waitcnt vmcnt(2)
	v_lshrrev_b32_e32 v1, s56, v34
	v_and_b32_e32 v2, s15, v1
	v_lshl_add_u32 v1, v2, 3, v2
	v_add_lshl_u32 v67, v16, v1, 2
	v_and_b32_e32 v1, 1, v2
	v_add_co_u32_e32 v3, vcc, -1, v1
	v_addc_co_u32_e64 v65, s[2:3], 0, -1, vcc
	v_cmp_ne_u32_e32 vcc, 0, v1
	v_xor_b32_e32 v1, vcc_hi, v65
	v_and_b32_e32 v65, exec_hi, v1
	v_lshlrev_b32_e32 v1, 30, v2
	v_xor_b32_e32 v3, vcc_lo, v3
	v_cmp_gt_i64_e32 vcc, 0, v[0:1]
	v_not_b32_e32 v1, v1
	v_ashrrev_i32_e32 v1, 31, v1
	v_and_b32_e32 v3, exec_lo, v3
	v_xor_b32_e32 v66, vcc_hi, v1
	v_xor_b32_e32 v1, vcc_lo, v1
	v_and_b32_e32 v3, v3, v1
	v_lshlrev_b32_e32 v1, 29, v2
	v_cmp_gt_i64_e32 vcc, 0, v[0:1]
	v_not_b32_e32 v1, v1
	v_ashrrev_i32_e32 v1, 31, v1
	v_and_b32_e32 v65, v65, v66
	v_xor_b32_e32 v66, vcc_hi, v1
	v_xor_b32_e32 v1, vcc_lo, v1
	v_and_b32_e32 v3, v3, v1
	v_lshlrev_b32_e32 v1, 28, v2
	v_cmp_gt_i64_e32 vcc, 0, v[0:1]
	v_not_b32_e32 v1, v1
	v_ashrrev_i32_e32 v1, 31, v1
	v_and_b32_e32 v65, v65, v66
	;; [unrolled: 8-line block ×5, first 2 shown]
	v_xor_b32_e32 v66, vcc_hi, v1
	v_xor_b32_e32 v1, vcc_lo, v1
	v_and_b32_e32 v3, v3, v1
	v_lshlrev_b32_e32 v1, 24, v2
	v_cmp_gt_i64_e32 vcc, 0, v[0:1]
	v_not_b32_e32 v0, v1
	v_ashrrev_i32_e32 v0, 31, v0
	v_xor_b32_e32 v1, vcc_hi, v0
	v_xor_b32_e32 v0, vcc_lo, v0
	; wave barrier
	ds_read_b32 v63, v67 offset:32
	v_and_b32_e32 v65, v65, v66
	v_and_b32_e32 v0, v3, v0
	;; [unrolled: 1-line block ×3, first 2 shown]
	v_mbcnt_lo_u32_b32 v2, v0, 0
	v_mbcnt_hi_u32_b32 v65, v1, v2
	v_cmp_eq_u32_e32 vcc, 0, v65
	v_cmp_ne_u64_e64 s[2:3], 0, v[0:1]
	s_and_b64 s[4:5], s[2:3], vcc
	; wave barrier
	s_and_saveexec_b64 s[2:3], s[4:5]
	s_cbranch_execz .LBB197_169
; %bb.168:
	v_bcnt_u32_b32 v0, v0, 0
	v_bcnt_u32_b32 v0, v1, v0
	s_waitcnt lgkmcnt(0)
	v_add_u32_e32 v0, v63, v0
	ds_write_b32 v67, v0 offset:32
.LBB197_169:
	s_or_b64 exec, exec, s[2:3]
	s_waitcnt vmcnt(1)
	v_lshrrev_b32_e32 v0, s56, v35
	v_and_b32_e32 v2, s15, v0
	v_and_b32_e32 v1, 1, v2
	v_add_co_u32_e32 v3, vcc, -1, v1
	v_addc_co_u32_e64 v68, s[2:3], 0, -1, vcc
	v_cmp_ne_u32_e32 vcc, 0, v1
	v_lshl_add_u32 v0, v2, 3, v2
	v_xor_b32_e32 v1, vcc_hi, v68
	v_add_lshl_u32 v69, v16, v0, 2
	v_mov_b32_e32 v0, 0
	v_and_b32_e32 v68, exec_hi, v1
	v_lshlrev_b32_e32 v1, 30, v2
	v_xor_b32_e32 v3, vcc_lo, v3
	v_cmp_gt_i64_e32 vcc, 0, v[0:1]
	v_not_b32_e32 v1, v1
	v_ashrrev_i32_e32 v1, 31, v1
	v_and_b32_e32 v3, exec_lo, v3
	v_xor_b32_e32 v70, vcc_hi, v1
	v_xor_b32_e32 v1, vcc_lo, v1
	v_and_b32_e32 v3, v3, v1
	v_lshlrev_b32_e32 v1, 29, v2
	v_cmp_gt_i64_e32 vcc, 0, v[0:1]
	v_not_b32_e32 v1, v1
	v_ashrrev_i32_e32 v1, 31, v1
	v_and_b32_e32 v68, v68, v70
	v_xor_b32_e32 v70, vcc_hi, v1
	v_xor_b32_e32 v1, vcc_lo, v1
	v_and_b32_e32 v3, v3, v1
	v_lshlrev_b32_e32 v1, 28, v2
	v_cmp_gt_i64_e32 vcc, 0, v[0:1]
	v_not_b32_e32 v1, v1
	v_ashrrev_i32_e32 v1, 31, v1
	v_and_b32_e32 v68, v68, v70
	;; [unrolled: 8-line block ×5, first 2 shown]
	v_xor_b32_e32 v70, vcc_hi, v1
	v_xor_b32_e32 v1, vcc_lo, v1
	v_and_b32_e32 v68, v68, v70
	v_and_b32_e32 v70, v3, v1
	v_lshlrev_b32_e32 v1, 24, v2
	v_cmp_gt_i64_e32 vcc, 0, v[0:1]
	v_not_b32_e32 v1, v1
	v_ashrrev_i32_e32 v1, 31, v1
	v_xor_b32_e32 v2, vcc_hi, v1
	v_xor_b32_e32 v1, vcc_lo, v1
	; wave barrier
	ds_read_b32 v66, v69 offset:32
	v_and_b32_e32 v3, v68, v2
	v_and_b32_e32 v2, v70, v1
	v_mbcnt_lo_u32_b32 v1, v2, 0
	v_mbcnt_hi_u32_b32 v68, v3, v1
	v_cmp_eq_u32_e32 vcc, 0, v68
	v_cmp_ne_u64_e64 s[2:3], 0, v[2:3]
	s_and_b64 s[4:5], s[2:3], vcc
	; wave barrier
	s_and_saveexec_b64 s[2:3], s[4:5]
	s_cbranch_execz .LBB197_171
; %bb.170:
	v_bcnt_u32_b32 v1, v2, 0
	v_bcnt_u32_b32 v1, v3, v1
	s_waitcnt lgkmcnt(0)
	v_add_u32_e32 v1, v66, v1
	ds_write_b32 v69, v1 offset:32
.LBB197_171:
	s_or_b64 exec, exec, s[2:3]
	s_waitcnt vmcnt(0)
	v_lshrrev_b32_e32 v1, s56, v36
	v_and_b32_e32 v2, s15, v1
	v_lshl_add_u32 v1, v2, 3, v2
	v_add_lshl_u32 v71, v16, v1, 2
	v_and_b32_e32 v1, 1, v2
	v_add_co_u32_e32 v3, vcc, -1, v1
	v_addc_co_u32_e64 v70, s[2:3], 0, -1, vcc
	v_cmp_ne_u32_e32 vcc, 0, v1
	v_xor_b32_e32 v1, vcc_hi, v70
	v_and_b32_e32 v70, exec_hi, v1
	v_lshlrev_b32_e32 v1, 30, v2
	v_xor_b32_e32 v3, vcc_lo, v3
	v_cmp_gt_i64_e32 vcc, 0, v[0:1]
	v_not_b32_e32 v1, v1
	v_ashrrev_i32_e32 v1, 31, v1
	v_and_b32_e32 v3, exec_lo, v3
	v_xor_b32_e32 v73, vcc_hi, v1
	v_xor_b32_e32 v1, vcc_lo, v1
	v_and_b32_e32 v3, v3, v1
	v_lshlrev_b32_e32 v1, 29, v2
	v_cmp_gt_i64_e32 vcc, 0, v[0:1]
	v_not_b32_e32 v1, v1
	v_ashrrev_i32_e32 v1, 31, v1
	v_and_b32_e32 v70, v70, v73
	v_xor_b32_e32 v73, vcc_hi, v1
	v_xor_b32_e32 v1, vcc_lo, v1
	v_and_b32_e32 v3, v3, v1
	v_lshlrev_b32_e32 v1, 28, v2
	v_cmp_gt_i64_e32 vcc, 0, v[0:1]
	v_not_b32_e32 v1, v1
	v_ashrrev_i32_e32 v1, 31, v1
	v_and_b32_e32 v70, v70, v73
	;; [unrolled: 8-line block ×5, first 2 shown]
	v_xor_b32_e32 v73, vcc_hi, v1
	v_xor_b32_e32 v1, vcc_lo, v1
	v_and_b32_e32 v3, v3, v1
	v_lshlrev_b32_e32 v1, 24, v2
	v_cmp_gt_i64_e32 vcc, 0, v[0:1]
	v_not_b32_e32 v0, v1
	v_ashrrev_i32_e32 v0, 31, v0
	v_xor_b32_e32 v1, vcc_hi, v0
	v_xor_b32_e32 v0, vcc_lo, v0
	; wave barrier
	ds_read_b32 v16, v71 offset:32
	v_and_b32_e32 v70, v70, v73
	v_and_b32_e32 v0, v3, v0
	;; [unrolled: 1-line block ×3, first 2 shown]
	v_mbcnt_lo_u32_b32 v2, v0, 0
	v_mbcnt_hi_u32_b32 v70, v1, v2
	v_cmp_eq_u32_e32 vcc, 0, v70
	v_cmp_ne_u64_e64 s[2:3], 0, v[0:1]
	v_add_u32_e32 v72, 32, v5
	s_and_b64 s[4:5], s[2:3], vcc
	; wave barrier
	s_and_saveexec_b64 s[2:3], s[4:5]
	s_cbranch_execz .LBB197_173
; %bb.172:
	v_bcnt_u32_b32 v0, v0, 0
	v_bcnt_u32_b32 v0, v1, v0
	s_waitcnt lgkmcnt(0)
	v_add_u32_e32 v0, v16, v0
	ds_write_b32 v71, v0 offset:32
.LBB197_173:
	s_or_b64 exec, exec, s[2:3]
	; wave barrier
	s_waitcnt lgkmcnt(0)
	s_barrier
	ds_read2_b32 v[2:3], v5 offset0:8 offset1:9
	ds_read2_b32 v[0:1], v72 offset0:2 offset1:3
	ds_read_b32 v73, v72 offset:16
	s_waitcnt lgkmcnt(1)
	v_add3_u32 v74, v3, v2, v0
	s_waitcnt lgkmcnt(0)
	v_add3_u32 v73, v74, v1, v73
	v_and_b32_e32 v74, 15, v4
	v_cmp_ne_u32_e32 vcc, 0, v74
	v_mov_b32_dpp v75, v73 row_shr:1 row_mask:0xf bank_mask:0xf
	v_cndmask_b32_e32 v75, 0, v75, vcc
	v_add_u32_e32 v73, v75, v73
	v_cmp_lt_u32_e32 vcc, 1, v74
	s_nop 0
	v_mov_b32_dpp v75, v73 row_shr:2 row_mask:0xf bank_mask:0xf
	v_cndmask_b32_e32 v75, 0, v75, vcc
	v_add_u32_e32 v73, v73, v75
	v_cmp_lt_u32_e32 vcc, 3, v74
	s_nop 0
	;; [unrolled: 5-line block ×3, first 2 shown]
	v_mov_b32_dpp v75, v73 row_shr:8 row_mask:0xf bank_mask:0xf
	v_cndmask_b32_e32 v74, 0, v75, vcc
	v_add_u32_e32 v73, v73, v74
	v_bfe_i32 v75, v4, 4, 1
	v_cmp_lt_u32_e32 vcc, 31, v4
	v_mov_b32_dpp v74, v73 row_bcast:15 row_mask:0xf bank_mask:0xf
	v_and_b32_e32 v74, v75, v74
	v_add_u32_e32 v73, v73, v74
	v_and_b32_e32 v75, 0x3c0, v18
	v_min_u32_e32 v75, 0x1c0, v75
	v_mov_b32_dpp v74, v73 row_bcast:31 row_mask:0xf bank_mask:0xf
	v_cndmask_b32_e32 v74, 0, v74, vcc
	v_or_b32_e32 v75, 63, v75
	v_add_u32_e32 v73, v73, v74
	v_lshrrev_b32_e32 v74, 6, v18
	v_cmp_eq_u32_e32 vcc, v75, v18
	s_and_saveexec_b64 s[2:3], vcc
	s_cbranch_execz .LBB197_175
; %bb.174:
	v_lshlrev_b32_e32 v75, 2, v74
	ds_write_b32 v75, v73
.LBB197_175:
	s_or_b64 exec, exec, s[2:3]
	v_cmp_gt_u32_e32 vcc, 8, v18
	s_waitcnt lgkmcnt(0)
	s_barrier
	s_and_saveexec_b64 s[2:3], vcc
	s_cbranch_execz .LBB197_177
; %bb.176:
	v_lshlrev_b32_e32 v75, 2, v18
	ds_read_b32 v76, v75
	v_and_b32_e32 v77, 7, v4
	v_cmp_ne_u32_e32 vcc, 0, v77
	s_waitcnt lgkmcnt(0)
	v_mov_b32_dpp v78, v76 row_shr:1 row_mask:0xf bank_mask:0xf
	v_cndmask_b32_e32 v78, 0, v78, vcc
	v_add_u32_e32 v76, v78, v76
	v_cmp_lt_u32_e32 vcc, 1, v77
	s_nop 0
	v_mov_b32_dpp v78, v76 row_shr:2 row_mask:0xf bank_mask:0xf
	v_cndmask_b32_e32 v78, 0, v78, vcc
	v_add_u32_e32 v76, v76, v78
	v_cmp_lt_u32_e32 vcc, 3, v77
	s_nop 0
	v_mov_b32_dpp v78, v76 row_shr:4 row_mask:0xf bank_mask:0xf
	v_cndmask_b32_e32 v77, 0, v78, vcc
	v_add_u32_e32 v76, v76, v77
	ds_write_b32 v75, v76
.LBB197_177:
	s_or_b64 exec, exec, s[2:3]
	v_cmp_lt_u32_e32 vcc, 63, v18
	v_mov_b32_e32 v75, 0
	s_waitcnt lgkmcnt(0)
	s_barrier
	s_and_saveexec_b64 s[2:3], vcc
	s_cbranch_execz .LBB197_179
; %bb.178:
	v_lshl_add_u32 v74, v74, 2, -4
	ds_read_b32 v75, v74
.LBB197_179:
	s_or_b64 exec, exec, s[2:3]
	v_add_u32_e32 v74, -1, v4
	v_and_b32_e32 v76, 64, v4
	v_cmp_lt_i32_e32 vcc, v74, v76
	v_cndmask_b32_e32 v74, v74, v4, vcc
	s_waitcnt lgkmcnt(0)
	v_add_u32_e32 v73, v75, v73
	v_lshlrev_b32_e32 v74, 2, v74
	ds_bpermute_b32 v73, v74, v73
	v_cmp_eq_u32_e32 vcc, 0, v4
	s_waitcnt lgkmcnt(0)
	v_cndmask_b32_e32 v4, v73, v75, vcc
	v_cndmask_b32_e64 v4, v4, 0, s[0:1]
	v_add_u32_e32 v2, v4, v2
	v_add_u32_e32 v3, v2, v3
	;; [unrolled: 1-line block ×4, first 2 shown]
	ds_write2_b32 v5, v4, v2 offset0:8 offset1:9
	ds_write2_b32 v72, v3, v0 offset0:2 offset1:3
	ds_write_b32 v72, v1 offset:16
	s_waitcnt lgkmcnt(0)
	s_barrier
	ds_read_b32 v75, v9 offset:32
	ds_read_b32 v9, v11 offset:32
	ds_read_b32 v11, v14 offset:32
	ds_read_b32 v14, v37 offset:32
	ds_read_b32 v72, v40 offset:32
	ds_read_b32 v43, v43 offset:32
	ds_read_b32 v46, v46 offset:32
	ds_read_b32 v49, v49 offset:32
	ds_read_b32 v73, v52 offset:32
	ds_read_b32 v74, v55 offset:32
	ds_read_b32 v76, v58 offset:32
	ds_read_b32 v77, v61 offset:32
	ds_read_b32 v78, v64 offset:32
	ds_read_b32 v67, v67 offset:32
	ds_read_b32 v64, v69 offset:32
	ds_read_b32 v61, v71 offset:32
	s_movk_i32 s0, 0x100
	v_cmp_gt_u32_e32 vcc, s0, v18
                                        ; implicit-def: $vgpr52
                                        ; implicit-def: $vgpr55
	s_and_saveexec_b64 s[2:3], vcc
	s_cbranch_execz .LBB197_183
; %bb.180:
	v_mul_u32_u24_e32 v0, 9, v18
	v_lshlrev_b32_e32 v1, 2, v0
	ds_read_b32 v52, v1 offset:32
	s_movk_i32 s0, 0xff
	v_cmp_ne_u32_e64 s[0:1], s0, v18
	v_mov_b32_e32 v0, 0x2000
	s_and_saveexec_b64 s[4:5], s[0:1]
	s_cbranch_execz .LBB197_182
; %bb.181:
	ds_read_b32 v0, v1 offset:68
.LBB197_182:
	s_or_b64 exec, exec, s[4:5]
	s_waitcnt lgkmcnt(0)
	v_sub_u32_e32 v55, v0, v52
.LBB197_183:
	s_or_b64 exec, exec, s[2:3]
	s_waitcnt lgkmcnt(0)
	s_barrier
	s_and_saveexec_b64 s[2:3], vcc
	s_cbranch_execz .LBB197_193
; %bb.184:
	v_lshl_or_b32 v0, s33, 8, v18
	v_mov_b32_e32 v1, 0
	v_lshlrev_b64 v[2:3], 2, v[0:1]
	v_mov_b32_e32 v37, s43
	v_add_co_u32_e64 v2, s[0:1], s42, v2
	v_addc_co_u32_e64 v3, s[0:1], v37, v3, s[0:1]
	v_or_b32_e32 v0, 2.0, v55
	s_mov_b64 s[4:5], 0
	s_brev_b32 s16, 1
	s_mov_b32 s17, s33
	v_mov_b32_e32 v40, 0
	global_store_dword v[2:3], v0, off
                                        ; implicit-def: $sgpr0_sgpr1
	s_branch .LBB197_187
.LBB197_185:                            ;   in Loop: Header=BB197_187 Depth=1
	s_or_b64 exec, exec, s[12:13]
.LBB197_186:                            ;   in Loop: Header=BB197_187 Depth=1
	s_or_b64 exec, exec, s[6:7]
	v_and_b32_e32 v4, 0x3fffffff, v58
	v_add_u32_e32 v40, v4, v40
	v_cmp_eq_u32_e64 s[0:1], s16, v0
	s_and_b64 s[6:7], exec, s[0:1]
	s_or_b64 s[4:5], s[6:7], s[4:5]
	s_andn2_b64 exec, exec, s[4:5]
	s_cbranch_execz .LBB197_192
.LBB197_187:                            ; =>This Loop Header: Depth=1
                                        ;     Child Loop BB197_190 Depth 2
	s_or_b64 s[0:1], s[0:1], exec
	s_cmp_eq_u32 s17, 0
	s_cbranch_scc1 .LBB197_191
; %bb.188:                              ;   in Loop: Header=BB197_187 Depth=1
	s_add_i32 s17, s17, -1
	v_lshl_or_b32 v0, s17, 8, v18
	v_lshlrev_b64 v[4:5], 2, v[0:1]
	v_add_co_u32_e64 v4, s[0:1], s42, v4
	v_addc_co_u32_e64 v5, s[0:1], v37, v5, s[0:1]
	global_load_dword v58, v[4:5], off glc
	s_waitcnt vmcnt(0)
	v_and_b32_e32 v0, -2.0, v58
	v_cmp_eq_u32_e64 s[0:1], 0, v0
	s_and_saveexec_b64 s[6:7], s[0:1]
	s_cbranch_execz .LBB197_186
; %bb.189:                              ;   in Loop: Header=BB197_187 Depth=1
	s_mov_b64 s[12:13], 0
.LBB197_190:                            ;   Parent Loop BB197_187 Depth=1
                                        ; =>  This Inner Loop Header: Depth=2
	global_load_dword v58, v[4:5], off glc
	s_waitcnt vmcnt(0)
	v_and_b32_e32 v0, -2.0, v58
	v_cmp_ne_u32_e64 s[0:1], 0, v0
	s_or_b64 s[12:13], s[0:1], s[12:13]
	s_andn2_b64 exec, exec, s[12:13]
	s_cbranch_execnz .LBB197_190
	s_branch .LBB197_185
.LBB197_191:                            ;   in Loop: Header=BB197_187 Depth=1
                                        ; implicit-def: $sgpr17
	s_and_b64 s[6:7], exec, s[0:1]
	s_or_b64 s[4:5], s[6:7], s[4:5]
	s_andn2_b64 exec, exec, s[4:5]
	s_cbranch_execnz .LBB197_187
.LBB197_192:
	s_or_b64 exec, exec, s[4:5]
	v_add_u32_e32 v0, v40, v55
	v_or_b32_e32 v0, 0x80000000, v0
	global_store_dword v[2:3], v0, off
	v_lshlrev_b32_e32 v0, 2, v18
	global_load_dword v1, v0, s[52:53]
	v_sub_u32_e32 v2, v40, v52
	s_waitcnt vmcnt(0)
	v_add_u32_e32 v1, v2, v1
	ds_write_b32 v0, v1
.LBB197_193:
	s_or_b64 exec, exec, s[2:3]
	v_lshlrev_b32_e32 v37, 2, v18
	v_add_u32_e32 v58, v75, v6
	s_movk_i32 s2, 0x400
	v_add_u32_e32 v40, 0x400, v37
	v_add3_u32 v61, v70, v61, v16
	v_add3_u32 v64, v68, v64, v66
	;; [unrolled: 1-line block ×15, first 2 shown]
	s_mov_b32 s3, 0
	s_mov_b32 s4, 3
	s_movk_i32 s5, 0x200
	s_movk_i32 s6, 0x600
	v_mov_b32_e32 v17, 0
	v_mov_b32_e32 v38, s47
	;; [unrolled: 1-line block ×3, first 2 shown]
                                        ; implicit-def: $vgpr0
.LBB197_194:                            ; =>This Inner Loop Header: Depth=1
	v_add_u32_e32 v16, s3, v58
	v_add_u32_e32 v41, s3, v69
	;; [unrolled: 1-line block ×16, first 2 shown]
	v_min_u32_e32 v16, 0x800, v16
	v_min_u32_e32 v41, 0x800, v41
	;; [unrolled: 1-line block ×16, first 2 shown]
	v_lshlrev_b32_e32 v16, 2, v16
	v_lshlrev_b32_e32 v41, 2, v41
	;; [unrolled: 1-line block ×16, first 2 shown]
	ds_write_b32 v16, v21 offset:1024
	ds_write_b32 v41, v22 offset:1024
	;; [unrolled: 1-line block ×16, first 2 shown]
	s_waitcnt lgkmcnt(0)
	s_barrier
	ds_read_b32 v41, v37 offset:1024
	s_add_i32 s7, s4, -3
	s_add_i32 s12, s4, -2
	;; [unrolled: 1-line block ×3, first 2 shown]
	s_addk_i32 s3, 0xf800
	s_waitcnt lgkmcnt(0)
	v_lshrrev_b32_e32 v16, s56, v41
	v_and_b32_e32 v44, s15, v16
	v_lshlrev_b32_e32 v16, 2, v44
	ds_read_b32 v16, v16
	s_waitcnt lgkmcnt(0)
	v_add_u32_e32 v16, v39, v16
	v_lshlrev_b64 v[42:43], 2, v[16:17]
	v_add_co_u32_e64 v42, s[0:1], s46, v42
	v_addc_co_u32_e64 v43, s[0:1], v38, v43, s[0:1]
	global_store_dword v[42:43], v41, off
	s_set_gpr_idx_on s7, gpr_idx(DST)
	v_mov_b32_e32 v0, v44
	s_set_gpr_idx_off
	ds_read_b32 v41, v40 offset:2048
	s_waitcnt lgkmcnt(0)
	v_lshrrev_b32_e32 v16, s56, v41
	v_and_b32_e32 v44, s15, v16
	v_lshlrev_b32_e32 v16, 2, v44
	ds_read_b32 v16, v16
	s_waitcnt lgkmcnt(0)
	v_add3_u32 v16, v39, v16, s5
	v_lshlrev_b64 v[42:43], 2, v[16:17]
	v_add_co_u32_e64 v42, s[0:1], s46, v42
	v_addc_co_u32_e64 v43, s[0:1], v38, v43, s[0:1]
	global_store_dword v[42:43], v41, off
	s_set_gpr_idx_on s12, gpr_idx(DST)
	v_mov_b32_e32 v0, v44
	s_set_gpr_idx_off
	ds_read_b32 v41, v40 offset:4096
	s_waitcnt lgkmcnt(0)
	v_lshrrev_b32_e32 v16, s56, v41
	v_and_b32_e32 v44, s15, v16
	v_lshlrev_b32_e32 v16, 2, v44
	ds_read_b32 v16, v16
	s_waitcnt lgkmcnt(0)
	v_add3_u32 v16, v39, v16, s2
	;; [unrolled: 15-line block ×3, first 2 shown]
	v_lshlrev_b64 v[42:43], 2, v[16:17]
	v_add_co_u32_e64 v42, s[0:1], s46, v42
	v_addc_co_u32_e64 v43, s[0:1], v38, v43, s[0:1]
	global_store_dword v[42:43], v41, off
	s_set_gpr_idx_on s4, gpr_idx(DST)
	v_mov_b32_e32 v0, v44
	s_set_gpr_idx_off
	s_add_i32 s4, s4, 4
	v_add_u32_e32 v39, 0x800, v39
	s_cmpk_lg_i32 s3, 0xe000
	s_barrier
	s_cbranch_scc1 .LBB197_194
; %bb.195:
	s_lshl_b64 s[0:1], s[10:11], 3
	s_add_u32 s0, s48, s0
	s_addc_u32 s1, s49, s1
	v_lshlrev_b32_e32 v16, 3, v20
	v_mov_b32_e32 v17, s1
	v_add_co_u32_e64 v16, s[0:1], s0, v16
	v_addc_co_u32_e64 v17, s[0:1], 0, v17, s[0:1]
	v_lshlrev_b32_e32 v19, 3, v19
	v_add_co_u32_e64 v34, s[0:1], v16, v19
	v_addc_co_u32_e64 v35, s[0:1], 0, v17, s[0:1]
	s_movk_i32 s0, 0x1000
	v_add_co_u32_e64 v50, s[0:1], s0, v34
	v_addc_co_u32_e64 v51, s[0:1], 0, v35, s[0:1]
	global_load_dwordx2 v[16:17], v[34:35], off
	global_load_dwordx2 v[20:21], v[34:35], off offset:512
	global_load_dwordx2 v[22:23], v[34:35], off offset:1024
	;; [unrolled: 1-line block ×7, first 2 shown]
	s_nop 0
	global_load_dwordx2 v[34:35], v[50:51], off
	global_load_dwordx2 v[36:37], v[50:51], off offset:512
	global_load_dwordx2 v[38:39], v[50:51], off offset:1024
	;; [unrolled: 1-line block ×7, first 2 shown]
	v_lshlrev_b32_e32 v19, 3, v18
	s_mov_b32 s2, 0
	v_add_u32_e32 v70, 0x400, v19
	s_mov_b32 s3, 1
	s_movk_i32 s4, 0x200
	v_mov_b32_e32 v51, 0
	v_mov_b32_e32 v71, v18
	s_waitcnt vmcnt(0)
.LBB197_196:                            ; =>This Inner Loop Header: Depth=1
	v_add_u32_e32 v50, s2, v58
	v_add_u32_e32 v72, s2, v69
	;; [unrolled: 1-line block ×16, first 2 shown]
	v_min_u32_e32 v50, 0x400, v50
	s_add_i32 s0, s3, -1
	v_min_u32_e32 v72, 0x400, v72
	v_min_u32_e32 v73, 0x400, v73
	;; [unrolled: 1-line block ×15, first 2 shown]
	v_lshlrev_b32_e32 v50, 3, v50
	v_lshlrev_b32_e32 v72, 3, v72
	;; [unrolled: 1-line block ×16, first 2 shown]
	ds_write_b64 v50, v[16:17] offset:1024
	ds_write_b64 v72, v[20:21] offset:1024
	;; [unrolled: 1-line block ×16, first 2 shown]
	s_waitcnt lgkmcnt(0)
	s_barrier
	s_set_gpr_idx_on s0, gpr_idx(SRC0)
	v_mov_b32_e32 v50, v0
	s_set_gpr_idx_off
	v_lshlrev_b32_e32 v50, 2, v50
	ds_read_b32 v50, v50
	ds_read_b64 v[72:73], v19 offset:1024
	v_mov_b32_e32 v87, s51
	s_addk_i32 s2, 0xfc00
	s_waitcnt lgkmcnt(1)
	v_add_u32_e32 v50, v71, v50
	v_lshlrev_b64 v[74:75], 3, v[50:51]
	v_add_co_u32_e64 v74, s[0:1], s50, v74
	v_addc_co_u32_e64 v75, s[0:1], v87, v75, s[0:1]
	s_waitcnt lgkmcnt(0)
	global_store_dwordx2 v[74:75], v[72:73], off
	s_set_gpr_idx_on s3, gpr_idx(SRC0)
	v_mov_b32_e32 v50, v0
	s_set_gpr_idx_off
	v_lshlrev_b32_e32 v50, 2, v50
	ds_read_b32 v50, v50
	ds_read_b64 v[72:73], v70 offset:4096
	s_add_i32 s3, s3, 2
	s_cmpk_lg_i32 s2, 0xe000
	s_waitcnt lgkmcnt(1)
	v_add3_u32 v50, v71, v50, s4
	v_lshlrev_b64 v[74:75], 3, v[50:51]
	v_add_co_u32_e64 v74, s[0:1], s50, v74
	v_add_u32_e32 v71, 0x400, v71
	v_addc_co_u32_e64 v75, s[0:1], v87, v75, s[0:1]
	s_waitcnt lgkmcnt(0)
	global_store_dwordx2 v[74:75], v[72:73], off
	s_barrier
	s_cbranch_scc1 .LBB197_196
; %bb.197:
	s_add_i32 s14, s14, -1
	s_cmp_eq_u32 s14, s33
	s_cselect_b64 s[0:1], -1, 0
	s_and_b64 s[2:3], vcc, s[0:1]
                                        ; implicit-def: $vgpr2
	s_and_saveexec_b64 s[0:1], s[2:3]
; %bb.198:
	v_add_u32_e32 v2, v52, v55
	s_or_b64 s[8:9], s[8:9], exec
; %bb.199:
	s_or_b64 exec, exec, s[0:1]
.LBB197_200:
	s_and_saveexec_b64 s[0:1], s[8:9]
	s_cbranch_execnz .LBB197_202
; %bb.201:
	s_endpgm
.LBB197_202:
	v_lshlrev_b32_e32 v0, 2, v18
	ds_read_b32 v1, v0
	s_waitcnt lgkmcnt(0)
	v_add_u32_e32 v1, v1, v2
	global_store_dword v0, v1, s[54:55]
	s_endpgm
	.section	.rodata,"a",@progbits
	.p2align	6, 0x0
	.amdhsa_kernel _ZN7rocprim17ROCPRIM_400000_NS6detail17trampoline_kernelINS0_14default_configENS1_35radix_sort_onesweep_config_selectorIjN6thrust23THRUST_200600_302600_NS5tupleIffNS6_9null_typeES8_S8_S8_S8_S8_S8_S8_EEEEZZNS1_29radix_sort_onesweep_iterationIS3_Lb0ENS6_6detail15normal_iteratorINS6_10device_ptrIjEEEESG_NSD_INSE_IS9_EEEESI_jNS0_19identity_decomposerENS1_16block_id_wrapperIjLb1EEEEE10hipError_tT1_PNSt15iterator_traitsISN_E10value_typeET2_T3_PNSO_IST_E10value_typeET4_T5_PSY_SZ_PNS1_23onesweep_lookback_stateEbbT6_jjT7_P12ihipStream_tbENKUlT_T0_SN_SS_E_clIPjSG_PS9_SI_EEDaS16_S17_SN_SS_EUlS16_E_NS1_11comp_targetILNS1_3genE4ELNS1_11target_archE910ELNS1_3gpuE8ELNS1_3repE0EEENS1_47radix_sort_onesweep_sort_config_static_selectorELNS0_4arch9wavefront6targetE1EEEvSN_
		.amdhsa_group_segment_fixed_size 10280
		.amdhsa_private_segment_fixed_size 0
		.amdhsa_kernarg_size 344
		.amdhsa_user_sgpr_count 6
		.amdhsa_user_sgpr_private_segment_buffer 1
		.amdhsa_user_sgpr_dispatch_ptr 0
		.amdhsa_user_sgpr_queue_ptr 0
		.amdhsa_user_sgpr_kernarg_segment_ptr 1
		.amdhsa_user_sgpr_dispatch_id 0
		.amdhsa_user_sgpr_flat_scratch_init 0
		.amdhsa_user_sgpr_kernarg_preload_length 0
		.amdhsa_user_sgpr_kernarg_preload_offset 0
		.amdhsa_user_sgpr_private_segment_size 0
		.amdhsa_uses_dynamic_stack 0
		.amdhsa_system_sgpr_private_segment_wavefront_offset 0
		.amdhsa_system_sgpr_workgroup_id_x 1
		.amdhsa_system_sgpr_workgroup_id_y 0
		.amdhsa_system_sgpr_workgroup_id_z 0
		.amdhsa_system_sgpr_workgroup_info 0
		.amdhsa_system_vgpr_workitem_id 2
		.amdhsa_next_free_vgpr 88
		.amdhsa_next_free_sgpr 72
		.amdhsa_accum_offset 88
		.amdhsa_reserve_vcc 1
		.amdhsa_reserve_flat_scratch 0
		.amdhsa_float_round_mode_32 0
		.amdhsa_float_round_mode_16_64 0
		.amdhsa_float_denorm_mode_32 3
		.amdhsa_float_denorm_mode_16_64 3
		.amdhsa_dx10_clamp 1
		.amdhsa_ieee_mode 1
		.amdhsa_fp16_overflow 0
		.amdhsa_tg_split 0
		.amdhsa_exception_fp_ieee_invalid_op 0
		.amdhsa_exception_fp_denorm_src 0
		.amdhsa_exception_fp_ieee_div_zero 0
		.amdhsa_exception_fp_ieee_overflow 0
		.amdhsa_exception_fp_ieee_underflow 0
		.amdhsa_exception_fp_ieee_inexact 0
		.amdhsa_exception_int_div_zero 0
	.end_amdhsa_kernel
	.section	.text._ZN7rocprim17ROCPRIM_400000_NS6detail17trampoline_kernelINS0_14default_configENS1_35radix_sort_onesweep_config_selectorIjN6thrust23THRUST_200600_302600_NS5tupleIffNS6_9null_typeES8_S8_S8_S8_S8_S8_S8_EEEEZZNS1_29radix_sort_onesweep_iterationIS3_Lb0ENS6_6detail15normal_iteratorINS6_10device_ptrIjEEEESG_NSD_INSE_IS9_EEEESI_jNS0_19identity_decomposerENS1_16block_id_wrapperIjLb1EEEEE10hipError_tT1_PNSt15iterator_traitsISN_E10value_typeET2_T3_PNSO_IST_E10value_typeET4_T5_PSY_SZ_PNS1_23onesweep_lookback_stateEbbT6_jjT7_P12ihipStream_tbENKUlT_T0_SN_SS_E_clIPjSG_PS9_SI_EEDaS16_S17_SN_SS_EUlS16_E_NS1_11comp_targetILNS1_3genE4ELNS1_11target_archE910ELNS1_3gpuE8ELNS1_3repE0EEENS1_47radix_sort_onesweep_sort_config_static_selectorELNS0_4arch9wavefront6targetE1EEEvSN_,"axG",@progbits,_ZN7rocprim17ROCPRIM_400000_NS6detail17trampoline_kernelINS0_14default_configENS1_35radix_sort_onesweep_config_selectorIjN6thrust23THRUST_200600_302600_NS5tupleIffNS6_9null_typeES8_S8_S8_S8_S8_S8_S8_EEEEZZNS1_29radix_sort_onesweep_iterationIS3_Lb0ENS6_6detail15normal_iteratorINS6_10device_ptrIjEEEESG_NSD_INSE_IS9_EEEESI_jNS0_19identity_decomposerENS1_16block_id_wrapperIjLb1EEEEE10hipError_tT1_PNSt15iterator_traitsISN_E10value_typeET2_T3_PNSO_IST_E10value_typeET4_T5_PSY_SZ_PNS1_23onesweep_lookback_stateEbbT6_jjT7_P12ihipStream_tbENKUlT_T0_SN_SS_E_clIPjSG_PS9_SI_EEDaS16_S17_SN_SS_EUlS16_E_NS1_11comp_targetILNS1_3genE4ELNS1_11target_archE910ELNS1_3gpuE8ELNS1_3repE0EEENS1_47radix_sort_onesweep_sort_config_static_selectorELNS0_4arch9wavefront6targetE1EEEvSN_,comdat
.Lfunc_end197:
	.size	_ZN7rocprim17ROCPRIM_400000_NS6detail17trampoline_kernelINS0_14default_configENS1_35radix_sort_onesweep_config_selectorIjN6thrust23THRUST_200600_302600_NS5tupleIffNS6_9null_typeES8_S8_S8_S8_S8_S8_S8_EEEEZZNS1_29radix_sort_onesweep_iterationIS3_Lb0ENS6_6detail15normal_iteratorINS6_10device_ptrIjEEEESG_NSD_INSE_IS9_EEEESI_jNS0_19identity_decomposerENS1_16block_id_wrapperIjLb1EEEEE10hipError_tT1_PNSt15iterator_traitsISN_E10value_typeET2_T3_PNSO_IST_E10value_typeET4_T5_PSY_SZ_PNS1_23onesweep_lookback_stateEbbT6_jjT7_P12ihipStream_tbENKUlT_T0_SN_SS_E_clIPjSG_PS9_SI_EEDaS16_S17_SN_SS_EUlS16_E_NS1_11comp_targetILNS1_3genE4ELNS1_11target_archE910ELNS1_3gpuE8ELNS1_3repE0EEENS1_47radix_sort_onesweep_sort_config_static_selectorELNS0_4arch9wavefront6targetE1EEEvSN_, .Lfunc_end197-_ZN7rocprim17ROCPRIM_400000_NS6detail17trampoline_kernelINS0_14default_configENS1_35radix_sort_onesweep_config_selectorIjN6thrust23THRUST_200600_302600_NS5tupleIffNS6_9null_typeES8_S8_S8_S8_S8_S8_S8_EEEEZZNS1_29radix_sort_onesweep_iterationIS3_Lb0ENS6_6detail15normal_iteratorINS6_10device_ptrIjEEEESG_NSD_INSE_IS9_EEEESI_jNS0_19identity_decomposerENS1_16block_id_wrapperIjLb1EEEEE10hipError_tT1_PNSt15iterator_traitsISN_E10value_typeET2_T3_PNSO_IST_E10value_typeET4_T5_PSY_SZ_PNS1_23onesweep_lookback_stateEbbT6_jjT7_P12ihipStream_tbENKUlT_T0_SN_SS_E_clIPjSG_PS9_SI_EEDaS16_S17_SN_SS_EUlS16_E_NS1_11comp_targetILNS1_3genE4ELNS1_11target_archE910ELNS1_3gpuE8ELNS1_3repE0EEENS1_47radix_sort_onesweep_sort_config_static_selectorELNS0_4arch9wavefront6targetE1EEEvSN_
                                        ; -- End function
	.section	.AMDGPU.csdata,"",@progbits
; Kernel info:
; codeLenInByte = 20408
; NumSgprs: 76
; NumVgprs: 88
; NumAgprs: 0
; TotalNumVgprs: 88
; ScratchSize: 0
; MemoryBound: 0
; FloatMode: 240
; IeeeMode: 1
; LDSByteSize: 10280 bytes/workgroup (compile time only)
; SGPRBlocks: 9
; VGPRBlocks: 10
; NumSGPRsForWavesPerEU: 76
; NumVGPRsForWavesPerEU: 88
; AccumOffset: 88
; Occupancy: 5
; WaveLimiterHint : 1
; COMPUTE_PGM_RSRC2:SCRATCH_EN: 0
; COMPUTE_PGM_RSRC2:USER_SGPR: 6
; COMPUTE_PGM_RSRC2:TRAP_HANDLER: 0
; COMPUTE_PGM_RSRC2:TGID_X_EN: 1
; COMPUTE_PGM_RSRC2:TGID_Y_EN: 0
; COMPUTE_PGM_RSRC2:TGID_Z_EN: 0
; COMPUTE_PGM_RSRC2:TIDIG_COMP_CNT: 2
; COMPUTE_PGM_RSRC3_GFX90A:ACCUM_OFFSET: 21
; COMPUTE_PGM_RSRC3_GFX90A:TG_SPLIT: 0
	.section	.text._ZN7rocprim17ROCPRIM_400000_NS6detail17trampoline_kernelINS0_14default_configENS1_35radix_sort_onesweep_config_selectorIjN6thrust23THRUST_200600_302600_NS5tupleIffNS6_9null_typeES8_S8_S8_S8_S8_S8_S8_EEEEZZNS1_29radix_sort_onesweep_iterationIS3_Lb0ENS6_6detail15normal_iteratorINS6_10device_ptrIjEEEESG_NSD_INSE_IS9_EEEESI_jNS0_19identity_decomposerENS1_16block_id_wrapperIjLb1EEEEE10hipError_tT1_PNSt15iterator_traitsISN_E10value_typeET2_T3_PNSO_IST_E10value_typeET4_T5_PSY_SZ_PNS1_23onesweep_lookback_stateEbbT6_jjT7_P12ihipStream_tbENKUlT_T0_SN_SS_E_clIPjSG_PS9_SI_EEDaS16_S17_SN_SS_EUlS16_E_NS1_11comp_targetILNS1_3genE3ELNS1_11target_archE908ELNS1_3gpuE7ELNS1_3repE0EEENS1_47radix_sort_onesweep_sort_config_static_selectorELNS0_4arch9wavefront6targetE1EEEvSN_,"axG",@progbits,_ZN7rocprim17ROCPRIM_400000_NS6detail17trampoline_kernelINS0_14default_configENS1_35radix_sort_onesweep_config_selectorIjN6thrust23THRUST_200600_302600_NS5tupleIffNS6_9null_typeES8_S8_S8_S8_S8_S8_S8_EEEEZZNS1_29radix_sort_onesweep_iterationIS3_Lb0ENS6_6detail15normal_iteratorINS6_10device_ptrIjEEEESG_NSD_INSE_IS9_EEEESI_jNS0_19identity_decomposerENS1_16block_id_wrapperIjLb1EEEEE10hipError_tT1_PNSt15iterator_traitsISN_E10value_typeET2_T3_PNSO_IST_E10value_typeET4_T5_PSY_SZ_PNS1_23onesweep_lookback_stateEbbT6_jjT7_P12ihipStream_tbENKUlT_T0_SN_SS_E_clIPjSG_PS9_SI_EEDaS16_S17_SN_SS_EUlS16_E_NS1_11comp_targetILNS1_3genE3ELNS1_11target_archE908ELNS1_3gpuE7ELNS1_3repE0EEENS1_47radix_sort_onesweep_sort_config_static_selectorELNS0_4arch9wavefront6targetE1EEEvSN_,comdat
	.protected	_ZN7rocprim17ROCPRIM_400000_NS6detail17trampoline_kernelINS0_14default_configENS1_35radix_sort_onesweep_config_selectorIjN6thrust23THRUST_200600_302600_NS5tupleIffNS6_9null_typeES8_S8_S8_S8_S8_S8_S8_EEEEZZNS1_29radix_sort_onesweep_iterationIS3_Lb0ENS6_6detail15normal_iteratorINS6_10device_ptrIjEEEESG_NSD_INSE_IS9_EEEESI_jNS0_19identity_decomposerENS1_16block_id_wrapperIjLb1EEEEE10hipError_tT1_PNSt15iterator_traitsISN_E10value_typeET2_T3_PNSO_IST_E10value_typeET4_T5_PSY_SZ_PNS1_23onesweep_lookback_stateEbbT6_jjT7_P12ihipStream_tbENKUlT_T0_SN_SS_E_clIPjSG_PS9_SI_EEDaS16_S17_SN_SS_EUlS16_E_NS1_11comp_targetILNS1_3genE3ELNS1_11target_archE908ELNS1_3gpuE7ELNS1_3repE0EEENS1_47radix_sort_onesweep_sort_config_static_selectorELNS0_4arch9wavefront6targetE1EEEvSN_ ; -- Begin function _ZN7rocprim17ROCPRIM_400000_NS6detail17trampoline_kernelINS0_14default_configENS1_35radix_sort_onesweep_config_selectorIjN6thrust23THRUST_200600_302600_NS5tupleIffNS6_9null_typeES8_S8_S8_S8_S8_S8_S8_EEEEZZNS1_29radix_sort_onesweep_iterationIS3_Lb0ENS6_6detail15normal_iteratorINS6_10device_ptrIjEEEESG_NSD_INSE_IS9_EEEESI_jNS0_19identity_decomposerENS1_16block_id_wrapperIjLb1EEEEE10hipError_tT1_PNSt15iterator_traitsISN_E10value_typeET2_T3_PNSO_IST_E10value_typeET4_T5_PSY_SZ_PNS1_23onesweep_lookback_stateEbbT6_jjT7_P12ihipStream_tbENKUlT_T0_SN_SS_E_clIPjSG_PS9_SI_EEDaS16_S17_SN_SS_EUlS16_E_NS1_11comp_targetILNS1_3genE3ELNS1_11target_archE908ELNS1_3gpuE7ELNS1_3repE0EEENS1_47radix_sort_onesweep_sort_config_static_selectorELNS0_4arch9wavefront6targetE1EEEvSN_
	.globl	_ZN7rocprim17ROCPRIM_400000_NS6detail17trampoline_kernelINS0_14default_configENS1_35radix_sort_onesweep_config_selectorIjN6thrust23THRUST_200600_302600_NS5tupleIffNS6_9null_typeES8_S8_S8_S8_S8_S8_S8_EEEEZZNS1_29radix_sort_onesweep_iterationIS3_Lb0ENS6_6detail15normal_iteratorINS6_10device_ptrIjEEEESG_NSD_INSE_IS9_EEEESI_jNS0_19identity_decomposerENS1_16block_id_wrapperIjLb1EEEEE10hipError_tT1_PNSt15iterator_traitsISN_E10value_typeET2_T3_PNSO_IST_E10value_typeET4_T5_PSY_SZ_PNS1_23onesweep_lookback_stateEbbT6_jjT7_P12ihipStream_tbENKUlT_T0_SN_SS_E_clIPjSG_PS9_SI_EEDaS16_S17_SN_SS_EUlS16_E_NS1_11comp_targetILNS1_3genE3ELNS1_11target_archE908ELNS1_3gpuE7ELNS1_3repE0EEENS1_47radix_sort_onesweep_sort_config_static_selectorELNS0_4arch9wavefront6targetE1EEEvSN_
	.p2align	8
	.type	_ZN7rocprim17ROCPRIM_400000_NS6detail17trampoline_kernelINS0_14default_configENS1_35radix_sort_onesweep_config_selectorIjN6thrust23THRUST_200600_302600_NS5tupleIffNS6_9null_typeES8_S8_S8_S8_S8_S8_S8_EEEEZZNS1_29radix_sort_onesweep_iterationIS3_Lb0ENS6_6detail15normal_iteratorINS6_10device_ptrIjEEEESG_NSD_INSE_IS9_EEEESI_jNS0_19identity_decomposerENS1_16block_id_wrapperIjLb1EEEEE10hipError_tT1_PNSt15iterator_traitsISN_E10value_typeET2_T3_PNSO_IST_E10value_typeET4_T5_PSY_SZ_PNS1_23onesweep_lookback_stateEbbT6_jjT7_P12ihipStream_tbENKUlT_T0_SN_SS_E_clIPjSG_PS9_SI_EEDaS16_S17_SN_SS_EUlS16_E_NS1_11comp_targetILNS1_3genE3ELNS1_11target_archE908ELNS1_3gpuE7ELNS1_3repE0EEENS1_47radix_sort_onesweep_sort_config_static_selectorELNS0_4arch9wavefront6targetE1EEEvSN_,@function
_ZN7rocprim17ROCPRIM_400000_NS6detail17trampoline_kernelINS0_14default_configENS1_35radix_sort_onesweep_config_selectorIjN6thrust23THRUST_200600_302600_NS5tupleIffNS6_9null_typeES8_S8_S8_S8_S8_S8_S8_EEEEZZNS1_29radix_sort_onesweep_iterationIS3_Lb0ENS6_6detail15normal_iteratorINS6_10device_ptrIjEEEESG_NSD_INSE_IS9_EEEESI_jNS0_19identity_decomposerENS1_16block_id_wrapperIjLb1EEEEE10hipError_tT1_PNSt15iterator_traitsISN_E10value_typeET2_T3_PNSO_IST_E10value_typeET4_T5_PSY_SZ_PNS1_23onesweep_lookback_stateEbbT6_jjT7_P12ihipStream_tbENKUlT_T0_SN_SS_E_clIPjSG_PS9_SI_EEDaS16_S17_SN_SS_EUlS16_E_NS1_11comp_targetILNS1_3genE3ELNS1_11target_archE908ELNS1_3gpuE7ELNS1_3repE0EEENS1_47radix_sort_onesweep_sort_config_static_selectorELNS0_4arch9wavefront6targetE1EEEvSN_: ; @_ZN7rocprim17ROCPRIM_400000_NS6detail17trampoline_kernelINS0_14default_configENS1_35radix_sort_onesweep_config_selectorIjN6thrust23THRUST_200600_302600_NS5tupleIffNS6_9null_typeES8_S8_S8_S8_S8_S8_S8_EEEEZZNS1_29radix_sort_onesweep_iterationIS3_Lb0ENS6_6detail15normal_iteratorINS6_10device_ptrIjEEEESG_NSD_INSE_IS9_EEEESI_jNS0_19identity_decomposerENS1_16block_id_wrapperIjLb1EEEEE10hipError_tT1_PNSt15iterator_traitsISN_E10value_typeET2_T3_PNSO_IST_E10value_typeET4_T5_PSY_SZ_PNS1_23onesweep_lookback_stateEbbT6_jjT7_P12ihipStream_tbENKUlT_T0_SN_SS_E_clIPjSG_PS9_SI_EEDaS16_S17_SN_SS_EUlS16_E_NS1_11comp_targetILNS1_3genE3ELNS1_11target_archE908ELNS1_3gpuE7ELNS1_3repE0EEENS1_47radix_sort_onesweep_sort_config_static_selectorELNS0_4arch9wavefront6targetE1EEEvSN_
; %bb.0:
	.section	.rodata,"a",@progbits
	.p2align	6, 0x0
	.amdhsa_kernel _ZN7rocprim17ROCPRIM_400000_NS6detail17trampoline_kernelINS0_14default_configENS1_35radix_sort_onesweep_config_selectorIjN6thrust23THRUST_200600_302600_NS5tupleIffNS6_9null_typeES8_S8_S8_S8_S8_S8_S8_EEEEZZNS1_29radix_sort_onesweep_iterationIS3_Lb0ENS6_6detail15normal_iteratorINS6_10device_ptrIjEEEESG_NSD_INSE_IS9_EEEESI_jNS0_19identity_decomposerENS1_16block_id_wrapperIjLb1EEEEE10hipError_tT1_PNSt15iterator_traitsISN_E10value_typeET2_T3_PNSO_IST_E10value_typeET4_T5_PSY_SZ_PNS1_23onesweep_lookback_stateEbbT6_jjT7_P12ihipStream_tbENKUlT_T0_SN_SS_E_clIPjSG_PS9_SI_EEDaS16_S17_SN_SS_EUlS16_E_NS1_11comp_targetILNS1_3genE3ELNS1_11target_archE908ELNS1_3gpuE7ELNS1_3repE0EEENS1_47radix_sort_onesweep_sort_config_static_selectorELNS0_4arch9wavefront6targetE1EEEvSN_
		.amdhsa_group_segment_fixed_size 0
		.amdhsa_private_segment_fixed_size 0
		.amdhsa_kernarg_size 88
		.amdhsa_user_sgpr_count 6
		.amdhsa_user_sgpr_private_segment_buffer 1
		.amdhsa_user_sgpr_dispatch_ptr 0
		.amdhsa_user_sgpr_queue_ptr 0
		.amdhsa_user_sgpr_kernarg_segment_ptr 1
		.amdhsa_user_sgpr_dispatch_id 0
		.amdhsa_user_sgpr_flat_scratch_init 0
		.amdhsa_user_sgpr_kernarg_preload_length 0
		.amdhsa_user_sgpr_kernarg_preload_offset 0
		.amdhsa_user_sgpr_private_segment_size 0
		.amdhsa_uses_dynamic_stack 0
		.amdhsa_system_sgpr_private_segment_wavefront_offset 0
		.amdhsa_system_sgpr_workgroup_id_x 1
		.amdhsa_system_sgpr_workgroup_id_y 0
		.amdhsa_system_sgpr_workgroup_id_z 0
		.amdhsa_system_sgpr_workgroup_info 0
		.amdhsa_system_vgpr_workitem_id 0
		.amdhsa_next_free_vgpr 1
		.amdhsa_next_free_sgpr 0
		.amdhsa_accum_offset 4
		.amdhsa_reserve_vcc 0
		.amdhsa_reserve_flat_scratch 0
		.amdhsa_float_round_mode_32 0
		.amdhsa_float_round_mode_16_64 0
		.amdhsa_float_denorm_mode_32 3
		.amdhsa_float_denorm_mode_16_64 3
		.amdhsa_dx10_clamp 1
		.amdhsa_ieee_mode 1
		.amdhsa_fp16_overflow 0
		.amdhsa_tg_split 0
		.amdhsa_exception_fp_ieee_invalid_op 0
		.amdhsa_exception_fp_denorm_src 0
		.amdhsa_exception_fp_ieee_div_zero 0
		.amdhsa_exception_fp_ieee_overflow 0
		.amdhsa_exception_fp_ieee_underflow 0
		.amdhsa_exception_fp_ieee_inexact 0
		.amdhsa_exception_int_div_zero 0
	.end_amdhsa_kernel
	.section	.text._ZN7rocprim17ROCPRIM_400000_NS6detail17trampoline_kernelINS0_14default_configENS1_35radix_sort_onesweep_config_selectorIjN6thrust23THRUST_200600_302600_NS5tupleIffNS6_9null_typeES8_S8_S8_S8_S8_S8_S8_EEEEZZNS1_29radix_sort_onesweep_iterationIS3_Lb0ENS6_6detail15normal_iteratorINS6_10device_ptrIjEEEESG_NSD_INSE_IS9_EEEESI_jNS0_19identity_decomposerENS1_16block_id_wrapperIjLb1EEEEE10hipError_tT1_PNSt15iterator_traitsISN_E10value_typeET2_T3_PNSO_IST_E10value_typeET4_T5_PSY_SZ_PNS1_23onesweep_lookback_stateEbbT6_jjT7_P12ihipStream_tbENKUlT_T0_SN_SS_E_clIPjSG_PS9_SI_EEDaS16_S17_SN_SS_EUlS16_E_NS1_11comp_targetILNS1_3genE3ELNS1_11target_archE908ELNS1_3gpuE7ELNS1_3repE0EEENS1_47radix_sort_onesweep_sort_config_static_selectorELNS0_4arch9wavefront6targetE1EEEvSN_,"axG",@progbits,_ZN7rocprim17ROCPRIM_400000_NS6detail17trampoline_kernelINS0_14default_configENS1_35radix_sort_onesweep_config_selectorIjN6thrust23THRUST_200600_302600_NS5tupleIffNS6_9null_typeES8_S8_S8_S8_S8_S8_S8_EEEEZZNS1_29radix_sort_onesweep_iterationIS3_Lb0ENS6_6detail15normal_iteratorINS6_10device_ptrIjEEEESG_NSD_INSE_IS9_EEEESI_jNS0_19identity_decomposerENS1_16block_id_wrapperIjLb1EEEEE10hipError_tT1_PNSt15iterator_traitsISN_E10value_typeET2_T3_PNSO_IST_E10value_typeET4_T5_PSY_SZ_PNS1_23onesweep_lookback_stateEbbT6_jjT7_P12ihipStream_tbENKUlT_T0_SN_SS_E_clIPjSG_PS9_SI_EEDaS16_S17_SN_SS_EUlS16_E_NS1_11comp_targetILNS1_3genE3ELNS1_11target_archE908ELNS1_3gpuE7ELNS1_3repE0EEENS1_47radix_sort_onesweep_sort_config_static_selectorELNS0_4arch9wavefront6targetE1EEEvSN_,comdat
.Lfunc_end198:
	.size	_ZN7rocprim17ROCPRIM_400000_NS6detail17trampoline_kernelINS0_14default_configENS1_35radix_sort_onesweep_config_selectorIjN6thrust23THRUST_200600_302600_NS5tupleIffNS6_9null_typeES8_S8_S8_S8_S8_S8_S8_EEEEZZNS1_29radix_sort_onesweep_iterationIS3_Lb0ENS6_6detail15normal_iteratorINS6_10device_ptrIjEEEESG_NSD_INSE_IS9_EEEESI_jNS0_19identity_decomposerENS1_16block_id_wrapperIjLb1EEEEE10hipError_tT1_PNSt15iterator_traitsISN_E10value_typeET2_T3_PNSO_IST_E10value_typeET4_T5_PSY_SZ_PNS1_23onesweep_lookback_stateEbbT6_jjT7_P12ihipStream_tbENKUlT_T0_SN_SS_E_clIPjSG_PS9_SI_EEDaS16_S17_SN_SS_EUlS16_E_NS1_11comp_targetILNS1_3genE3ELNS1_11target_archE908ELNS1_3gpuE7ELNS1_3repE0EEENS1_47radix_sort_onesweep_sort_config_static_selectorELNS0_4arch9wavefront6targetE1EEEvSN_, .Lfunc_end198-_ZN7rocprim17ROCPRIM_400000_NS6detail17trampoline_kernelINS0_14default_configENS1_35radix_sort_onesweep_config_selectorIjN6thrust23THRUST_200600_302600_NS5tupleIffNS6_9null_typeES8_S8_S8_S8_S8_S8_S8_EEEEZZNS1_29radix_sort_onesweep_iterationIS3_Lb0ENS6_6detail15normal_iteratorINS6_10device_ptrIjEEEESG_NSD_INSE_IS9_EEEESI_jNS0_19identity_decomposerENS1_16block_id_wrapperIjLb1EEEEE10hipError_tT1_PNSt15iterator_traitsISN_E10value_typeET2_T3_PNSO_IST_E10value_typeET4_T5_PSY_SZ_PNS1_23onesweep_lookback_stateEbbT6_jjT7_P12ihipStream_tbENKUlT_T0_SN_SS_E_clIPjSG_PS9_SI_EEDaS16_S17_SN_SS_EUlS16_E_NS1_11comp_targetILNS1_3genE3ELNS1_11target_archE908ELNS1_3gpuE7ELNS1_3repE0EEENS1_47radix_sort_onesweep_sort_config_static_selectorELNS0_4arch9wavefront6targetE1EEEvSN_
                                        ; -- End function
	.section	.AMDGPU.csdata,"",@progbits
; Kernel info:
; codeLenInByte = 0
; NumSgprs: 4
; NumVgprs: 0
; NumAgprs: 0
; TotalNumVgprs: 0
; ScratchSize: 0
; MemoryBound: 0
; FloatMode: 240
; IeeeMode: 1
; LDSByteSize: 0 bytes/workgroup (compile time only)
; SGPRBlocks: 0
; VGPRBlocks: 0
; NumSGPRsForWavesPerEU: 4
; NumVGPRsForWavesPerEU: 1
; AccumOffset: 4
; Occupancy: 8
; WaveLimiterHint : 0
; COMPUTE_PGM_RSRC2:SCRATCH_EN: 0
; COMPUTE_PGM_RSRC2:USER_SGPR: 6
; COMPUTE_PGM_RSRC2:TRAP_HANDLER: 0
; COMPUTE_PGM_RSRC2:TGID_X_EN: 1
; COMPUTE_PGM_RSRC2:TGID_Y_EN: 0
; COMPUTE_PGM_RSRC2:TGID_Z_EN: 0
; COMPUTE_PGM_RSRC2:TIDIG_COMP_CNT: 0
; COMPUTE_PGM_RSRC3_GFX90A:ACCUM_OFFSET: 0
; COMPUTE_PGM_RSRC3_GFX90A:TG_SPLIT: 0
	.section	.text._ZN7rocprim17ROCPRIM_400000_NS6detail17trampoline_kernelINS0_14default_configENS1_35radix_sort_onesweep_config_selectorIjN6thrust23THRUST_200600_302600_NS5tupleIffNS6_9null_typeES8_S8_S8_S8_S8_S8_S8_EEEEZZNS1_29radix_sort_onesweep_iterationIS3_Lb0ENS6_6detail15normal_iteratorINS6_10device_ptrIjEEEESG_NSD_INSE_IS9_EEEESI_jNS0_19identity_decomposerENS1_16block_id_wrapperIjLb1EEEEE10hipError_tT1_PNSt15iterator_traitsISN_E10value_typeET2_T3_PNSO_IST_E10value_typeET4_T5_PSY_SZ_PNS1_23onesweep_lookback_stateEbbT6_jjT7_P12ihipStream_tbENKUlT_T0_SN_SS_E_clIPjSG_PS9_SI_EEDaS16_S17_SN_SS_EUlS16_E_NS1_11comp_targetILNS1_3genE10ELNS1_11target_archE1201ELNS1_3gpuE5ELNS1_3repE0EEENS1_47radix_sort_onesweep_sort_config_static_selectorELNS0_4arch9wavefront6targetE1EEEvSN_,"axG",@progbits,_ZN7rocprim17ROCPRIM_400000_NS6detail17trampoline_kernelINS0_14default_configENS1_35radix_sort_onesweep_config_selectorIjN6thrust23THRUST_200600_302600_NS5tupleIffNS6_9null_typeES8_S8_S8_S8_S8_S8_S8_EEEEZZNS1_29radix_sort_onesweep_iterationIS3_Lb0ENS6_6detail15normal_iteratorINS6_10device_ptrIjEEEESG_NSD_INSE_IS9_EEEESI_jNS0_19identity_decomposerENS1_16block_id_wrapperIjLb1EEEEE10hipError_tT1_PNSt15iterator_traitsISN_E10value_typeET2_T3_PNSO_IST_E10value_typeET4_T5_PSY_SZ_PNS1_23onesweep_lookback_stateEbbT6_jjT7_P12ihipStream_tbENKUlT_T0_SN_SS_E_clIPjSG_PS9_SI_EEDaS16_S17_SN_SS_EUlS16_E_NS1_11comp_targetILNS1_3genE10ELNS1_11target_archE1201ELNS1_3gpuE5ELNS1_3repE0EEENS1_47radix_sort_onesweep_sort_config_static_selectorELNS0_4arch9wavefront6targetE1EEEvSN_,comdat
	.protected	_ZN7rocprim17ROCPRIM_400000_NS6detail17trampoline_kernelINS0_14default_configENS1_35radix_sort_onesweep_config_selectorIjN6thrust23THRUST_200600_302600_NS5tupleIffNS6_9null_typeES8_S8_S8_S8_S8_S8_S8_EEEEZZNS1_29radix_sort_onesweep_iterationIS3_Lb0ENS6_6detail15normal_iteratorINS6_10device_ptrIjEEEESG_NSD_INSE_IS9_EEEESI_jNS0_19identity_decomposerENS1_16block_id_wrapperIjLb1EEEEE10hipError_tT1_PNSt15iterator_traitsISN_E10value_typeET2_T3_PNSO_IST_E10value_typeET4_T5_PSY_SZ_PNS1_23onesweep_lookback_stateEbbT6_jjT7_P12ihipStream_tbENKUlT_T0_SN_SS_E_clIPjSG_PS9_SI_EEDaS16_S17_SN_SS_EUlS16_E_NS1_11comp_targetILNS1_3genE10ELNS1_11target_archE1201ELNS1_3gpuE5ELNS1_3repE0EEENS1_47radix_sort_onesweep_sort_config_static_selectorELNS0_4arch9wavefront6targetE1EEEvSN_ ; -- Begin function _ZN7rocprim17ROCPRIM_400000_NS6detail17trampoline_kernelINS0_14default_configENS1_35radix_sort_onesweep_config_selectorIjN6thrust23THRUST_200600_302600_NS5tupleIffNS6_9null_typeES8_S8_S8_S8_S8_S8_S8_EEEEZZNS1_29radix_sort_onesweep_iterationIS3_Lb0ENS6_6detail15normal_iteratorINS6_10device_ptrIjEEEESG_NSD_INSE_IS9_EEEESI_jNS0_19identity_decomposerENS1_16block_id_wrapperIjLb1EEEEE10hipError_tT1_PNSt15iterator_traitsISN_E10value_typeET2_T3_PNSO_IST_E10value_typeET4_T5_PSY_SZ_PNS1_23onesweep_lookback_stateEbbT6_jjT7_P12ihipStream_tbENKUlT_T0_SN_SS_E_clIPjSG_PS9_SI_EEDaS16_S17_SN_SS_EUlS16_E_NS1_11comp_targetILNS1_3genE10ELNS1_11target_archE1201ELNS1_3gpuE5ELNS1_3repE0EEENS1_47radix_sort_onesweep_sort_config_static_selectorELNS0_4arch9wavefront6targetE1EEEvSN_
	.globl	_ZN7rocprim17ROCPRIM_400000_NS6detail17trampoline_kernelINS0_14default_configENS1_35radix_sort_onesweep_config_selectorIjN6thrust23THRUST_200600_302600_NS5tupleIffNS6_9null_typeES8_S8_S8_S8_S8_S8_S8_EEEEZZNS1_29radix_sort_onesweep_iterationIS3_Lb0ENS6_6detail15normal_iteratorINS6_10device_ptrIjEEEESG_NSD_INSE_IS9_EEEESI_jNS0_19identity_decomposerENS1_16block_id_wrapperIjLb1EEEEE10hipError_tT1_PNSt15iterator_traitsISN_E10value_typeET2_T3_PNSO_IST_E10value_typeET4_T5_PSY_SZ_PNS1_23onesweep_lookback_stateEbbT6_jjT7_P12ihipStream_tbENKUlT_T0_SN_SS_E_clIPjSG_PS9_SI_EEDaS16_S17_SN_SS_EUlS16_E_NS1_11comp_targetILNS1_3genE10ELNS1_11target_archE1201ELNS1_3gpuE5ELNS1_3repE0EEENS1_47radix_sort_onesweep_sort_config_static_selectorELNS0_4arch9wavefront6targetE1EEEvSN_
	.p2align	8
	.type	_ZN7rocprim17ROCPRIM_400000_NS6detail17trampoline_kernelINS0_14default_configENS1_35radix_sort_onesweep_config_selectorIjN6thrust23THRUST_200600_302600_NS5tupleIffNS6_9null_typeES8_S8_S8_S8_S8_S8_S8_EEEEZZNS1_29radix_sort_onesweep_iterationIS3_Lb0ENS6_6detail15normal_iteratorINS6_10device_ptrIjEEEESG_NSD_INSE_IS9_EEEESI_jNS0_19identity_decomposerENS1_16block_id_wrapperIjLb1EEEEE10hipError_tT1_PNSt15iterator_traitsISN_E10value_typeET2_T3_PNSO_IST_E10value_typeET4_T5_PSY_SZ_PNS1_23onesweep_lookback_stateEbbT6_jjT7_P12ihipStream_tbENKUlT_T0_SN_SS_E_clIPjSG_PS9_SI_EEDaS16_S17_SN_SS_EUlS16_E_NS1_11comp_targetILNS1_3genE10ELNS1_11target_archE1201ELNS1_3gpuE5ELNS1_3repE0EEENS1_47radix_sort_onesweep_sort_config_static_selectorELNS0_4arch9wavefront6targetE1EEEvSN_,@function
_ZN7rocprim17ROCPRIM_400000_NS6detail17trampoline_kernelINS0_14default_configENS1_35radix_sort_onesweep_config_selectorIjN6thrust23THRUST_200600_302600_NS5tupleIffNS6_9null_typeES8_S8_S8_S8_S8_S8_S8_EEEEZZNS1_29radix_sort_onesweep_iterationIS3_Lb0ENS6_6detail15normal_iteratorINS6_10device_ptrIjEEEESG_NSD_INSE_IS9_EEEESI_jNS0_19identity_decomposerENS1_16block_id_wrapperIjLb1EEEEE10hipError_tT1_PNSt15iterator_traitsISN_E10value_typeET2_T3_PNSO_IST_E10value_typeET4_T5_PSY_SZ_PNS1_23onesweep_lookback_stateEbbT6_jjT7_P12ihipStream_tbENKUlT_T0_SN_SS_E_clIPjSG_PS9_SI_EEDaS16_S17_SN_SS_EUlS16_E_NS1_11comp_targetILNS1_3genE10ELNS1_11target_archE1201ELNS1_3gpuE5ELNS1_3repE0EEENS1_47radix_sort_onesweep_sort_config_static_selectorELNS0_4arch9wavefront6targetE1EEEvSN_: ; @_ZN7rocprim17ROCPRIM_400000_NS6detail17trampoline_kernelINS0_14default_configENS1_35radix_sort_onesweep_config_selectorIjN6thrust23THRUST_200600_302600_NS5tupleIffNS6_9null_typeES8_S8_S8_S8_S8_S8_S8_EEEEZZNS1_29radix_sort_onesweep_iterationIS3_Lb0ENS6_6detail15normal_iteratorINS6_10device_ptrIjEEEESG_NSD_INSE_IS9_EEEESI_jNS0_19identity_decomposerENS1_16block_id_wrapperIjLb1EEEEE10hipError_tT1_PNSt15iterator_traitsISN_E10value_typeET2_T3_PNSO_IST_E10value_typeET4_T5_PSY_SZ_PNS1_23onesweep_lookback_stateEbbT6_jjT7_P12ihipStream_tbENKUlT_T0_SN_SS_E_clIPjSG_PS9_SI_EEDaS16_S17_SN_SS_EUlS16_E_NS1_11comp_targetILNS1_3genE10ELNS1_11target_archE1201ELNS1_3gpuE5ELNS1_3repE0EEENS1_47radix_sort_onesweep_sort_config_static_selectorELNS0_4arch9wavefront6targetE1EEEvSN_
; %bb.0:
	.section	.rodata,"a",@progbits
	.p2align	6, 0x0
	.amdhsa_kernel _ZN7rocprim17ROCPRIM_400000_NS6detail17trampoline_kernelINS0_14default_configENS1_35radix_sort_onesweep_config_selectorIjN6thrust23THRUST_200600_302600_NS5tupleIffNS6_9null_typeES8_S8_S8_S8_S8_S8_S8_EEEEZZNS1_29radix_sort_onesweep_iterationIS3_Lb0ENS6_6detail15normal_iteratorINS6_10device_ptrIjEEEESG_NSD_INSE_IS9_EEEESI_jNS0_19identity_decomposerENS1_16block_id_wrapperIjLb1EEEEE10hipError_tT1_PNSt15iterator_traitsISN_E10value_typeET2_T3_PNSO_IST_E10value_typeET4_T5_PSY_SZ_PNS1_23onesweep_lookback_stateEbbT6_jjT7_P12ihipStream_tbENKUlT_T0_SN_SS_E_clIPjSG_PS9_SI_EEDaS16_S17_SN_SS_EUlS16_E_NS1_11comp_targetILNS1_3genE10ELNS1_11target_archE1201ELNS1_3gpuE5ELNS1_3repE0EEENS1_47radix_sort_onesweep_sort_config_static_selectorELNS0_4arch9wavefront6targetE1EEEvSN_
		.amdhsa_group_segment_fixed_size 0
		.amdhsa_private_segment_fixed_size 0
		.amdhsa_kernarg_size 88
		.amdhsa_user_sgpr_count 6
		.amdhsa_user_sgpr_private_segment_buffer 1
		.amdhsa_user_sgpr_dispatch_ptr 0
		.amdhsa_user_sgpr_queue_ptr 0
		.amdhsa_user_sgpr_kernarg_segment_ptr 1
		.amdhsa_user_sgpr_dispatch_id 0
		.amdhsa_user_sgpr_flat_scratch_init 0
		.amdhsa_user_sgpr_kernarg_preload_length 0
		.amdhsa_user_sgpr_kernarg_preload_offset 0
		.amdhsa_user_sgpr_private_segment_size 0
		.amdhsa_uses_dynamic_stack 0
		.amdhsa_system_sgpr_private_segment_wavefront_offset 0
		.amdhsa_system_sgpr_workgroup_id_x 1
		.amdhsa_system_sgpr_workgroup_id_y 0
		.amdhsa_system_sgpr_workgroup_id_z 0
		.amdhsa_system_sgpr_workgroup_info 0
		.amdhsa_system_vgpr_workitem_id 0
		.amdhsa_next_free_vgpr 1
		.amdhsa_next_free_sgpr 0
		.amdhsa_accum_offset 4
		.amdhsa_reserve_vcc 0
		.amdhsa_reserve_flat_scratch 0
		.amdhsa_float_round_mode_32 0
		.amdhsa_float_round_mode_16_64 0
		.amdhsa_float_denorm_mode_32 3
		.amdhsa_float_denorm_mode_16_64 3
		.amdhsa_dx10_clamp 1
		.amdhsa_ieee_mode 1
		.amdhsa_fp16_overflow 0
		.amdhsa_tg_split 0
		.amdhsa_exception_fp_ieee_invalid_op 0
		.amdhsa_exception_fp_denorm_src 0
		.amdhsa_exception_fp_ieee_div_zero 0
		.amdhsa_exception_fp_ieee_overflow 0
		.amdhsa_exception_fp_ieee_underflow 0
		.amdhsa_exception_fp_ieee_inexact 0
		.amdhsa_exception_int_div_zero 0
	.end_amdhsa_kernel
	.section	.text._ZN7rocprim17ROCPRIM_400000_NS6detail17trampoline_kernelINS0_14default_configENS1_35radix_sort_onesweep_config_selectorIjN6thrust23THRUST_200600_302600_NS5tupleIffNS6_9null_typeES8_S8_S8_S8_S8_S8_S8_EEEEZZNS1_29radix_sort_onesweep_iterationIS3_Lb0ENS6_6detail15normal_iteratorINS6_10device_ptrIjEEEESG_NSD_INSE_IS9_EEEESI_jNS0_19identity_decomposerENS1_16block_id_wrapperIjLb1EEEEE10hipError_tT1_PNSt15iterator_traitsISN_E10value_typeET2_T3_PNSO_IST_E10value_typeET4_T5_PSY_SZ_PNS1_23onesweep_lookback_stateEbbT6_jjT7_P12ihipStream_tbENKUlT_T0_SN_SS_E_clIPjSG_PS9_SI_EEDaS16_S17_SN_SS_EUlS16_E_NS1_11comp_targetILNS1_3genE10ELNS1_11target_archE1201ELNS1_3gpuE5ELNS1_3repE0EEENS1_47radix_sort_onesweep_sort_config_static_selectorELNS0_4arch9wavefront6targetE1EEEvSN_,"axG",@progbits,_ZN7rocprim17ROCPRIM_400000_NS6detail17trampoline_kernelINS0_14default_configENS1_35radix_sort_onesweep_config_selectorIjN6thrust23THRUST_200600_302600_NS5tupleIffNS6_9null_typeES8_S8_S8_S8_S8_S8_S8_EEEEZZNS1_29radix_sort_onesweep_iterationIS3_Lb0ENS6_6detail15normal_iteratorINS6_10device_ptrIjEEEESG_NSD_INSE_IS9_EEEESI_jNS0_19identity_decomposerENS1_16block_id_wrapperIjLb1EEEEE10hipError_tT1_PNSt15iterator_traitsISN_E10value_typeET2_T3_PNSO_IST_E10value_typeET4_T5_PSY_SZ_PNS1_23onesweep_lookback_stateEbbT6_jjT7_P12ihipStream_tbENKUlT_T0_SN_SS_E_clIPjSG_PS9_SI_EEDaS16_S17_SN_SS_EUlS16_E_NS1_11comp_targetILNS1_3genE10ELNS1_11target_archE1201ELNS1_3gpuE5ELNS1_3repE0EEENS1_47radix_sort_onesweep_sort_config_static_selectorELNS0_4arch9wavefront6targetE1EEEvSN_,comdat
.Lfunc_end199:
	.size	_ZN7rocprim17ROCPRIM_400000_NS6detail17trampoline_kernelINS0_14default_configENS1_35radix_sort_onesweep_config_selectorIjN6thrust23THRUST_200600_302600_NS5tupleIffNS6_9null_typeES8_S8_S8_S8_S8_S8_S8_EEEEZZNS1_29radix_sort_onesweep_iterationIS3_Lb0ENS6_6detail15normal_iteratorINS6_10device_ptrIjEEEESG_NSD_INSE_IS9_EEEESI_jNS0_19identity_decomposerENS1_16block_id_wrapperIjLb1EEEEE10hipError_tT1_PNSt15iterator_traitsISN_E10value_typeET2_T3_PNSO_IST_E10value_typeET4_T5_PSY_SZ_PNS1_23onesweep_lookback_stateEbbT6_jjT7_P12ihipStream_tbENKUlT_T0_SN_SS_E_clIPjSG_PS9_SI_EEDaS16_S17_SN_SS_EUlS16_E_NS1_11comp_targetILNS1_3genE10ELNS1_11target_archE1201ELNS1_3gpuE5ELNS1_3repE0EEENS1_47radix_sort_onesweep_sort_config_static_selectorELNS0_4arch9wavefront6targetE1EEEvSN_, .Lfunc_end199-_ZN7rocprim17ROCPRIM_400000_NS6detail17trampoline_kernelINS0_14default_configENS1_35radix_sort_onesweep_config_selectorIjN6thrust23THRUST_200600_302600_NS5tupleIffNS6_9null_typeES8_S8_S8_S8_S8_S8_S8_EEEEZZNS1_29radix_sort_onesweep_iterationIS3_Lb0ENS6_6detail15normal_iteratorINS6_10device_ptrIjEEEESG_NSD_INSE_IS9_EEEESI_jNS0_19identity_decomposerENS1_16block_id_wrapperIjLb1EEEEE10hipError_tT1_PNSt15iterator_traitsISN_E10value_typeET2_T3_PNSO_IST_E10value_typeET4_T5_PSY_SZ_PNS1_23onesweep_lookback_stateEbbT6_jjT7_P12ihipStream_tbENKUlT_T0_SN_SS_E_clIPjSG_PS9_SI_EEDaS16_S17_SN_SS_EUlS16_E_NS1_11comp_targetILNS1_3genE10ELNS1_11target_archE1201ELNS1_3gpuE5ELNS1_3repE0EEENS1_47radix_sort_onesweep_sort_config_static_selectorELNS0_4arch9wavefront6targetE1EEEvSN_
                                        ; -- End function
	.section	.AMDGPU.csdata,"",@progbits
; Kernel info:
; codeLenInByte = 0
; NumSgprs: 4
; NumVgprs: 0
; NumAgprs: 0
; TotalNumVgprs: 0
; ScratchSize: 0
; MemoryBound: 0
; FloatMode: 240
; IeeeMode: 1
; LDSByteSize: 0 bytes/workgroup (compile time only)
; SGPRBlocks: 0
; VGPRBlocks: 0
; NumSGPRsForWavesPerEU: 4
; NumVGPRsForWavesPerEU: 1
; AccumOffset: 4
; Occupancy: 8
; WaveLimiterHint : 0
; COMPUTE_PGM_RSRC2:SCRATCH_EN: 0
; COMPUTE_PGM_RSRC2:USER_SGPR: 6
; COMPUTE_PGM_RSRC2:TRAP_HANDLER: 0
; COMPUTE_PGM_RSRC2:TGID_X_EN: 1
; COMPUTE_PGM_RSRC2:TGID_Y_EN: 0
; COMPUTE_PGM_RSRC2:TGID_Z_EN: 0
; COMPUTE_PGM_RSRC2:TIDIG_COMP_CNT: 0
; COMPUTE_PGM_RSRC3_GFX90A:ACCUM_OFFSET: 0
; COMPUTE_PGM_RSRC3_GFX90A:TG_SPLIT: 0
	.section	.text._ZN7rocprim17ROCPRIM_400000_NS6detail17trampoline_kernelINS0_14default_configENS1_35radix_sort_onesweep_config_selectorIjN6thrust23THRUST_200600_302600_NS5tupleIffNS6_9null_typeES8_S8_S8_S8_S8_S8_S8_EEEEZZNS1_29radix_sort_onesweep_iterationIS3_Lb0ENS6_6detail15normal_iteratorINS6_10device_ptrIjEEEESG_NSD_INSE_IS9_EEEESI_jNS0_19identity_decomposerENS1_16block_id_wrapperIjLb1EEEEE10hipError_tT1_PNSt15iterator_traitsISN_E10value_typeET2_T3_PNSO_IST_E10value_typeET4_T5_PSY_SZ_PNS1_23onesweep_lookback_stateEbbT6_jjT7_P12ihipStream_tbENKUlT_T0_SN_SS_E_clIPjSG_PS9_SI_EEDaS16_S17_SN_SS_EUlS16_E_NS1_11comp_targetILNS1_3genE9ELNS1_11target_archE1100ELNS1_3gpuE3ELNS1_3repE0EEENS1_47radix_sort_onesweep_sort_config_static_selectorELNS0_4arch9wavefront6targetE1EEEvSN_,"axG",@progbits,_ZN7rocprim17ROCPRIM_400000_NS6detail17trampoline_kernelINS0_14default_configENS1_35radix_sort_onesweep_config_selectorIjN6thrust23THRUST_200600_302600_NS5tupleIffNS6_9null_typeES8_S8_S8_S8_S8_S8_S8_EEEEZZNS1_29radix_sort_onesweep_iterationIS3_Lb0ENS6_6detail15normal_iteratorINS6_10device_ptrIjEEEESG_NSD_INSE_IS9_EEEESI_jNS0_19identity_decomposerENS1_16block_id_wrapperIjLb1EEEEE10hipError_tT1_PNSt15iterator_traitsISN_E10value_typeET2_T3_PNSO_IST_E10value_typeET4_T5_PSY_SZ_PNS1_23onesweep_lookback_stateEbbT6_jjT7_P12ihipStream_tbENKUlT_T0_SN_SS_E_clIPjSG_PS9_SI_EEDaS16_S17_SN_SS_EUlS16_E_NS1_11comp_targetILNS1_3genE9ELNS1_11target_archE1100ELNS1_3gpuE3ELNS1_3repE0EEENS1_47radix_sort_onesweep_sort_config_static_selectorELNS0_4arch9wavefront6targetE1EEEvSN_,comdat
	.protected	_ZN7rocprim17ROCPRIM_400000_NS6detail17trampoline_kernelINS0_14default_configENS1_35radix_sort_onesweep_config_selectorIjN6thrust23THRUST_200600_302600_NS5tupleIffNS6_9null_typeES8_S8_S8_S8_S8_S8_S8_EEEEZZNS1_29radix_sort_onesweep_iterationIS3_Lb0ENS6_6detail15normal_iteratorINS6_10device_ptrIjEEEESG_NSD_INSE_IS9_EEEESI_jNS0_19identity_decomposerENS1_16block_id_wrapperIjLb1EEEEE10hipError_tT1_PNSt15iterator_traitsISN_E10value_typeET2_T3_PNSO_IST_E10value_typeET4_T5_PSY_SZ_PNS1_23onesweep_lookback_stateEbbT6_jjT7_P12ihipStream_tbENKUlT_T0_SN_SS_E_clIPjSG_PS9_SI_EEDaS16_S17_SN_SS_EUlS16_E_NS1_11comp_targetILNS1_3genE9ELNS1_11target_archE1100ELNS1_3gpuE3ELNS1_3repE0EEENS1_47radix_sort_onesweep_sort_config_static_selectorELNS0_4arch9wavefront6targetE1EEEvSN_ ; -- Begin function _ZN7rocprim17ROCPRIM_400000_NS6detail17trampoline_kernelINS0_14default_configENS1_35radix_sort_onesweep_config_selectorIjN6thrust23THRUST_200600_302600_NS5tupleIffNS6_9null_typeES8_S8_S8_S8_S8_S8_S8_EEEEZZNS1_29radix_sort_onesweep_iterationIS3_Lb0ENS6_6detail15normal_iteratorINS6_10device_ptrIjEEEESG_NSD_INSE_IS9_EEEESI_jNS0_19identity_decomposerENS1_16block_id_wrapperIjLb1EEEEE10hipError_tT1_PNSt15iterator_traitsISN_E10value_typeET2_T3_PNSO_IST_E10value_typeET4_T5_PSY_SZ_PNS1_23onesweep_lookback_stateEbbT6_jjT7_P12ihipStream_tbENKUlT_T0_SN_SS_E_clIPjSG_PS9_SI_EEDaS16_S17_SN_SS_EUlS16_E_NS1_11comp_targetILNS1_3genE9ELNS1_11target_archE1100ELNS1_3gpuE3ELNS1_3repE0EEENS1_47radix_sort_onesweep_sort_config_static_selectorELNS0_4arch9wavefront6targetE1EEEvSN_
	.globl	_ZN7rocprim17ROCPRIM_400000_NS6detail17trampoline_kernelINS0_14default_configENS1_35radix_sort_onesweep_config_selectorIjN6thrust23THRUST_200600_302600_NS5tupleIffNS6_9null_typeES8_S8_S8_S8_S8_S8_S8_EEEEZZNS1_29radix_sort_onesweep_iterationIS3_Lb0ENS6_6detail15normal_iteratorINS6_10device_ptrIjEEEESG_NSD_INSE_IS9_EEEESI_jNS0_19identity_decomposerENS1_16block_id_wrapperIjLb1EEEEE10hipError_tT1_PNSt15iterator_traitsISN_E10value_typeET2_T3_PNSO_IST_E10value_typeET4_T5_PSY_SZ_PNS1_23onesweep_lookback_stateEbbT6_jjT7_P12ihipStream_tbENKUlT_T0_SN_SS_E_clIPjSG_PS9_SI_EEDaS16_S17_SN_SS_EUlS16_E_NS1_11comp_targetILNS1_3genE9ELNS1_11target_archE1100ELNS1_3gpuE3ELNS1_3repE0EEENS1_47radix_sort_onesweep_sort_config_static_selectorELNS0_4arch9wavefront6targetE1EEEvSN_
	.p2align	8
	.type	_ZN7rocprim17ROCPRIM_400000_NS6detail17trampoline_kernelINS0_14default_configENS1_35radix_sort_onesweep_config_selectorIjN6thrust23THRUST_200600_302600_NS5tupleIffNS6_9null_typeES8_S8_S8_S8_S8_S8_S8_EEEEZZNS1_29radix_sort_onesweep_iterationIS3_Lb0ENS6_6detail15normal_iteratorINS6_10device_ptrIjEEEESG_NSD_INSE_IS9_EEEESI_jNS0_19identity_decomposerENS1_16block_id_wrapperIjLb1EEEEE10hipError_tT1_PNSt15iterator_traitsISN_E10value_typeET2_T3_PNSO_IST_E10value_typeET4_T5_PSY_SZ_PNS1_23onesweep_lookback_stateEbbT6_jjT7_P12ihipStream_tbENKUlT_T0_SN_SS_E_clIPjSG_PS9_SI_EEDaS16_S17_SN_SS_EUlS16_E_NS1_11comp_targetILNS1_3genE9ELNS1_11target_archE1100ELNS1_3gpuE3ELNS1_3repE0EEENS1_47radix_sort_onesweep_sort_config_static_selectorELNS0_4arch9wavefront6targetE1EEEvSN_,@function
_ZN7rocprim17ROCPRIM_400000_NS6detail17trampoline_kernelINS0_14default_configENS1_35radix_sort_onesweep_config_selectorIjN6thrust23THRUST_200600_302600_NS5tupleIffNS6_9null_typeES8_S8_S8_S8_S8_S8_S8_EEEEZZNS1_29radix_sort_onesweep_iterationIS3_Lb0ENS6_6detail15normal_iteratorINS6_10device_ptrIjEEEESG_NSD_INSE_IS9_EEEESI_jNS0_19identity_decomposerENS1_16block_id_wrapperIjLb1EEEEE10hipError_tT1_PNSt15iterator_traitsISN_E10value_typeET2_T3_PNSO_IST_E10value_typeET4_T5_PSY_SZ_PNS1_23onesweep_lookback_stateEbbT6_jjT7_P12ihipStream_tbENKUlT_T0_SN_SS_E_clIPjSG_PS9_SI_EEDaS16_S17_SN_SS_EUlS16_E_NS1_11comp_targetILNS1_3genE9ELNS1_11target_archE1100ELNS1_3gpuE3ELNS1_3repE0EEENS1_47radix_sort_onesweep_sort_config_static_selectorELNS0_4arch9wavefront6targetE1EEEvSN_: ; @_ZN7rocprim17ROCPRIM_400000_NS6detail17trampoline_kernelINS0_14default_configENS1_35radix_sort_onesweep_config_selectorIjN6thrust23THRUST_200600_302600_NS5tupleIffNS6_9null_typeES8_S8_S8_S8_S8_S8_S8_EEEEZZNS1_29radix_sort_onesweep_iterationIS3_Lb0ENS6_6detail15normal_iteratorINS6_10device_ptrIjEEEESG_NSD_INSE_IS9_EEEESI_jNS0_19identity_decomposerENS1_16block_id_wrapperIjLb1EEEEE10hipError_tT1_PNSt15iterator_traitsISN_E10value_typeET2_T3_PNSO_IST_E10value_typeET4_T5_PSY_SZ_PNS1_23onesweep_lookback_stateEbbT6_jjT7_P12ihipStream_tbENKUlT_T0_SN_SS_E_clIPjSG_PS9_SI_EEDaS16_S17_SN_SS_EUlS16_E_NS1_11comp_targetILNS1_3genE9ELNS1_11target_archE1100ELNS1_3gpuE3ELNS1_3repE0EEENS1_47radix_sort_onesweep_sort_config_static_selectorELNS0_4arch9wavefront6targetE1EEEvSN_
; %bb.0:
	.section	.rodata,"a",@progbits
	.p2align	6, 0x0
	.amdhsa_kernel _ZN7rocprim17ROCPRIM_400000_NS6detail17trampoline_kernelINS0_14default_configENS1_35radix_sort_onesweep_config_selectorIjN6thrust23THRUST_200600_302600_NS5tupleIffNS6_9null_typeES8_S8_S8_S8_S8_S8_S8_EEEEZZNS1_29radix_sort_onesweep_iterationIS3_Lb0ENS6_6detail15normal_iteratorINS6_10device_ptrIjEEEESG_NSD_INSE_IS9_EEEESI_jNS0_19identity_decomposerENS1_16block_id_wrapperIjLb1EEEEE10hipError_tT1_PNSt15iterator_traitsISN_E10value_typeET2_T3_PNSO_IST_E10value_typeET4_T5_PSY_SZ_PNS1_23onesweep_lookback_stateEbbT6_jjT7_P12ihipStream_tbENKUlT_T0_SN_SS_E_clIPjSG_PS9_SI_EEDaS16_S17_SN_SS_EUlS16_E_NS1_11comp_targetILNS1_3genE9ELNS1_11target_archE1100ELNS1_3gpuE3ELNS1_3repE0EEENS1_47radix_sort_onesweep_sort_config_static_selectorELNS0_4arch9wavefront6targetE1EEEvSN_
		.amdhsa_group_segment_fixed_size 0
		.amdhsa_private_segment_fixed_size 0
		.amdhsa_kernarg_size 88
		.amdhsa_user_sgpr_count 6
		.amdhsa_user_sgpr_private_segment_buffer 1
		.amdhsa_user_sgpr_dispatch_ptr 0
		.amdhsa_user_sgpr_queue_ptr 0
		.amdhsa_user_sgpr_kernarg_segment_ptr 1
		.amdhsa_user_sgpr_dispatch_id 0
		.amdhsa_user_sgpr_flat_scratch_init 0
		.amdhsa_user_sgpr_kernarg_preload_length 0
		.amdhsa_user_sgpr_kernarg_preload_offset 0
		.amdhsa_user_sgpr_private_segment_size 0
		.amdhsa_uses_dynamic_stack 0
		.amdhsa_system_sgpr_private_segment_wavefront_offset 0
		.amdhsa_system_sgpr_workgroup_id_x 1
		.amdhsa_system_sgpr_workgroup_id_y 0
		.amdhsa_system_sgpr_workgroup_id_z 0
		.amdhsa_system_sgpr_workgroup_info 0
		.amdhsa_system_vgpr_workitem_id 0
		.amdhsa_next_free_vgpr 1
		.amdhsa_next_free_sgpr 0
		.amdhsa_accum_offset 4
		.amdhsa_reserve_vcc 0
		.amdhsa_reserve_flat_scratch 0
		.amdhsa_float_round_mode_32 0
		.amdhsa_float_round_mode_16_64 0
		.amdhsa_float_denorm_mode_32 3
		.amdhsa_float_denorm_mode_16_64 3
		.amdhsa_dx10_clamp 1
		.amdhsa_ieee_mode 1
		.amdhsa_fp16_overflow 0
		.amdhsa_tg_split 0
		.amdhsa_exception_fp_ieee_invalid_op 0
		.amdhsa_exception_fp_denorm_src 0
		.amdhsa_exception_fp_ieee_div_zero 0
		.amdhsa_exception_fp_ieee_overflow 0
		.amdhsa_exception_fp_ieee_underflow 0
		.amdhsa_exception_fp_ieee_inexact 0
		.amdhsa_exception_int_div_zero 0
	.end_amdhsa_kernel
	.section	.text._ZN7rocprim17ROCPRIM_400000_NS6detail17trampoline_kernelINS0_14default_configENS1_35radix_sort_onesweep_config_selectorIjN6thrust23THRUST_200600_302600_NS5tupleIffNS6_9null_typeES8_S8_S8_S8_S8_S8_S8_EEEEZZNS1_29radix_sort_onesweep_iterationIS3_Lb0ENS6_6detail15normal_iteratorINS6_10device_ptrIjEEEESG_NSD_INSE_IS9_EEEESI_jNS0_19identity_decomposerENS1_16block_id_wrapperIjLb1EEEEE10hipError_tT1_PNSt15iterator_traitsISN_E10value_typeET2_T3_PNSO_IST_E10value_typeET4_T5_PSY_SZ_PNS1_23onesweep_lookback_stateEbbT6_jjT7_P12ihipStream_tbENKUlT_T0_SN_SS_E_clIPjSG_PS9_SI_EEDaS16_S17_SN_SS_EUlS16_E_NS1_11comp_targetILNS1_3genE9ELNS1_11target_archE1100ELNS1_3gpuE3ELNS1_3repE0EEENS1_47radix_sort_onesweep_sort_config_static_selectorELNS0_4arch9wavefront6targetE1EEEvSN_,"axG",@progbits,_ZN7rocprim17ROCPRIM_400000_NS6detail17trampoline_kernelINS0_14default_configENS1_35radix_sort_onesweep_config_selectorIjN6thrust23THRUST_200600_302600_NS5tupleIffNS6_9null_typeES8_S8_S8_S8_S8_S8_S8_EEEEZZNS1_29radix_sort_onesweep_iterationIS3_Lb0ENS6_6detail15normal_iteratorINS6_10device_ptrIjEEEESG_NSD_INSE_IS9_EEEESI_jNS0_19identity_decomposerENS1_16block_id_wrapperIjLb1EEEEE10hipError_tT1_PNSt15iterator_traitsISN_E10value_typeET2_T3_PNSO_IST_E10value_typeET4_T5_PSY_SZ_PNS1_23onesweep_lookback_stateEbbT6_jjT7_P12ihipStream_tbENKUlT_T0_SN_SS_E_clIPjSG_PS9_SI_EEDaS16_S17_SN_SS_EUlS16_E_NS1_11comp_targetILNS1_3genE9ELNS1_11target_archE1100ELNS1_3gpuE3ELNS1_3repE0EEENS1_47radix_sort_onesweep_sort_config_static_selectorELNS0_4arch9wavefront6targetE1EEEvSN_,comdat
.Lfunc_end200:
	.size	_ZN7rocprim17ROCPRIM_400000_NS6detail17trampoline_kernelINS0_14default_configENS1_35radix_sort_onesweep_config_selectorIjN6thrust23THRUST_200600_302600_NS5tupleIffNS6_9null_typeES8_S8_S8_S8_S8_S8_S8_EEEEZZNS1_29radix_sort_onesweep_iterationIS3_Lb0ENS6_6detail15normal_iteratorINS6_10device_ptrIjEEEESG_NSD_INSE_IS9_EEEESI_jNS0_19identity_decomposerENS1_16block_id_wrapperIjLb1EEEEE10hipError_tT1_PNSt15iterator_traitsISN_E10value_typeET2_T3_PNSO_IST_E10value_typeET4_T5_PSY_SZ_PNS1_23onesweep_lookback_stateEbbT6_jjT7_P12ihipStream_tbENKUlT_T0_SN_SS_E_clIPjSG_PS9_SI_EEDaS16_S17_SN_SS_EUlS16_E_NS1_11comp_targetILNS1_3genE9ELNS1_11target_archE1100ELNS1_3gpuE3ELNS1_3repE0EEENS1_47radix_sort_onesweep_sort_config_static_selectorELNS0_4arch9wavefront6targetE1EEEvSN_, .Lfunc_end200-_ZN7rocprim17ROCPRIM_400000_NS6detail17trampoline_kernelINS0_14default_configENS1_35radix_sort_onesweep_config_selectorIjN6thrust23THRUST_200600_302600_NS5tupleIffNS6_9null_typeES8_S8_S8_S8_S8_S8_S8_EEEEZZNS1_29radix_sort_onesweep_iterationIS3_Lb0ENS6_6detail15normal_iteratorINS6_10device_ptrIjEEEESG_NSD_INSE_IS9_EEEESI_jNS0_19identity_decomposerENS1_16block_id_wrapperIjLb1EEEEE10hipError_tT1_PNSt15iterator_traitsISN_E10value_typeET2_T3_PNSO_IST_E10value_typeET4_T5_PSY_SZ_PNS1_23onesweep_lookback_stateEbbT6_jjT7_P12ihipStream_tbENKUlT_T0_SN_SS_E_clIPjSG_PS9_SI_EEDaS16_S17_SN_SS_EUlS16_E_NS1_11comp_targetILNS1_3genE9ELNS1_11target_archE1100ELNS1_3gpuE3ELNS1_3repE0EEENS1_47radix_sort_onesweep_sort_config_static_selectorELNS0_4arch9wavefront6targetE1EEEvSN_
                                        ; -- End function
	.section	.AMDGPU.csdata,"",@progbits
; Kernel info:
; codeLenInByte = 0
; NumSgprs: 4
; NumVgprs: 0
; NumAgprs: 0
; TotalNumVgprs: 0
; ScratchSize: 0
; MemoryBound: 0
; FloatMode: 240
; IeeeMode: 1
; LDSByteSize: 0 bytes/workgroup (compile time only)
; SGPRBlocks: 0
; VGPRBlocks: 0
; NumSGPRsForWavesPerEU: 4
; NumVGPRsForWavesPerEU: 1
; AccumOffset: 4
; Occupancy: 8
; WaveLimiterHint : 0
; COMPUTE_PGM_RSRC2:SCRATCH_EN: 0
; COMPUTE_PGM_RSRC2:USER_SGPR: 6
; COMPUTE_PGM_RSRC2:TRAP_HANDLER: 0
; COMPUTE_PGM_RSRC2:TGID_X_EN: 1
; COMPUTE_PGM_RSRC2:TGID_Y_EN: 0
; COMPUTE_PGM_RSRC2:TGID_Z_EN: 0
; COMPUTE_PGM_RSRC2:TIDIG_COMP_CNT: 0
; COMPUTE_PGM_RSRC3_GFX90A:ACCUM_OFFSET: 0
; COMPUTE_PGM_RSRC3_GFX90A:TG_SPLIT: 0
	.section	.text._ZN7rocprim17ROCPRIM_400000_NS6detail17trampoline_kernelINS0_14default_configENS1_35radix_sort_onesweep_config_selectorIjN6thrust23THRUST_200600_302600_NS5tupleIffNS6_9null_typeES8_S8_S8_S8_S8_S8_S8_EEEEZZNS1_29radix_sort_onesweep_iterationIS3_Lb0ENS6_6detail15normal_iteratorINS6_10device_ptrIjEEEESG_NSD_INSE_IS9_EEEESI_jNS0_19identity_decomposerENS1_16block_id_wrapperIjLb1EEEEE10hipError_tT1_PNSt15iterator_traitsISN_E10value_typeET2_T3_PNSO_IST_E10value_typeET4_T5_PSY_SZ_PNS1_23onesweep_lookback_stateEbbT6_jjT7_P12ihipStream_tbENKUlT_T0_SN_SS_E_clIPjSG_PS9_SI_EEDaS16_S17_SN_SS_EUlS16_E_NS1_11comp_targetILNS1_3genE8ELNS1_11target_archE1030ELNS1_3gpuE2ELNS1_3repE0EEENS1_47radix_sort_onesweep_sort_config_static_selectorELNS0_4arch9wavefront6targetE1EEEvSN_,"axG",@progbits,_ZN7rocprim17ROCPRIM_400000_NS6detail17trampoline_kernelINS0_14default_configENS1_35radix_sort_onesweep_config_selectorIjN6thrust23THRUST_200600_302600_NS5tupleIffNS6_9null_typeES8_S8_S8_S8_S8_S8_S8_EEEEZZNS1_29radix_sort_onesweep_iterationIS3_Lb0ENS6_6detail15normal_iteratorINS6_10device_ptrIjEEEESG_NSD_INSE_IS9_EEEESI_jNS0_19identity_decomposerENS1_16block_id_wrapperIjLb1EEEEE10hipError_tT1_PNSt15iterator_traitsISN_E10value_typeET2_T3_PNSO_IST_E10value_typeET4_T5_PSY_SZ_PNS1_23onesweep_lookback_stateEbbT6_jjT7_P12ihipStream_tbENKUlT_T0_SN_SS_E_clIPjSG_PS9_SI_EEDaS16_S17_SN_SS_EUlS16_E_NS1_11comp_targetILNS1_3genE8ELNS1_11target_archE1030ELNS1_3gpuE2ELNS1_3repE0EEENS1_47radix_sort_onesweep_sort_config_static_selectorELNS0_4arch9wavefront6targetE1EEEvSN_,comdat
	.protected	_ZN7rocprim17ROCPRIM_400000_NS6detail17trampoline_kernelINS0_14default_configENS1_35radix_sort_onesweep_config_selectorIjN6thrust23THRUST_200600_302600_NS5tupleIffNS6_9null_typeES8_S8_S8_S8_S8_S8_S8_EEEEZZNS1_29radix_sort_onesweep_iterationIS3_Lb0ENS6_6detail15normal_iteratorINS6_10device_ptrIjEEEESG_NSD_INSE_IS9_EEEESI_jNS0_19identity_decomposerENS1_16block_id_wrapperIjLb1EEEEE10hipError_tT1_PNSt15iterator_traitsISN_E10value_typeET2_T3_PNSO_IST_E10value_typeET4_T5_PSY_SZ_PNS1_23onesweep_lookback_stateEbbT6_jjT7_P12ihipStream_tbENKUlT_T0_SN_SS_E_clIPjSG_PS9_SI_EEDaS16_S17_SN_SS_EUlS16_E_NS1_11comp_targetILNS1_3genE8ELNS1_11target_archE1030ELNS1_3gpuE2ELNS1_3repE0EEENS1_47radix_sort_onesweep_sort_config_static_selectorELNS0_4arch9wavefront6targetE1EEEvSN_ ; -- Begin function _ZN7rocprim17ROCPRIM_400000_NS6detail17trampoline_kernelINS0_14default_configENS1_35radix_sort_onesweep_config_selectorIjN6thrust23THRUST_200600_302600_NS5tupleIffNS6_9null_typeES8_S8_S8_S8_S8_S8_S8_EEEEZZNS1_29radix_sort_onesweep_iterationIS3_Lb0ENS6_6detail15normal_iteratorINS6_10device_ptrIjEEEESG_NSD_INSE_IS9_EEEESI_jNS0_19identity_decomposerENS1_16block_id_wrapperIjLb1EEEEE10hipError_tT1_PNSt15iterator_traitsISN_E10value_typeET2_T3_PNSO_IST_E10value_typeET4_T5_PSY_SZ_PNS1_23onesweep_lookback_stateEbbT6_jjT7_P12ihipStream_tbENKUlT_T0_SN_SS_E_clIPjSG_PS9_SI_EEDaS16_S17_SN_SS_EUlS16_E_NS1_11comp_targetILNS1_3genE8ELNS1_11target_archE1030ELNS1_3gpuE2ELNS1_3repE0EEENS1_47radix_sort_onesweep_sort_config_static_selectorELNS0_4arch9wavefront6targetE1EEEvSN_
	.globl	_ZN7rocprim17ROCPRIM_400000_NS6detail17trampoline_kernelINS0_14default_configENS1_35radix_sort_onesweep_config_selectorIjN6thrust23THRUST_200600_302600_NS5tupleIffNS6_9null_typeES8_S8_S8_S8_S8_S8_S8_EEEEZZNS1_29radix_sort_onesweep_iterationIS3_Lb0ENS6_6detail15normal_iteratorINS6_10device_ptrIjEEEESG_NSD_INSE_IS9_EEEESI_jNS0_19identity_decomposerENS1_16block_id_wrapperIjLb1EEEEE10hipError_tT1_PNSt15iterator_traitsISN_E10value_typeET2_T3_PNSO_IST_E10value_typeET4_T5_PSY_SZ_PNS1_23onesweep_lookback_stateEbbT6_jjT7_P12ihipStream_tbENKUlT_T0_SN_SS_E_clIPjSG_PS9_SI_EEDaS16_S17_SN_SS_EUlS16_E_NS1_11comp_targetILNS1_3genE8ELNS1_11target_archE1030ELNS1_3gpuE2ELNS1_3repE0EEENS1_47radix_sort_onesweep_sort_config_static_selectorELNS0_4arch9wavefront6targetE1EEEvSN_
	.p2align	8
	.type	_ZN7rocprim17ROCPRIM_400000_NS6detail17trampoline_kernelINS0_14default_configENS1_35radix_sort_onesweep_config_selectorIjN6thrust23THRUST_200600_302600_NS5tupleIffNS6_9null_typeES8_S8_S8_S8_S8_S8_S8_EEEEZZNS1_29radix_sort_onesweep_iterationIS3_Lb0ENS6_6detail15normal_iteratorINS6_10device_ptrIjEEEESG_NSD_INSE_IS9_EEEESI_jNS0_19identity_decomposerENS1_16block_id_wrapperIjLb1EEEEE10hipError_tT1_PNSt15iterator_traitsISN_E10value_typeET2_T3_PNSO_IST_E10value_typeET4_T5_PSY_SZ_PNS1_23onesweep_lookback_stateEbbT6_jjT7_P12ihipStream_tbENKUlT_T0_SN_SS_E_clIPjSG_PS9_SI_EEDaS16_S17_SN_SS_EUlS16_E_NS1_11comp_targetILNS1_3genE8ELNS1_11target_archE1030ELNS1_3gpuE2ELNS1_3repE0EEENS1_47radix_sort_onesweep_sort_config_static_selectorELNS0_4arch9wavefront6targetE1EEEvSN_,@function
_ZN7rocprim17ROCPRIM_400000_NS6detail17trampoline_kernelINS0_14default_configENS1_35radix_sort_onesweep_config_selectorIjN6thrust23THRUST_200600_302600_NS5tupleIffNS6_9null_typeES8_S8_S8_S8_S8_S8_S8_EEEEZZNS1_29radix_sort_onesweep_iterationIS3_Lb0ENS6_6detail15normal_iteratorINS6_10device_ptrIjEEEESG_NSD_INSE_IS9_EEEESI_jNS0_19identity_decomposerENS1_16block_id_wrapperIjLb1EEEEE10hipError_tT1_PNSt15iterator_traitsISN_E10value_typeET2_T3_PNSO_IST_E10value_typeET4_T5_PSY_SZ_PNS1_23onesweep_lookback_stateEbbT6_jjT7_P12ihipStream_tbENKUlT_T0_SN_SS_E_clIPjSG_PS9_SI_EEDaS16_S17_SN_SS_EUlS16_E_NS1_11comp_targetILNS1_3genE8ELNS1_11target_archE1030ELNS1_3gpuE2ELNS1_3repE0EEENS1_47radix_sort_onesweep_sort_config_static_selectorELNS0_4arch9wavefront6targetE1EEEvSN_: ; @_ZN7rocprim17ROCPRIM_400000_NS6detail17trampoline_kernelINS0_14default_configENS1_35radix_sort_onesweep_config_selectorIjN6thrust23THRUST_200600_302600_NS5tupleIffNS6_9null_typeES8_S8_S8_S8_S8_S8_S8_EEEEZZNS1_29radix_sort_onesweep_iterationIS3_Lb0ENS6_6detail15normal_iteratorINS6_10device_ptrIjEEEESG_NSD_INSE_IS9_EEEESI_jNS0_19identity_decomposerENS1_16block_id_wrapperIjLb1EEEEE10hipError_tT1_PNSt15iterator_traitsISN_E10value_typeET2_T3_PNSO_IST_E10value_typeET4_T5_PSY_SZ_PNS1_23onesweep_lookback_stateEbbT6_jjT7_P12ihipStream_tbENKUlT_T0_SN_SS_E_clIPjSG_PS9_SI_EEDaS16_S17_SN_SS_EUlS16_E_NS1_11comp_targetILNS1_3genE8ELNS1_11target_archE1030ELNS1_3gpuE2ELNS1_3repE0EEENS1_47radix_sort_onesweep_sort_config_static_selectorELNS0_4arch9wavefront6targetE1EEEvSN_
; %bb.0:
	.section	.rodata,"a",@progbits
	.p2align	6, 0x0
	.amdhsa_kernel _ZN7rocprim17ROCPRIM_400000_NS6detail17trampoline_kernelINS0_14default_configENS1_35radix_sort_onesweep_config_selectorIjN6thrust23THRUST_200600_302600_NS5tupleIffNS6_9null_typeES8_S8_S8_S8_S8_S8_S8_EEEEZZNS1_29radix_sort_onesweep_iterationIS3_Lb0ENS6_6detail15normal_iteratorINS6_10device_ptrIjEEEESG_NSD_INSE_IS9_EEEESI_jNS0_19identity_decomposerENS1_16block_id_wrapperIjLb1EEEEE10hipError_tT1_PNSt15iterator_traitsISN_E10value_typeET2_T3_PNSO_IST_E10value_typeET4_T5_PSY_SZ_PNS1_23onesweep_lookback_stateEbbT6_jjT7_P12ihipStream_tbENKUlT_T0_SN_SS_E_clIPjSG_PS9_SI_EEDaS16_S17_SN_SS_EUlS16_E_NS1_11comp_targetILNS1_3genE8ELNS1_11target_archE1030ELNS1_3gpuE2ELNS1_3repE0EEENS1_47radix_sort_onesweep_sort_config_static_selectorELNS0_4arch9wavefront6targetE1EEEvSN_
		.amdhsa_group_segment_fixed_size 0
		.amdhsa_private_segment_fixed_size 0
		.amdhsa_kernarg_size 88
		.amdhsa_user_sgpr_count 6
		.amdhsa_user_sgpr_private_segment_buffer 1
		.amdhsa_user_sgpr_dispatch_ptr 0
		.amdhsa_user_sgpr_queue_ptr 0
		.amdhsa_user_sgpr_kernarg_segment_ptr 1
		.amdhsa_user_sgpr_dispatch_id 0
		.amdhsa_user_sgpr_flat_scratch_init 0
		.amdhsa_user_sgpr_kernarg_preload_length 0
		.amdhsa_user_sgpr_kernarg_preload_offset 0
		.amdhsa_user_sgpr_private_segment_size 0
		.amdhsa_uses_dynamic_stack 0
		.amdhsa_system_sgpr_private_segment_wavefront_offset 0
		.amdhsa_system_sgpr_workgroup_id_x 1
		.amdhsa_system_sgpr_workgroup_id_y 0
		.amdhsa_system_sgpr_workgroup_id_z 0
		.amdhsa_system_sgpr_workgroup_info 0
		.amdhsa_system_vgpr_workitem_id 0
		.amdhsa_next_free_vgpr 1
		.amdhsa_next_free_sgpr 0
		.amdhsa_accum_offset 4
		.amdhsa_reserve_vcc 0
		.amdhsa_reserve_flat_scratch 0
		.amdhsa_float_round_mode_32 0
		.amdhsa_float_round_mode_16_64 0
		.amdhsa_float_denorm_mode_32 3
		.amdhsa_float_denorm_mode_16_64 3
		.amdhsa_dx10_clamp 1
		.amdhsa_ieee_mode 1
		.amdhsa_fp16_overflow 0
		.amdhsa_tg_split 0
		.amdhsa_exception_fp_ieee_invalid_op 0
		.amdhsa_exception_fp_denorm_src 0
		.amdhsa_exception_fp_ieee_div_zero 0
		.amdhsa_exception_fp_ieee_overflow 0
		.amdhsa_exception_fp_ieee_underflow 0
		.amdhsa_exception_fp_ieee_inexact 0
		.amdhsa_exception_int_div_zero 0
	.end_amdhsa_kernel
	.section	.text._ZN7rocprim17ROCPRIM_400000_NS6detail17trampoline_kernelINS0_14default_configENS1_35radix_sort_onesweep_config_selectorIjN6thrust23THRUST_200600_302600_NS5tupleIffNS6_9null_typeES8_S8_S8_S8_S8_S8_S8_EEEEZZNS1_29radix_sort_onesweep_iterationIS3_Lb0ENS6_6detail15normal_iteratorINS6_10device_ptrIjEEEESG_NSD_INSE_IS9_EEEESI_jNS0_19identity_decomposerENS1_16block_id_wrapperIjLb1EEEEE10hipError_tT1_PNSt15iterator_traitsISN_E10value_typeET2_T3_PNSO_IST_E10value_typeET4_T5_PSY_SZ_PNS1_23onesweep_lookback_stateEbbT6_jjT7_P12ihipStream_tbENKUlT_T0_SN_SS_E_clIPjSG_PS9_SI_EEDaS16_S17_SN_SS_EUlS16_E_NS1_11comp_targetILNS1_3genE8ELNS1_11target_archE1030ELNS1_3gpuE2ELNS1_3repE0EEENS1_47radix_sort_onesweep_sort_config_static_selectorELNS0_4arch9wavefront6targetE1EEEvSN_,"axG",@progbits,_ZN7rocprim17ROCPRIM_400000_NS6detail17trampoline_kernelINS0_14default_configENS1_35radix_sort_onesweep_config_selectorIjN6thrust23THRUST_200600_302600_NS5tupleIffNS6_9null_typeES8_S8_S8_S8_S8_S8_S8_EEEEZZNS1_29radix_sort_onesweep_iterationIS3_Lb0ENS6_6detail15normal_iteratorINS6_10device_ptrIjEEEESG_NSD_INSE_IS9_EEEESI_jNS0_19identity_decomposerENS1_16block_id_wrapperIjLb1EEEEE10hipError_tT1_PNSt15iterator_traitsISN_E10value_typeET2_T3_PNSO_IST_E10value_typeET4_T5_PSY_SZ_PNS1_23onesweep_lookback_stateEbbT6_jjT7_P12ihipStream_tbENKUlT_T0_SN_SS_E_clIPjSG_PS9_SI_EEDaS16_S17_SN_SS_EUlS16_E_NS1_11comp_targetILNS1_3genE8ELNS1_11target_archE1030ELNS1_3gpuE2ELNS1_3repE0EEENS1_47radix_sort_onesweep_sort_config_static_selectorELNS0_4arch9wavefront6targetE1EEEvSN_,comdat
.Lfunc_end201:
	.size	_ZN7rocprim17ROCPRIM_400000_NS6detail17trampoline_kernelINS0_14default_configENS1_35radix_sort_onesweep_config_selectorIjN6thrust23THRUST_200600_302600_NS5tupleIffNS6_9null_typeES8_S8_S8_S8_S8_S8_S8_EEEEZZNS1_29radix_sort_onesweep_iterationIS3_Lb0ENS6_6detail15normal_iteratorINS6_10device_ptrIjEEEESG_NSD_INSE_IS9_EEEESI_jNS0_19identity_decomposerENS1_16block_id_wrapperIjLb1EEEEE10hipError_tT1_PNSt15iterator_traitsISN_E10value_typeET2_T3_PNSO_IST_E10value_typeET4_T5_PSY_SZ_PNS1_23onesweep_lookback_stateEbbT6_jjT7_P12ihipStream_tbENKUlT_T0_SN_SS_E_clIPjSG_PS9_SI_EEDaS16_S17_SN_SS_EUlS16_E_NS1_11comp_targetILNS1_3genE8ELNS1_11target_archE1030ELNS1_3gpuE2ELNS1_3repE0EEENS1_47radix_sort_onesweep_sort_config_static_selectorELNS0_4arch9wavefront6targetE1EEEvSN_, .Lfunc_end201-_ZN7rocprim17ROCPRIM_400000_NS6detail17trampoline_kernelINS0_14default_configENS1_35radix_sort_onesweep_config_selectorIjN6thrust23THRUST_200600_302600_NS5tupleIffNS6_9null_typeES8_S8_S8_S8_S8_S8_S8_EEEEZZNS1_29radix_sort_onesweep_iterationIS3_Lb0ENS6_6detail15normal_iteratorINS6_10device_ptrIjEEEESG_NSD_INSE_IS9_EEEESI_jNS0_19identity_decomposerENS1_16block_id_wrapperIjLb1EEEEE10hipError_tT1_PNSt15iterator_traitsISN_E10value_typeET2_T3_PNSO_IST_E10value_typeET4_T5_PSY_SZ_PNS1_23onesweep_lookback_stateEbbT6_jjT7_P12ihipStream_tbENKUlT_T0_SN_SS_E_clIPjSG_PS9_SI_EEDaS16_S17_SN_SS_EUlS16_E_NS1_11comp_targetILNS1_3genE8ELNS1_11target_archE1030ELNS1_3gpuE2ELNS1_3repE0EEENS1_47radix_sort_onesweep_sort_config_static_selectorELNS0_4arch9wavefront6targetE1EEEvSN_
                                        ; -- End function
	.section	.AMDGPU.csdata,"",@progbits
; Kernel info:
; codeLenInByte = 0
; NumSgprs: 4
; NumVgprs: 0
; NumAgprs: 0
; TotalNumVgprs: 0
; ScratchSize: 0
; MemoryBound: 0
; FloatMode: 240
; IeeeMode: 1
; LDSByteSize: 0 bytes/workgroup (compile time only)
; SGPRBlocks: 0
; VGPRBlocks: 0
; NumSGPRsForWavesPerEU: 4
; NumVGPRsForWavesPerEU: 1
; AccumOffset: 4
; Occupancy: 8
; WaveLimiterHint : 0
; COMPUTE_PGM_RSRC2:SCRATCH_EN: 0
; COMPUTE_PGM_RSRC2:USER_SGPR: 6
; COMPUTE_PGM_RSRC2:TRAP_HANDLER: 0
; COMPUTE_PGM_RSRC2:TGID_X_EN: 1
; COMPUTE_PGM_RSRC2:TGID_Y_EN: 0
; COMPUTE_PGM_RSRC2:TGID_Z_EN: 0
; COMPUTE_PGM_RSRC2:TIDIG_COMP_CNT: 0
; COMPUTE_PGM_RSRC3_GFX90A:ACCUM_OFFSET: 0
; COMPUTE_PGM_RSRC3_GFX90A:TG_SPLIT: 0
	.section	.text._ZN7rocprim17ROCPRIM_400000_NS6detail17trampoline_kernelINS0_14default_configENS1_35radix_sort_onesweep_config_selectorIjN6thrust23THRUST_200600_302600_NS5tupleIffNS6_9null_typeES8_S8_S8_S8_S8_S8_S8_EEEEZZNS1_29radix_sort_onesweep_iterationIS3_Lb0ENS6_6detail15normal_iteratorINS6_10device_ptrIjEEEESG_NSD_INSE_IS9_EEEESI_jNS0_19identity_decomposerENS1_16block_id_wrapperIjLb0EEEEE10hipError_tT1_PNSt15iterator_traitsISN_E10value_typeET2_T3_PNSO_IST_E10value_typeET4_T5_PSY_SZ_PNS1_23onesweep_lookback_stateEbbT6_jjT7_P12ihipStream_tbENKUlT_T0_SN_SS_E_clISG_SG_SI_SI_EEDaS16_S17_SN_SS_EUlS16_E_NS1_11comp_targetILNS1_3genE0ELNS1_11target_archE4294967295ELNS1_3gpuE0ELNS1_3repE0EEENS1_47radix_sort_onesweep_sort_config_static_selectorELNS0_4arch9wavefront6targetE1EEEvSN_,"axG",@progbits,_ZN7rocprim17ROCPRIM_400000_NS6detail17trampoline_kernelINS0_14default_configENS1_35radix_sort_onesweep_config_selectorIjN6thrust23THRUST_200600_302600_NS5tupleIffNS6_9null_typeES8_S8_S8_S8_S8_S8_S8_EEEEZZNS1_29radix_sort_onesweep_iterationIS3_Lb0ENS6_6detail15normal_iteratorINS6_10device_ptrIjEEEESG_NSD_INSE_IS9_EEEESI_jNS0_19identity_decomposerENS1_16block_id_wrapperIjLb0EEEEE10hipError_tT1_PNSt15iterator_traitsISN_E10value_typeET2_T3_PNSO_IST_E10value_typeET4_T5_PSY_SZ_PNS1_23onesweep_lookback_stateEbbT6_jjT7_P12ihipStream_tbENKUlT_T0_SN_SS_E_clISG_SG_SI_SI_EEDaS16_S17_SN_SS_EUlS16_E_NS1_11comp_targetILNS1_3genE0ELNS1_11target_archE4294967295ELNS1_3gpuE0ELNS1_3repE0EEENS1_47radix_sort_onesweep_sort_config_static_selectorELNS0_4arch9wavefront6targetE1EEEvSN_,comdat
	.protected	_ZN7rocprim17ROCPRIM_400000_NS6detail17trampoline_kernelINS0_14default_configENS1_35radix_sort_onesweep_config_selectorIjN6thrust23THRUST_200600_302600_NS5tupleIffNS6_9null_typeES8_S8_S8_S8_S8_S8_S8_EEEEZZNS1_29radix_sort_onesweep_iterationIS3_Lb0ENS6_6detail15normal_iteratorINS6_10device_ptrIjEEEESG_NSD_INSE_IS9_EEEESI_jNS0_19identity_decomposerENS1_16block_id_wrapperIjLb0EEEEE10hipError_tT1_PNSt15iterator_traitsISN_E10value_typeET2_T3_PNSO_IST_E10value_typeET4_T5_PSY_SZ_PNS1_23onesweep_lookback_stateEbbT6_jjT7_P12ihipStream_tbENKUlT_T0_SN_SS_E_clISG_SG_SI_SI_EEDaS16_S17_SN_SS_EUlS16_E_NS1_11comp_targetILNS1_3genE0ELNS1_11target_archE4294967295ELNS1_3gpuE0ELNS1_3repE0EEENS1_47radix_sort_onesweep_sort_config_static_selectorELNS0_4arch9wavefront6targetE1EEEvSN_ ; -- Begin function _ZN7rocprim17ROCPRIM_400000_NS6detail17trampoline_kernelINS0_14default_configENS1_35radix_sort_onesweep_config_selectorIjN6thrust23THRUST_200600_302600_NS5tupleIffNS6_9null_typeES8_S8_S8_S8_S8_S8_S8_EEEEZZNS1_29radix_sort_onesweep_iterationIS3_Lb0ENS6_6detail15normal_iteratorINS6_10device_ptrIjEEEESG_NSD_INSE_IS9_EEEESI_jNS0_19identity_decomposerENS1_16block_id_wrapperIjLb0EEEEE10hipError_tT1_PNSt15iterator_traitsISN_E10value_typeET2_T3_PNSO_IST_E10value_typeET4_T5_PSY_SZ_PNS1_23onesweep_lookback_stateEbbT6_jjT7_P12ihipStream_tbENKUlT_T0_SN_SS_E_clISG_SG_SI_SI_EEDaS16_S17_SN_SS_EUlS16_E_NS1_11comp_targetILNS1_3genE0ELNS1_11target_archE4294967295ELNS1_3gpuE0ELNS1_3repE0EEENS1_47radix_sort_onesweep_sort_config_static_selectorELNS0_4arch9wavefront6targetE1EEEvSN_
	.globl	_ZN7rocprim17ROCPRIM_400000_NS6detail17trampoline_kernelINS0_14default_configENS1_35radix_sort_onesweep_config_selectorIjN6thrust23THRUST_200600_302600_NS5tupleIffNS6_9null_typeES8_S8_S8_S8_S8_S8_S8_EEEEZZNS1_29radix_sort_onesweep_iterationIS3_Lb0ENS6_6detail15normal_iteratorINS6_10device_ptrIjEEEESG_NSD_INSE_IS9_EEEESI_jNS0_19identity_decomposerENS1_16block_id_wrapperIjLb0EEEEE10hipError_tT1_PNSt15iterator_traitsISN_E10value_typeET2_T3_PNSO_IST_E10value_typeET4_T5_PSY_SZ_PNS1_23onesweep_lookback_stateEbbT6_jjT7_P12ihipStream_tbENKUlT_T0_SN_SS_E_clISG_SG_SI_SI_EEDaS16_S17_SN_SS_EUlS16_E_NS1_11comp_targetILNS1_3genE0ELNS1_11target_archE4294967295ELNS1_3gpuE0ELNS1_3repE0EEENS1_47radix_sort_onesweep_sort_config_static_selectorELNS0_4arch9wavefront6targetE1EEEvSN_
	.p2align	8
	.type	_ZN7rocprim17ROCPRIM_400000_NS6detail17trampoline_kernelINS0_14default_configENS1_35radix_sort_onesweep_config_selectorIjN6thrust23THRUST_200600_302600_NS5tupleIffNS6_9null_typeES8_S8_S8_S8_S8_S8_S8_EEEEZZNS1_29radix_sort_onesweep_iterationIS3_Lb0ENS6_6detail15normal_iteratorINS6_10device_ptrIjEEEESG_NSD_INSE_IS9_EEEESI_jNS0_19identity_decomposerENS1_16block_id_wrapperIjLb0EEEEE10hipError_tT1_PNSt15iterator_traitsISN_E10value_typeET2_T3_PNSO_IST_E10value_typeET4_T5_PSY_SZ_PNS1_23onesweep_lookback_stateEbbT6_jjT7_P12ihipStream_tbENKUlT_T0_SN_SS_E_clISG_SG_SI_SI_EEDaS16_S17_SN_SS_EUlS16_E_NS1_11comp_targetILNS1_3genE0ELNS1_11target_archE4294967295ELNS1_3gpuE0ELNS1_3repE0EEENS1_47radix_sort_onesweep_sort_config_static_selectorELNS0_4arch9wavefront6targetE1EEEvSN_,@function
_ZN7rocprim17ROCPRIM_400000_NS6detail17trampoline_kernelINS0_14default_configENS1_35radix_sort_onesweep_config_selectorIjN6thrust23THRUST_200600_302600_NS5tupleIffNS6_9null_typeES8_S8_S8_S8_S8_S8_S8_EEEEZZNS1_29radix_sort_onesweep_iterationIS3_Lb0ENS6_6detail15normal_iteratorINS6_10device_ptrIjEEEESG_NSD_INSE_IS9_EEEESI_jNS0_19identity_decomposerENS1_16block_id_wrapperIjLb0EEEEE10hipError_tT1_PNSt15iterator_traitsISN_E10value_typeET2_T3_PNSO_IST_E10value_typeET4_T5_PSY_SZ_PNS1_23onesweep_lookback_stateEbbT6_jjT7_P12ihipStream_tbENKUlT_T0_SN_SS_E_clISG_SG_SI_SI_EEDaS16_S17_SN_SS_EUlS16_E_NS1_11comp_targetILNS1_3genE0ELNS1_11target_archE4294967295ELNS1_3gpuE0ELNS1_3repE0EEENS1_47radix_sort_onesweep_sort_config_static_selectorELNS0_4arch9wavefront6targetE1EEEvSN_: ; @_ZN7rocprim17ROCPRIM_400000_NS6detail17trampoline_kernelINS0_14default_configENS1_35radix_sort_onesweep_config_selectorIjN6thrust23THRUST_200600_302600_NS5tupleIffNS6_9null_typeES8_S8_S8_S8_S8_S8_S8_EEEEZZNS1_29radix_sort_onesweep_iterationIS3_Lb0ENS6_6detail15normal_iteratorINS6_10device_ptrIjEEEESG_NSD_INSE_IS9_EEEESI_jNS0_19identity_decomposerENS1_16block_id_wrapperIjLb0EEEEE10hipError_tT1_PNSt15iterator_traitsISN_E10value_typeET2_T3_PNSO_IST_E10value_typeET4_T5_PSY_SZ_PNS1_23onesweep_lookback_stateEbbT6_jjT7_P12ihipStream_tbENKUlT_T0_SN_SS_E_clISG_SG_SI_SI_EEDaS16_S17_SN_SS_EUlS16_E_NS1_11comp_targetILNS1_3genE0ELNS1_11target_archE4294967295ELNS1_3gpuE0ELNS1_3repE0EEENS1_47radix_sort_onesweep_sort_config_static_selectorELNS0_4arch9wavefront6targetE1EEEvSN_
; %bb.0:
	.section	.rodata,"a",@progbits
	.p2align	6, 0x0
	.amdhsa_kernel _ZN7rocprim17ROCPRIM_400000_NS6detail17trampoline_kernelINS0_14default_configENS1_35radix_sort_onesweep_config_selectorIjN6thrust23THRUST_200600_302600_NS5tupleIffNS6_9null_typeES8_S8_S8_S8_S8_S8_S8_EEEEZZNS1_29radix_sort_onesweep_iterationIS3_Lb0ENS6_6detail15normal_iteratorINS6_10device_ptrIjEEEESG_NSD_INSE_IS9_EEEESI_jNS0_19identity_decomposerENS1_16block_id_wrapperIjLb0EEEEE10hipError_tT1_PNSt15iterator_traitsISN_E10value_typeET2_T3_PNSO_IST_E10value_typeET4_T5_PSY_SZ_PNS1_23onesweep_lookback_stateEbbT6_jjT7_P12ihipStream_tbENKUlT_T0_SN_SS_E_clISG_SG_SI_SI_EEDaS16_S17_SN_SS_EUlS16_E_NS1_11comp_targetILNS1_3genE0ELNS1_11target_archE4294967295ELNS1_3gpuE0ELNS1_3repE0EEENS1_47radix_sort_onesweep_sort_config_static_selectorELNS0_4arch9wavefront6targetE1EEEvSN_
		.amdhsa_group_segment_fixed_size 0
		.amdhsa_private_segment_fixed_size 0
		.amdhsa_kernarg_size 88
		.amdhsa_user_sgpr_count 6
		.amdhsa_user_sgpr_private_segment_buffer 1
		.amdhsa_user_sgpr_dispatch_ptr 0
		.amdhsa_user_sgpr_queue_ptr 0
		.amdhsa_user_sgpr_kernarg_segment_ptr 1
		.amdhsa_user_sgpr_dispatch_id 0
		.amdhsa_user_sgpr_flat_scratch_init 0
		.amdhsa_user_sgpr_kernarg_preload_length 0
		.amdhsa_user_sgpr_kernarg_preload_offset 0
		.amdhsa_user_sgpr_private_segment_size 0
		.amdhsa_uses_dynamic_stack 0
		.amdhsa_system_sgpr_private_segment_wavefront_offset 0
		.amdhsa_system_sgpr_workgroup_id_x 1
		.amdhsa_system_sgpr_workgroup_id_y 0
		.amdhsa_system_sgpr_workgroup_id_z 0
		.amdhsa_system_sgpr_workgroup_info 0
		.amdhsa_system_vgpr_workitem_id 0
		.amdhsa_next_free_vgpr 1
		.amdhsa_next_free_sgpr 0
		.amdhsa_accum_offset 4
		.amdhsa_reserve_vcc 0
		.amdhsa_reserve_flat_scratch 0
		.amdhsa_float_round_mode_32 0
		.amdhsa_float_round_mode_16_64 0
		.amdhsa_float_denorm_mode_32 3
		.amdhsa_float_denorm_mode_16_64 3
		.amdhsa_dx10_clamp 1
		.amdhsa_ieee_mode 1
		.amdhsa_fp16_overflow 0
		.amdhsa_tg_split 0
		.amdhsa_exception_fp_ieee_invalid_op 0
		.amdhsa_exception_fp_denorm_src 0
		.amdhsa_exception_fp_ieee_div_zero 0
		.amdhsa_exception_fp_ieee_overflow 0
		.amdhsa_exception_fp_ieee_underflow 0
		.amdhsa_exception_fp_ieee_inexact 0
		.amdhsa_exception_int_div_zero 0
	.end_amdhsa_kernel
	.section	.text._ZN7rocprim17ROCPRIM_400000_NS6detail17trampoline_kernelINS0_14default_configENS1_35radix_sort_onesweep_config_selectorIjN6thrust23THRUST_200600_302600_NS5tupleIffNS6_9null_typeES8_S8_S8_S8_S8_S8_S8_EEEEZZNS1_29radix_sort_onesweep_iterationIS3_Lb0ENS6_6detail15normal_iteratorINS6_10device_ptrIjEEEESG_NSD_INSE_IS9_EEEESI_jNS0_19identity_decomposerENS1_16block_id_wrapperIjLb0EEEEE10hipError_tT1_PNSt15iterator_traitsISN_E10value_typeET2_T3_PNSO_IST_E10value_typeET4_T5_PSY_SZ_PNS1_23onesweep_lookback_stateEbbT6_jjT7_P12ihipStream_tbENKUlT_T0_SN_SS_E_clISG_SG_SI_SI_EEDaS16_S17_SN_SS_EUlS16_E_NS1_11comp_targetILNS1_3genE0ELNS1_11target_archE4294967295ELNS1_3gpuE0ELNS1_3repE0EEENS1_47radix_sort_onesweep_sort_config_static_selectorELNS0_4arch9wavefront6targetE1EEEvSN_,"axG",@progbits,_ZN7rocprim17ROCPRIM_400000_NS6detail17trampoline_kernelINS0_14default_configENS1_35radix_sort_onesweep_config_selectorIjN6thrust23THRUST_200600_302600_NS5tupleIffNS6_9null_typeES8_S8_S8_S8_S8_S8_S8_EEEEZZNS1_29radix_sort_onesweep_iterationIS3_Lb0ENS6_6detail15normal_iteratorINS6_10device_ptrIjEEEESG_NSD_INSE_IS9_EEEESI_jNS0_19identity_decomposerENS1_16block_id_wrapperIjLb0EEEEE10hipError_tT1_PNSt15iterator_traitsISN_E10value_typeET2_T3_PNSO_IST_E10value_typeET4_T5_PSY_SZ_PNS1_23onesweep_lookback_stateEbbT6_jjT7_P12ihipStream_tbENKUlT_T0_SN_SS_E_clISG_SG_SI_SI_EEDaS16_S17_SN_SS_EUlS16_E_NS1_11comp_targetILNS1_3genE0ELNS1_11target_archE4294967295ELNS1_3gpuE0ELNS1_3repE0EEENS1_47radix_sort_onesweep_sort_config_static_selectorELNS0_4arch9wavefront6targetE1EEEvSN_,comdat
.Lfunc_end202:
	.size	_ZN7rocprim17ROCPRIM_400000_NS6detail17trampoline_kernelINS0_14default_configENS1_35radix_sort_onesweep_config_selectorIjN6thrust23THRUST_200600_302600_NS5tupleIffNS6_9null_typeES8_S8_S8_S8_S8_S8_S8_EEEEZZNS1_29radix_sort_onesweep_iterationIS3_Lb0ENS6_6detail15normal_iteratorINS6_10device_ptrIjEEEESG_NSD_INSE_IS9_EEEESI_jNS0_19identity_decomposerENS1_16block_id_wrapperIjLb0EEEEE10hipError_tT1_PNSt15iterator_traitsISN_E10value_typeET2_T3_PNSO_IST_E10value_typeET4_T5_PSY_SZ_PNS1_23onesweep_lookback_stateEbbT6_jjT7_P12ihipStream_tbENKUlT_T0_SN_SS_E_clISG_SG_SI_SI_EEDaS16_S17_SN_SS_EUlS16_E_NS1_11comp_targetILNS1_3genE0ELNS1_11target_archE4294967295ELNS1_3gpuE0ELNS1_3repE0EEENS1_47radix_sort_onesweep_sort_config_static_selectorELNS0_4arch9wavefront6targetE1EEEvSN_, .Lfunc_end202-_ZN7rocprim17ROCPRIM_400000_NS6detail17trampoline_kernelINS0_14default_configENS1_35radix_sort_onesweep_config_selectorIjN6thrust23THRUST_200600_302600_NS5tupleIffNS6_9null_typeES8_S8_S8_S8_S8_S8_S8_EEEEZZNS1_29radix_sort_onesweep_iterationIS3_Lb0ENS6_6detail15normal_iteratorINS6_10device_ptrIjEEEESG_NSD_INSE_IS9_EEEESI_jNS0_19identity_decomposerENS1_16block_id_wrapperIjLb0EEEEE10hipError_tT1_PNSt15iterator_traitsISN_E10value_typeET2_T3_PNSO_IST_E10value_typeET4_T5_PSY_SZ_PNS1_23onesweep_lookback_stateEbbT6_jjT7_P12ihipStream_tbENKUlT_T0_SN_SS_E_clISG_SG_SI_SI_EEDaS16_S17_SN_SS_EUlS16_E_NS1_11comp_targetILNS1_3genE0ELNS1_11target_archE4294967295ELNS1_3gpuE0ELNS1_3repE0EEENS1_47radix_sort_onesweep_sort_config_static_selectorELNS0_4arch9wavefront6targetE1EEEvSN_
                                        ; -- End function
	.section	.AMDGPU.csdata,"",@progbits
; Kernel info:
; codeLenInByte = 0
; NumSgprs: 4
; NumVgprs: 0
; NumAgprs: 0
; TotalNumVgprs: 0
; ScratchSize: 0
; MemoryBound: 0
; FloatMode: 240
; IeeeMode: 1
; LDSByteSize: 0 bytes/workgroup (compile time only)
; SGPRBlocks: 0
; VGPRBlocks: 0
; NumSGPRsForWavesPerEU: 4
; NumVGPRsForWavesPerEU: 1
; AccumOffset: 4
; Occupancy: 8
; WaveLimiterHint : 0
; COMPUTE_PGM_RSRC2:SCRATCH_EN: 0
; COMPUTE_PGM_RSRC2:USER_SGPR: 6
; COMPUTE_PGM_RSRC2:TRAP_HANDLER: 0
; COMPUTE_PGM_RSRC2:TGID_X_EN: 1
; COMPUTE_PGM_RSRC2:TGID_Y_EN: 0
; COMPUTE_PGM_RSRC2:TGID_Z_EN: 0
; COMPUTE_PGM_RSRC2:TIDIG_COMP_CNT: 0
; COMPUTE_PGM_RSRC3_GFX90A:ACCUM_OFFSET: 0
; COMPUTE_PGM_RSRC3_GFX90A:TG_SPLIT: 0
	.section	.text._ZN7rocprim17ROCPRIM_400000_NS6detail17trampoline_kernelINS0_14default_configENS1_35radix_sort_onesweep_config_selectorIjN6thrust23THRUST_200600_302600_NS5tupleIffNS6_9null_typeES8_S8_S8_S8_S8_S8_S8_EEEEZZNS1_29radix_sort_onesweep_iterationIS3_Lb0ENS6_6detail15normal_iteratorINS6_10device_ptrIjEEEESG_NSD_INSE_IS9_EEEESI_jNS0_19identity_decomposerENS1_16block_id_wrapperIjLb0EEEEE10hipError_tT1_PNSt15iterator_traitsISN_E10value_typeET2_T3_PNSO_IST_E10value_typeET4_T5_PSY_SZ_PNS1_23onesweep_lookback_stateEbbT6_jjT7_P12ihipStream_tbENKUlT_T0_SN_SS_E_clISG_SG_SI_SI_EEDaS16_S17_SN_SS_EUlS16_E_NS1_11comp_targetILNS1_3genE6ELNS1_11target_archE950ELNS1_3gpuE13ELNS1_3repE0EEENS1_47radix_sort_onesweep_sort_config_static_selectorELNS0_4arch9wavefront6targetE1EEEvSN_,"axG",@progbits,_ZN7rocprim17ROCPRIM_400000_NS6detail17trampoline_kernelINS0_14default_configENS1_35radix_sort_onesweep_config_selectorIjN6thrust23THRUST_200600_302600_NS5tupleIffNS6_9null_typeES8_S8_S8_S8_S8_S8_S8_EEEEZZNS1_29radix_sort_onesweep_iterationIS3_Lb0ENS6_6detail15normal_iteratorINS6_10device_ptrIjEEEESG_NSD_INSE_IS9_EEEESI_jNS0_19identity_decomposerENS1_16block_id_wrapperIjLb0EEEEE10hipError_tT1_PNSt15iterator_traitsISN_E10value_typeET2_T3_PNSO_IST_E10value_typeET4_T5_PSY_SZ_PNS1_23onesweep_lookback_stateEbbT6_jjT7_P12ihipStream_tbENKUlT_T0_SN_SS_E_clISG_SG_SI_SI_EEDaS16_S17_SN_SS_EUlS16_E_NS1_11comp_targetILNS1_3genE6ELNS1_11target_archE950ELNS1_3gpuE13ELNS1_3repE0EEENS1_47radix_sort_onesweep_sort_config_static_selectorELNS0_4arch9wavefront6targetE1EEEvSN_,comdat
	.protected	_ZN7rocprim17ROCPRIM_400000_NS6detail17trampoline_kernelINS0_14default_configENS1_35radix_sort_onesweep_config_selectorIjN6thrust23THRUST_200600_302600_NS5tupleIffNS6_9null_typeES8_S8_S8_S8_S8_S8_S8_EEEEZZNS1_29radix_sort_onesweep_iterationIS3_Lb0ENS6_6detail15normal_iteratorINS6_10device_ptrIjEEEESG_NSD_INSE_IS9_EEEESI_jNS0_19identity_decomposerENS1_16block_id_wrapperIjLb0EEEEE10hipError_tT1_PNSt15iterator_traitsISN_E10value_typeET2_T3_PNSO_IST_E10value_typeET4_T5_PSY_SZ_PNS1_23onesweep_lookback_stateEbbT6_jjT7_P12ihipStream_tbENKUlT_T0_SN_SS_E_clISG_SG_SI_SI_EEDaS16_S17_SN_SS_EUlS16_E_NS1_11comp_targetILNS1_3genE6ELNS1_11target_archE950ELNS1_3gpuE13ELNS1_3repE0EEENS1_47radix_sort_onesweep_sort_config_static_selectorELNS0_4arch9wavefront6targetE1EEEvSN_ ; -- Begin function _ZN7rocprim17ROCPRIM_400000_NS6detail17trampoline_kernelINS0_14default_configENS1_35radix_sort_onesweep_config_selectorIjN6thrust23THRUST_200600_302600_NS5tupleIffNS6_9null_typeES8_S8_S8_S8_S8_S8_S8_EEEEZZNS1_29radix_sort_onesweep_iterationIS3_Lb0ENS6_6detail15normal_iteratorINS6_10device_ptrIjEEEESG_NSD_INSE_IS9_EEEESI_jNS0_19identity_decomposerENS1_16block_id_wrapperIjLb0EEEEE10hipError_tT1_PNSt15iterator_traitsISN_E10value_typeET2_T3_PNSO_IST_E10value_typeET4_T5_PSY_SZ_PNS1_23onesweep_lookback_stateEbbT6_jjT7_P12ihipStream_tbENKUlT_T0_SN_SS_E_clISG_SG_SI_SI_EEDaS16_S17_SN_SS_EUlS16_E_NS1_11comp_targetILNS1_3genE6ELNS1_11target_archE950ELNS1_3gpuE13ELNS1_3repE0EEENS1_47radix_sort_onesweep_sort_config_static_selectorELNS0_4arch9wavefront6targetE1EEEvSN_
	.globl	_ZN7rocprim17ROCPRIM_400000_NS6detail17trampoline_kernelINS0_14default_configENS1_35radix_sort_onesweep_config_selectorIjN6thrust23THRUST_200600_302600_NS5tupleIffNS6_9null_typeES8_S8_S8_S8_S8_S8_S8_EEEEZZNS1_29radix_sort_onesweep_iterationIS3_Lb0ENS6_6detail15normal_iteratorINS6_10device_ptrIjEEEESG_NSD_INSE_IS9_EEEESI_jNS0_19identity_decomposerENS1_16block_id_wrapperIjLb0EEEEE10hipError_tT1_PNSt15iterator_traitsISN_E10value_typeET2_T3_PNSO_IST_E10value_typeET4_T5_PSY_SZ_PNS1_23onesweep_lookback_stateEbbT6_jjT7_P12ihipStream_tbENKUlT_T0_SN_SS_E_clISG_SG_SI_SI_EEDaS16_S17_SN_SS_EUlS16_E_NS1_11comp_targetILNS1_3genE6ELNS1_11target_archE950ELNS1_3gpuE13ELNS1_3repE0EEENS1_47radix_sort_onesweep_sort_config_static_selectorELNS0_4arch9wavefront6targetE1EEEvSN_
	.p2align	8
	.type	_ZN7rocprim17ROCPRIM_400000_NS6detail17trampoline_kernelINS0_14default_configENS1_35radix_sort_onesweep_config_selectorIjN6thrust23THRUST_200600_302600_NS5tupleIffNS6_9null_typeES8_S8_S8_S8_S8_S8_S8_EEEEZZNS1_29radix_sort_onesweep_iterationIS3_Lb0ENS6_6detail15normal_iteratorINS6_10device_ptrIjEEEESG_NSD_INSE_IS9_EEEESI_jNS0_19identity_decomposerENS1_16block_id_wrapperIjLb0EEEEE10hipError_tT1_PNSt15iterator_traitsISN_E10value_typeET2_T3_PNSO_IST_E10value_typeET4_T5_PSY_SZ_PNS1_23onesweep_lookback_stateEbbT6_jjT7_P12ihipStream_tbENKUlT_T0_SN_SS_E_clISG_SG_SI_SI_EEDaS16_S17_SN_SS_EUlS16_E_NS1_11comp_targetILNS1_3genE6ELNS1_11target_archE950ELNS1_3gpuE13ELNS1_3repE0EEENS1_47radix_sort_onesweep_sort_config_static_selectorELNS0_4arch9wavefront6targetE1EEEvSN_,@function
_ZN7rocprim17ROCPRIM_400000_NS6detail17trampoline_kernelINS0_14default_configENS1_35radix_sort_onesweep_config_selectorIjN6thrust23THRUST_200600_302600_NS5tupleIffNS6_9null_typeES8_S8_S8_S8_S8_S8_S8_EEEEZZNS1_29radix_sort_onesweep_iterationIS3_Lb0ENS6_6detail15normal_iteratorINS6_10device_ptrIjEEEESG_NSD_INSE_IS9_EEEESI_jNS0_19identity_decomposerENS1_16block_id_wrapperIjLb0EEEEE10hipError_tT1_PNSt15iterator_traitsISN_E10value_typeET2_T3_PNSO_IST_E10value_typeET4_T5_PSY_SZ_PNS1_23onesweep_lookback_stateEbbT6_jjT7_P12ihipStream_tbENKUlT_T0_SN_SS_E_clISG_SG_SI_SI_EEDaS16_S17_SN_SS_EUlS16_E_NS1_11comp_targetILNS1_3genE6ELNS1_11target_archE950ELNS1_3gpuE13ELNS1_3repE0EEENS1_47radix_sort_onesweep_sort_config_static_selectorELNS0_4arch9wavefront6targetE1EEEvSN_: ; @_ZN7rocprim17ROCPRIM_400000_NS6detail17trampoline_kernelINS0_14default_configENS1_35radix_sort_onesweep_config_selectorIjN6thrust23THRUST_200600_302600_NS5tupleIffNS6_9null_typeES8_S8_S8_S8_S8_S8_S8_EEEEZZNS1_29radix_sort_onesweep_iterationIS3_Lb0ENS6_6detail15normal_iteratorINS6_10device_ptrIjEEEESG_NSD_INSE_IS9_EEEESI_jNS0_19identity_decomposerENS1_16block_id_wrapperIjLb0EEEEE10hipError_tT1_PNSt15iterator_traitsISN_E10value_typeET2_T3_PNSO_IST_E10value_typeET4_T5_PSY_SZ_PNS1_23onesweep_lookback_stateEbbT6_jjT7_P12ihipStream_tbENKUlT_T0_SN_SS_E_clISG_SG_SI_SI_EEDaS16_S17_SN_SS_EUlS16_E_NS1_11comp_targetILNS1_3genE6ELNS1_11target_archE950ELNS1_3gpuE13ELNS1_3repE0EEENS1_47radix_sort_onesweep_sort_config_static_selectorELNS0_4arch9wavefront6targetE1EEEvSN_
; %bb.0:
	.section	.rodata,"a",@progbits
	.p2align	6, 0x0
	.amdhsa_kernel _ZN7rocprim17ROCPRIM_400000_NS6detail17trampoline_kernelINS0_14default_configENS1_35radix_sort_onesweep_config_selectorIjN6thrust23THRUST_200600_302600_NS5tupleIffNS6_9null_typeES8_S8_S8_S8_S8_S8_S8_EEEEZZNS1_29radix_sort_onesweep_iterationIS3_Lb0ENS6_6detail15normal_iteratorINS6_10device_ptrIjEEEESG_NSD_INSE_IS9_EEEESI_jNS0_19identity_decomposerENS1_16block_id_wrapperIjLb0EEEEE10hipError_tT1_PNSt15iterator_traitsISN_E10value_typeET2_T3_PNSO_IST_E10value_typeET4_T5_PSY_SZ_PNS1_23onesweep_lookback_stateEbbT6_jjT7_P12ihipStream_tbENKUlT_T0_SN_SS_E_clISG_SG_SI_SI_EEDaS16_S17_SN_SS_EUlS16_E_NS1_11comp_targetILNS1_3genE6ELNS1_11target_archE950ELNS1_3gpuE13ELNS1_3repE0EEENS1_47radix_sort_onesweep_sort_config_static_selectorELNS0_4arch9wavefront6targetE1EEEvSN_
		.amdhsa_group_segment_fixed_size 0
		.amdhsa_private_segment_fixed_size 0
		.amdhsa_kernarg_size 88
		.amdhsa_user_sgpr_count 6
		.amdhsa_user_sgpr_private_segment_buffer 1
		.amdhsa_user_sgpr_dispatch_ptr 0
		.amdhsa_user_sgpr_queue_ptr 0
		.amdhsa_user_sgpr_kernarg_segment_ptr 1
		.amdhsa_user_sgpr_dispatch_id 0
		.amdhsa_user_sgpr_flat_scratch_init 0
		.amdhsa_user_sgpr_kernarg_preload_length 0
		.amdhsa_user_sgpr_kernarg_preload_offset 0
		.amdhsa_user_sgpr_private_segment_size 0
		.amdhsa_uses_dynamic_stack 0
		.amdhsa_system_sgpr_private_segment_wavefront_offset 0
		.amdhsa_system_sgpr_workgroup_id_x 1
		.amdhsa_system_sgpr_workgroup_id_y 0
		.amdhsa_system_sgpr_workgroup_id_z 0
		.amdhsa_system_sgpr_workgroup_info 0
		.amdhsa_system_vgpr_workitem_id 0
		.amdhsa_next_free_vgpr 1
		.amdhsa_next_free_sgpr 0
		.amdhsa_accum_offset 4
		.amdhsa_reserve_vcc 0
		.amdhsa_reserve_flat_scratch 0
		.amdhsa_float_round_mode_32 0
		.amdhsa_float_round_mode_16_64 0
		.amdhsa_float_denorm_mode_32 3
		.amdhsa_float_denorm_mode_16_64 3
		.amdhsa_dx10_clamp 1
		.amdhsa_ieee_mode 1
		.amdhsa_fp16_overflow 0
		.amdhsa_tg_split 0
		.amdhsa_exception_fp_ieee_invalid_op 0
		.amdhsa_exception_fp_denorm_src 0
		.amdhsa_exception_fp_ieee_div_zero 0
		.amdhsa_exception_fp_ieee_overflow 0
		.amdhsa_exception_fp_ieee_underflow 0
		.amdhsa_exception_fp_ieee_inexact 0
		.amdhsa_exception_int_div_zero 0
	.end_amdhsa_kernel
	.section	.text._ZN7rocprim17ROCPRIM_400000_NS6detail17trampoline_kernelINS0_14default_configENS1_35radix_sort_onesweep_config_selectorIjN6thrust23THRUST_200600_302600_NS5tupleIffNS6_9null_typeES8_S8_S8_S8_S8_S8_S8_EEEEZZNS1_29radix_sort_onesweep_iterationIS3_Lb0ENS6_6detail15normal_iteratorINS6_10device_ptrIjEEEESG_NSD_INSE_IS9_EEEESI_jNS0_19identity_decomposerENS1_16block_id_wrapperIjLb0EEEEE10hipError_tT1_PNSt15iterator_traitsISN_E10value_typeET2_T3_PNSO_IST_E10value_typeET4_T5_PSY_SZ_PNS1_23onesweep_lookback_stateEbbT6_jjT7_P12ihipStream_tbENKUlT_T0_SN_SS_E_clISG_SG_SI_SI_EEDaS16_S17_SN_SS_EUlS16_E_NS1_11comp_targetILNS1_3genE6ELNS1_11target_archE950ELNS1_3gpuE13ELNS1_3repE0EEENS1_47radix_sort_onesweep_sort_config_static_selectorELNS0_4arch9wavefront6targetE1EEEvSN_,"axG",@progbits,_ZN7rocprim17ROCPRIM_400000_NS6detail17trampoline_kernelINS0_14default_configENS1_35radix_sort_onesweep_config_selectorIjN6thrust23THRUST_200600_302600_NS5tupleIffNS6_9null_typeES8_S8_S8_S8_S8_S8_S8_EEEEZZNS1_29radix_sort_onesweep_iterationIS3_Lb0ENS6_6detail15normal_iteratorINS6_10device_ptrIjEEEESG_NSD_INSE_IS9_EEEESI_jNS0_19identity_decomposerENS1_16block_id_wrapperIjLb0EEEEE10hipError_tT1_PNSt15iterator_traitsISN_E10value_typeET2_T3_PNSO_IST_E10value_typeET4_T5_PSY_SZ_PNS1_23onesweep_lookback_stateEbbT6_jjT7_P12ihipStream_tbENKUlT_T0_SN_SS_E_clISG_SG_SI_SI_EEDaS16_S17_SN_SS_EUlS16_E_NS1_11comp_targetILNS1_3genE6ELNS1_11target_archE950ELNS1_3gpuE13ELNS1_3repE0EEENS1_47radix_sort_onesweep_sort_config_static_selectorELNS0_4arch9wavefront6targetE1EEEvSN_,comdat
.Lfunc_end203:
	.size	_ZN7rocprim17ROCPRIM_400000_NS6detail17trampoline_kernelINS0_14default_configENS1_35radix_sort_onesweep_config_selectorIjN6thrust23THRUST_200600_302600_NS5tupleIffNS6_9null_typeES8_S8_S8_S8_S8_S8_S8_EEEEZZNS1_29radix_sort_onesweep_iterationIS3_Lb0ENS6_6detail15normal_iteratorINS6_10device_ptrIjEEEESG_NSD_INSE_IS9_EEEESI_jNS0_19identity_decomposerENS1_16block_id_wrapperIjLb0EEEEE10hipError_tT1_PNSt15iterator_traitsISN_E10value_typeET2_T3_PNSO_IST_E10value_typeET4_T5_PSY_SZ_PNS1_23onesweep_lookback_stateEbbT6_jjT7_P12ihipStream_tbENKUlT_T0_SN_SS_E_clISG_SG_SI_SI_EEDaS16_S17_SN_SS_EUlS16_E_NS1_11comp_targetILNS1_3genE6ELNS1_11target_archE950ELNS1_3gpuE13ELNS1_3repE0EEENS1_47radix_sort_onesweep_sort_config_static_selectorELNS0_4arch9wavefront6targetE1EEEvSN_, .Lfunc_end203-_ZN7rocprim17ROCPRIM_400000_NS6detail17trampoline_kernelINS0_14default_configENS1_35radix_sort_onesweep_config_selectorIjN6thrust23THRUST_200600_302600_NS5tupleIffNS6_9null_typeES8_S8_S8_S8_S8_S8_S8_EEEEZZNS1_29radix_sort_onesweep_iterationIS3_Lb0ENS6_6detail15normal_iteratorINS6_10device_ptrIjEEEESG_NSD_INSE_IS9_EEEESI_jNS0_19identity_decomposerENS1_16block_id_wrapperIjLb0EEEEE10hipError_tT1_PNSt15iterator_traitsISN_E10value_typeET2_T3_PNSO_IST_E10value_typeET4_T5_PSY_SZ_PNS1_23onesweep_lookback_stateEbbT6_jjT7_P12ihipStream_tbENKUlT_T0_SN_SS_E_clISG_SG_SI_SI_EEDaS16_S17_SN_SS_EUlS16_E_NS1_11comp_targetILNS1_3genE6ELNS1_11target_archE950ELNS1_3gpuE13ELNS1_3repE0EEENS1_47radix_sort_onesweep_sort_config_static_selectorELNS0_4arch9wavefront6targetE1EEEvSN_
                                        ; -- End function
	.section	.AMDGPU.csdata,"",@progbits
; Kernel info:
; codeLenInByte = 0
; NumSgprs: 4
; NumVgprs: 0
; NumAgprs: 0
; TotalNumVgprs: 0
; ScratchSize: 0
; MemoryBound: 0
; FloatMode: 240
; IeeeMode: 1
; LDSByteSize: 0 bytes/workgroup (compile time only)
; SGPRBlocks: 0
; VGPRBlocks: 0
; NumSGPRsForWavesPerEU: 4
; NumVGPRsForWavesPerEU: 1
; AccumOffset: 4
; Occupancy: 8
; WaveLimiterHint : 0
; COMPUTE_PGM_RSRC2:SCRATCH_EN: 0
; COMPUTE_PGM_RSRC2:USER_SGPR: 6
; COMPUTE_PGM_RSRC2:TRAP_HANDLER: 0
; COMPUTE_PGM_RSRC2:TGID_X_EN: 1
; COMPUTE_PGM_RSRC2:TGID_Y_EN: 0
; COMPUTE_PGM_RSRC2:TGID_Z_EN: 0
; COMPUTE_PGM_RSRC2:TIDIG_COMP_CNT: 0
; COMPUTE_PGM_RSRC3_GFX90A:ACCUM_OFFSET: 0
; COMPUTE_PGM_RSRC3_GFX90A:TG_SPLIT: 0
	.section	.text._ZN7rocprim17ROCPRIM_400000_NS6detail17trampoline_kernelINS0_14default_configENS1_35radix_sort_onesweep_config_selectorIjN6thrust23THRUST_200600_302600_NS5tupleIffNS6_9null_typeES8_S8_S8_S8_S8_S8_S8_EEEEZZNS1_29radix_sort_onesweep_iterationIS3_Lb0ENS6_6detail15normal_iteratorINS6_10device_ptrIjEEEESG_NSD_INSE_IS9_EEEESI_jNS0_19identity_decomposerENS1_16block_id_wrapperIjLb0EEEEE10hipError_tT1_PNSt15iterator_traitsISN_E10value_typeET2_T3_PNSO_IST_E10value_typeET4_T5_PSY_SZ_PNS1_23onesweep_lookback_stateEbbT6_jjT7_P12ihipStream_tbENKUlT_T0_SN_SS_E_clISG_SG_SI_SI_EEDaS16_S17_SN_SS_EUlS16_E_NS1_11comp_targetILNS1_3genE5ELNS1_11target_archE942ELNS1_3gpuE9ELNS1_3repE0EEENS1_47radix_sort_onesweep_sort_config_static_selectorELNS0_4arch9wavefront6targetE1EEEvSN_,"axG",@progbits,_ZN7rocprim17ROCPRIM_400000_NS6detail17trampoline_kernelINS0_14default_configENS1_35radix_sort_onesweep_config_selectorIjN6thrust23THRUST_200600_302600_NS5tupleIffNS6_9null_typeES8_S8_S8_S8_S8_S8_S8_EEEEZZNS1_29radix_sort_onesweep_iterationIS3_Lb0ENS6_6detail15normal_iteratorINS6_10device_ptrIjEEEESG_NSD_INSE_IS9_EEEESI_jNS0_19identity_decomposerENS1_16block_id_wrapperIjLb0EEEEE10hipError_tT1_PNSt15iterator_traitsISN_E10value_typeET2_T3_PNSO_IST_E10value_typeET4_T5_PSY_SZ_PNS1_23onesweep_lookback_stateEbbT6_jjT7_P12ihipStream_tbENKUlT_T0_SN_SS_E_clISG_SG_SI_SI_EEDaS16_S17_SN_SS_EUlS16_E_NS1_11comp_targetILNS1_3genE5ELNS1_11target_archE942ELNS1_3gpuE9ELNS1_3repE0EEENS1_47radix_sort_onesweep_sort_config_static_selectorELNS0_4arch9wavefront6targetE1EEEvSN_,comdat
	.protected	_ZN7rocprim17ROCPRIM_400000_NS6detail17trampoline_kernelINS0_14default_configENS1_35radix_sort_onesweep_config_selectorIjN6thrust23THRUST_200600_302600_NS5tupleIffNS6_9null_typeES8_S8_S8_S8_S8_S8_S8_EEEEZZNS1_29radix_sort_onesweep_iterationIS3_Lb0ENS6_6detail15normal_iteratorINS6_10device_ptrIjEEEESG_NSD_INSE_IS9_EEEESI_jNS0_19identity_decomposerENS1_16block_id_wrapperIjLb0EEEEE10hipError_tT1_PNSt15iterator_traitsISN_E10value_typeET2_T3_PNSO_IST_E10value_typeET4_T5_PSY_SZ_PNS1_23onesweep_lookback_stateEbbT6_jjT7_P12ihipStream_tbENKUlT_T0_SN_SS_E_clISG_SG_SI_SI_EEDaS16_S17_SN_SS_EUlS16_E_NS1_11comp_targetILNS1_3genE5ELNS1_11target_archE942ELNS1_3gpuE9ELNS1_3repE0EEENS1_47radix_sort_onesweep_sort_config_static_selectorELNS0_4arch9wavefront6targetE1EEEvSN_ ; -- Begin function _ZN7rocprim17ROCPRIM_400000_NS6detail17trampoline_kernelINS0_14default_configENS1_35radix_sort_onesweep_config_selectorIjN6thrust23THRUST_200600_302600_NS5tupleIffNS6_9null_typeES8_S8_S8_S8_S8_S8_S8_EEEEZZNS1_29radix_sort_onesweep_iterationIS3_Lb0ENS6_6detail15normal_iteratorINS6_10device_ptrIjEEEESG_NSD_INSE_IS9_EEEESI_jNS0_19identity_decomposerENS1_16block_id_wrapperIjLb0EEEEE10hipError_tT1_PNSt15iterator_traitsISN_E10value_typeET2_T3_PNSO_IST_E10value_typeET4_T5_PSY_SZ_PNS1_23onesweep_lookback_stateEbbT6_jjT7_P12ihipStream_tbENKUlT_T0_SN_SS_E_clISG_SG_SI_SI_EEDaS16_S17_SN_SS_EUlS16_E_NS1_11comp_targetILNS1_3genE5ELNS1_11target_archE942ELNS1_3gpuE9ELNS1_3repE0EEENS1_47radix_sort_onesweep_sort_config_static_selectorELNS0_4arch9wavefront6targetE1EEEvSN_
	.globl	_ZN7rocprim17ROCPRIM_400000_NS6detail17trampoline_kernelINS0_14default_configENS1_35radix_sort_onesweep_config_selectorIjN6thrust23THRUST_200600_302600_NS5tupleIffNS6_9null_typeES8_S8_S8_S8_S8_S8_S8_EEEEZZNS1_29radix_sort_onesweep_iterationIS3_Lb0ENS6_6detail15normal_iteratorINS6_10device_ptrIjEEEESG_NSD_INSE_IS9_EEEESI_jNS0_19identity_decomposerENS1_16block_id_wrapperIjLb0EEEEE10hipError_tT1_PNSt15iterator_traitsISN_E10value_typeET2_T3_PNSO_IST_E10value_typeET4_T5_PSY_SZ_PNS1_23onesweep_lookback_stateEbbT6_jjT7_P12ihipStream_tbENKUlT_T0_SN_SS_E_clISG_SG_SI_SI_EEDaS16_S17_SN_SS_EUlS16_E_NS1_11comp_targetILNS1_3genE5ELNS1_11target_archE942ELNS1_3gpuE9ELNS1_3repE0EEENS1_47radix_sort_onesweep_sort_config_static_selectorELNS0_4arch9wavefront6targetE1EEEvSN_
	.p2align	8
	.type	_ZN7rocprim17ROCPRIM_400000_NS6detail17trampoline_kernelINS0_14default_configENS1_35radix_sort_onesweep_config_selectorIjN6thrust23THRUST_200600_302600_NS5tupleIffNS6_9null_typeES8_S8_S8_S8_S8_S8_S8_EEEEZZNS1_29radix_sort_onesweep_iterationIS3_Lb0ENS6_6detail15normal_iteratorINS6_10device_ptrIjEEEESG_NSD_INSE_IS9_EEEESI_jNS0_19identity_decomposerENS1_16block_id_wrapperIjLb0EEEEE10hipError_tT1_PNSt15iterator_traitsISN_E10value_typeET2_T3_PNSO_IST_E10value_typeET4_T5_PSY_SZ_PNS1_23onesweep_lookback_stateEbbT6_jjT7_P12ihipStream_tbENKUlT_T0_SN_SS_E_clISG_SG_SI_SI_EEDaS16_S17_SN_SS_EUlS16_E_NS1_11comp_targetILNS1_3genE5ELNS1_11target_archE942ELNS1_3gpuE9ELNS1_3repE0EEENS1_47radix_sort_onesweep_sort_config_static_selectorELNS0_4arch9wavefront6targetE1EEEvSN_,@function
_ZN7rocprim17ROCPRIM_400000_NS6detail17trampoline_kernelINS0_14default_configENS1_35radix_sort_onesweep_config_selectorIjN6thrust23THRUST_200600_302600_NS5tupleIffNS6_9null_typeES8_S8_S8_S8_S8_S8_S8_EEEEZZNS1_29radix_sort_onesweep_iterationIS3_Lb0ENS6_6detail15normal_iteratorINS6_10device_ptrIjEEEESG_NSD_INSE_IS9_EEEESI_jNS0_19identity_decomposerENS1_16block_id_wrapperIjLb0EEEEE10hipError_tT1_PNSt15iterator_traitsISN_E10value_typeET2_T3_PNSO_IST_E10value_typeET4_T5_PSY_SZ_PNS1_23onesweep_lookback_stateEbbT6_jjT7_P12ihipStream_tbENKUlT_T0_SN_SS_E_clISG_SG_SI_SI_EEDaS16_S17_SN_SS_EUlS16_E_NS1_11comp_targetILNS1_3genE5ELNS1_11target_archE942ELNS1_3gpuE9ELNS1_3repE0EEENS1_47radix_sort_onesweep_sort_config_static_selectorELNS0_4arch9wavefront6targetE1EEEvSN_: ; @_ZN7rocprim17ROCPRIM_400000_NS6detail17trampoline_kernelINS0_14default_configENS1_35radix_sort_onesweep_config_selectorIjN6thrust23THRUST_200600_302600_NS5tupleIffNS6_9null_typeES8_S8_S8_S8_S8_S8_S8_EEEEZZNS1_29radix_sort_onesweep_iterationIS3_Lb0ENS6_6detail15normal_iteratorINS6_10device_ptrIjEEEESG_NSD_INSE_IS9_EEEESI_jNS0_19identity_decomposerENS1_16block_id_wrapperIjLb0EEEEE10hipError_tT1_PNSt15iterator_traitsISN_E10value_typeET2_T3_PNSO_IST_E10value_typeET4_T5_PSY_SZ_PNS1_23onesweep_lookback_stateEbbT6_jjT7_P12ihipStream_tbENKUlT_T0_SN_SS_E_clISG_SG_SI_SI_EEDaS16_S17_SN_SS_EUlS16_E_NS1_11comp_targetILNS1_3genE5ELNS1_11target_archE942ELNS1_3gpuE9ELNS1_3repE0EEENS1_47radix_sort_onesweep_sort_config_static_selectorELNS0_4arch9wavefront6targetE1EEEvSN_
; %bb.0:
	.section	.rodata,"a",@progbits
	.p2align	6, 0x0
	.amdhsa_kernel _ZN7rocprim17ROCPRIM_400000_NS6detail17trampoline_kernelINS0_14default_configENS1_35radix_sort_onesweep_config_selectorIjN6thrust23THRUST_200600_302600_NS5tupleIffNS6_9null_typeES8_S8_S8_S8_S8_S8_S8_EEEEZZNS1_29radix_sort_onesweep_iterationIS3_Lb0ENS6_6detail15normal_iteratorINS6_10device_ptrIjEEEESG_NSD_INSE_IS9_EEEESI_jNS0_19identity_decomposerENS1_16block_id_wrapperIjLb0EEEEE10hipError_tT1_PNSt15iterator_traitsISN_E10value_typeET2_T3_PNSO_IST_E10value_typeET4_T5_PSY_SZ_PNS1_23onesweep_lookback_stateEbbT6_jjT7_P12ihipStream_tbENKUlT_T0_SN_SS_E_clISG_SG_SI_SI_EEDaS16_S17_SN_SS_EUlS16_E_NS1_11comp_targetILNS1_3genE5ELNS1_11target_archE942ELNS1_3gpuE9ELNS1_3repE0EEENS1_47radix_sort_onesweep_sort_config_static_selectorELNS0_4arch9wavefront6targetE1EEEvSN_
		.amdhsa_group_segment_fixed_size 0
		.amdhsa_private_segment_fixed_size 0
		.amdhsa_kernarg_size 88
		.amdhsa_user_sgpr_count 6
		.amdhsa_user_sgpr_private_segment_buffer 1
		.amdhsa_user_sgpr_dispatch_ptr 0
		.amdhsa_user_sgpr_queue_ptr 0
		.amdhsa_user_sgpr_kernarg_segment_ptr 1
		.amdhsa_user_sgpr_dispatch_id 0
		.amdhsa_user_sgpr_flat_scratch_init 0
		.amdhsa_user_sgpr_kernarg_preload_length 0
		.amdhsa_user_sgpr_kernarg_preload_offset 0
		.amdhsa_user_sgpr_private_segment_size 0
		.amdhsa_uses_dynamic_stack 0
		.amdhsa_system_sgpr_private_segment_wavefront_offset 0
		.amdhsa_system_sgpr_workgroup_id_x 1
		.amdhsa_system_sgpr_workgroup_id_y 0
		.amdhsa_system_sgpr_workgroup_id_z 0
		.amdhsa_system_sgpr_workgroup_info 0
		.amdhsa_system_vgpr_workitem_id 0
		.amdhsa_next_free_vgpr 1
		.amdhsa_next_free_sgpr 0
		.amdhsa_accum_offset 4
		.amdhsa_reserve_vcc 0
		.amdhsa_reserve_flat_scratch 0
		.amdhsa_float_round_mode_32 0
		.amdhsa_float_round_mode_16_64 0
		.amdhsa_float_denorm_mode_32 3
		.amdhsa_float_denorm_mode_16_64 3
		.amdhsa_dx10_clamp 1
		.amdhsa_ieee_mode 1
		.amdhsa_fp16_overflow 0
		.amdhsa_tg_split 0
		.amdhsa_exception_fp_ieee_invalid_op 0
		.amdhsa_exception_fp_denorm_src 0
		.amdhsa_exception_fp_ieee_div_zero 0
		.amdhsa_exception_fp_ieee_overflow 0
		.amdhsa_exception_fp_ieee_underflow 0
		.amdhsa_exception_fp_ieee_inexact 0
		.amdhsa_exception_int_div_zero 0
	.end_amdhsa_kernel
	.section	.text._ZN7rocprim17ROCPRIM_400000_NS6detail17trampoline_kernelINS0_14default_configENS1_35radix_sort_onesweep_config_selectorIjN6thrust23THRUST_200600_302600_NS5tupleIffNS6_9null_typeES8_S8_S8_S8_S8_S8_S8_EEEEZZNS1_29radix_sort_onesweep_iterationIS3_Lb0ENS6_6detail15normal_iteratorINS6_10device_ptrIjEEEESG_NSD_INSE_IS9_EEEESI_jNS0_19identity_decomposerENS1_16block_id_wrapperIjLb0EEEEE10hipError_tT1_PNSt15iterator_traitsISN_E10value_typeET2_T3_PNSO_IST_E10value_typeET4_T5_PSY_SZ_PNS1_23onesweep_lookback_stateEbbT6_jjT7_P12ihipStream_tbENKUlT_T0_SN_SS_E_clISG_SG_SI_SI_EEDaS16_S17_SN_SS_EUlS16_E_NS1_11comp_targetILNS1_3genE5ELNS1_11target_archE942ELNS1_3gpuE9ELNS1_3repE0EEENS1_47radix_sort_onesweep_sort_config_static_selectorELNS0_4arch9wavefront6targetE1EEEvSN_,"axG",@progbits,_ZN7rocprim17ROCPRIM_400000_NS6detail17trampoline_kernelINS0_14default_configENS1_35radix_sort_onesweep_config_selectorIjN6thrust23THRUST_200600_302600_NS5tupleIffNS6_9null_typeES8_S8_S8_S8_S8_S8_S8_EEEEZZNS1_29radix_sort_onesweep_iterationIS3_Lb0ENS6_6detail15normal_iteratorINS6_10device_ptrIjEEEESG_NSD_INSE_IS9_EEEESI_jNS0_19identity_decomposerENS1_16block_id_wrapperIjLb0EEEEE10hipError_tT1_PNSt15iterator_traitsISN_E10value_typeET2_T3_PNSO_IST_E10value_typeET4_T5_PSY_SZ_PNS1_23onesweep_lookback_stateEbbT6_jjT7_P12ihipStream_tbENKUlT_T0_SN_SS_E_clISG_SG_SI_SI_EEDaS16_S17_SN_SS_EUlS16_E_NS1_11comp_targetILNS1_3genE5ELNS1_11target_archE942ELNS1_3gpuE9ELNS1_3repE0EEENS1_47radix_sort_onesweep_sort_config_static_selectorELNS0_4arch9wavefront6targetE1EEEvSN_,comdat
.Lfunc_end204:
	.size	_ZN7rocprim17ROCPRIM_400000_NS6detail17trampoline_kernelINS0_14default_configENS1_35radix_sort_onesweep_config_selectorIjN6thrust23THRUST_200600_302600_NS5tupleIffNS6_9null_typeES8_S8_S8_S8_S8_S8_S8_EEEEZZNS1_29radix_sort_onesweep_iterationIS3_Lb0ENS6_6detail15normal_iteratorINS6_10device_ptrIjEEEESG_NSD_INSE_IS9_EEEESI_jNS0_19identity_decomposerENS1_16block_id_wrapperIjLb0EEEEE10hipError_tT1_PNSt15iterator_traitsISN_E10value_typeET2_T3_PNSO_IST_E10value_typeET4_T5_PSY_SZ_PNS1_23onesweep_lookback_stateEbbT6_jjT7_P12ihipStream_tbENKUlT_T0_SN_SS_E_clISG_SG_SI_SI_EEDaS16_S17_SN_SS_EUlS16_E_NS1_11comp_targetILNS1_3genE5ELNS1_11target_archE942ELNS1_3gpuE9ELNS1_3repE0EEENS1_47radix_sort_onesweep_sort_config_static_selectorELNS0_4arch9wavefront6targetE1EEEvSN_, .Lfunc_end204-_ZN7rocprim17ROCPRIM_400000_NS6detail17trampoline_kernelINS0_14default_configENS1_35radix_sort_onesweep_config_selectorIjN6thrust23THRUST_200600_302600_NS5tupleIffNS6_9null_typeES8_S8_S8_S8_S8_S8_S8_EEEEZZNS1_29radix_sort_onesweep_iterationIS3_Lb0ENS6_6detail15normal_iteratorINS6_10device_ptrIjEEEESG_NSD_INSE_IS9_EEEESI_jNS0_19identity_decomposerENS1_16block_id_wrapperIjLb0EEEEE10hipError_tT1_PNSt15iterator_traitsISN_E10value_typeET2_T3_PNSO_IST_E10value_typeET4_T5_PSY_SZ_PNS1_23onesweep_lookback_stateEbbT6_jjT7_P12ihipStream_tbENKUlT_T0_SN_SS_E_clISG_SG_SI_SI_EEDaS16_S17_SN_SS_EUlS16_E_NS1_11comp_targetILNS1_3genE5ELNS1_11target_archE942ELNS1_3gpuE9ELNS1_3repE0EEENS1_47radix_sort_onesweep_sort_config_static_selectorELNS0_4arch9wavefront6targetE1EEEvSN_
                                        ; -- End function
	.section	.AMDGPU.csdata,"",@progbits
; Kernel info:
; codeLenInByte = 0
; NumSgprs: 4
; NumVgprs: 0
; NumAgprs: 0
; TotalNumVgprs: 0
; ScratchSize: 0
; MemoryBound: 0
; FloatMode: 240
; IeeeMode: 1
; LDSByteSize: 0 bytes/workgroup (compile time only)
; SGPRBlocks: 0
; VGPRBlocks: 0
; NumSGPRsForWavesPerEU: 4
; NumVGPRsForWavesPerEU: 1
; AccumOffset: 4
; Occupancy: 8
; WaveLimiterHint : 0
; COMPUTE_PGM_RSRC2:SCRATCH_EN: 0
; COMPUTE_PGM_RSRC2:USER_SGPR: 6
; COMPUTE_PGM_RSRC2:TRAP_HANDLER: 0
; COMPUTE_PGM_RSRC2:TGID_X_EN: 1
; COMPUTE_PGM_RSRC2:TGID_Y_EN: 0
; COMPUTE_PGM_RSRC2:TGID_Z_EN: 0
; COMPUTE_PGM_RSRC2:TIDIG_COMP_CNT: 0
; COMPUTE_PGM_RSRC3_GFX90A:ACCUM_OFFSET: 0
; COMPUTE_PGM_RSRC3_GFX90A:TG_SPLIT: 0
	.section	.text._ZN7rocprim17ROCPRIM_400000_NS6detail17trampoline_kernelINS0_14default_configENS1_35radix_sort_onesweep_config_selectorIjN6thrust23THRUST_200600_302600_NS5tupleIffNS6_9null_typeES8_S8_S8_S8_S8_S8_S8_EEEEZZNS1_29radix_sort_onesweep_iterationIS3_Lb0ENS6_6detail15normal_iteratorINS6_10device_ptrIjEEEESG_NSD_INSE_IS9_EEEESI_jNS0_19identity_decomposerENS1_16block_id_wrapperIjLb0EEEEE10hipError_tT1_PNSt15iterator_traitsISN_E10value_typeET2_T3_PNSO_IST_E10value_typeET4_T5_PSY_SZ_PNS1_23onesweep_lookback_stateEbbT6_jjT7_P12ihipStream_tbENKUlT_T0_SN_SS_E_clISG_SG_SI_SI_EEDaS16_S17_SN_SS_EUlS16_E_NS1_11comp_targetILNS1_3genE2ELNS1_11target_archE906ELNS1_3gpuE6ELNS1_3repE0EEENS1_47radix_sort_onesweep_sort_config_static_selectorELNS0_4arch9wavefront6targetE1EEEvSN_,"axG",@progbits,_ZN7rocprim17ROCPRIM_400000_NS6detail17trampoline_kernelINS0_14default_configENS1_35radix_sort_onesweep_config_selectorIjN6thrust23THRUST_200600_302600_NS5tupleIffNS6_9null_typeES8_S8_S8_S8_S8_S8_S8_EEEEZZNS1_29radix_sort_onesweep_iterationIS3_Lb0ENS6_6detail15normal_iteratorINS6_10device_ptrIjEEEESG_NSD_INSE_IS9_EEEESI_jNS0_19identity_decomposerENS1_16block_id_wrapperIjLb0EEEEE10hipError_tT1_PNSt15iterator_traitsISN_E10value_typeET2_T3_PNSO_IST_E10value_typeET4_T5_PSY_SZ_PNS1_23onesweep_lookback_stateEbbT6_jjT7_P12ihipStream_tbENKUlT_T0_SN_SS_E_clISG_SG_SI_SI_EEDaS16_S17_SN_SS_EUlS16_E_NS1_11comp_targetILNS1_3genE2ELNS1_11target_archE906ELNS1_3gpuE6ELNS1_3repE0EEENS1_47radix_sort_onesweep_sort_config_static_selectorELNS0_4arch9wavefront6targetE1EEEvSN_,comdat
	.protected	_ZN7rocprim17ROCPRIM_400000_NS6detail17trampoline_kernelINS0_14default_configENS1_35radix_sort_onesweep_config_selectorIjN6thrust23THRUST_200600_302600_NS5tupleIffNS6_9null_typeES8_S8_S8_S8_S8_S8_S8_EEEEZZNS1_29radix_sort_onesweep_iterationIS3_Lb0ENS6_6detail15normal_iteratorINS6_10device_ptrIjEEEESG_NSD_INSE_IS9_EEEESI_jNS0_19identity_decomposerENS1_16block_id_wrapperIjLb0EEEEE10hipError_tT1_PNSt15iterator_traitsISN_E10value_typeET2_T3_PNSO_IST_E10value_typeET4_T5_PSY_SZ_PNS1_23onesweep_lookback_stateEbbT6_jjT7_P12ihipStream_tbENKUlT_T0_SN_SS_E_clISG_SG_SI_SI_EEDaS16_S17_SN_SS_EUlS16_E_NS1_11comp_targetILNS1_3genE2ELNS1_11target_archE906ELNS1_3gpuE6ELNS1_3repE0EEENS1_47radix_sort_onesweep_sort_config_static_selectorELNS0_4arch9wavefront6targetE1EEEvSN_ ; -- Begin function _ZN7rocprim17ROCPRIM_400000_NS6detail17trampoline_kernelINS0_14default_configENS1_35radix_sort_onesweep_config_selectorIjN6thrust23THRUST_200600_302600_NS5tupleIffNS6_9null_typeES8_S8_S8_S8_S8_S8_S8_EEEEZZNS1_29radix_sort_onesweep_iterationIS3_Lb0ENS6_6detail15normal_iteratorINS6_10device_ptrIjEEEESG_NSD_INSE_IS9_EEEESI_jNS0_19identity_decomposerENS1_16block_id_wrapperIjLb0EEEEE10hipError_tT1_PNSt15iterator_traitsISN_E10value_typeET2_T3_PNSO_IST_E10value_typeET4_T5_PSY_SZ_PNS1_23onesweep_lookback_stateEbbT6_jjT7_P12ihipStream_tbENKUlT_T0_SN_SS_E_clISG_SG_SI_SI_EEDaS16_S17_SN_SS_EUlS16_E_NS1_11comp_targetILNS1_3genE2ELNS1_11target_archE906ELNS1_3gpuE6ELNS1_3repE0EEENS1_47radix_sort_onesweep_sort_config_static_selectorELNS0_4arch9wavefront6targetE1EEEvSN_
	.globl	_ZN7rocprim17ROCPRIM_400000_NS6detail17trampoline_kernelINS0_14default_configENS1_35radix_sort_onesweep_config_selectorIjN6thrust23THRUST_200600_302600_NS5tupleIffNS6_9null_typeES8_S8_S8_S8_S8_S8_S8_EEEEZZNS1_29radix_sort_onesweep_iterationIS3_Lb0ENS6_6detail15normal_iteratorINS6_10device_ptrIjEEEESG_NSD_INSE_IS9_EEEESI_jNS0_19identity_decomposerENS1_16block_id_wrapperIjLb0EEEEE10hipError_tT1_PNSt15iterator_traitsISN_E10value_typeET2_T3_PNSO_IST_E10value_typeET4_T5_PSY_SZ_PNS1_23onesweep_lookback_stateEbbT6_jjT7_P12ihipStream_tbENKUlT_T0_SN_SS_E_clISG_SG_SI_SI_EEDaS16_S17_SN_SS_EUlS16_E_NS1_11comp_targetILNS1_3genE2ELNS1_11target_archE906ELNS1_3gpuE6ELNS1_3repE0EEENS1_47radix_sort_onesweep_sort_config_static_selectorELNS0_4arch9wavefront6targetE1EEEvSN_
	.p2align	8
	.type	_ZN7rocprim17ROCPRIM_400000_NS6detail17trampoline_kernelINS0_14default_configENS1_35radix_sort_onesweep_config_selectorIjN6thrust23THRUST_200600_302600_NS5tupleIffNS6_9null_typeES8_S8_S8_S8_S8_S8_S8_EEEEZZNS1_29radix_sort_onesweep_iterationIS3_Lb0ENS6_6detail15normal_iteratorINS6_10device_ptrIjEEEESG_NSD_INSE_IS9_EEEESI_jNS0_19identity_decomposerENS1_16block_id_wrapperIjLb0EEEEE10hipError_tT1_PNSt15iterator_traitsISN_E10value_typeET2_T3_PNSO_IST_E10value_typeET4_T5_PSY_SZ_PNS1_23onesweep_lookback_stateEbbT6_jjT7_P12ihipStream_tbENKUlT_T0_SN_SS_E_clISG_SG_SI_SI_EEDaS16_S17_SN_SS_EUlS16_E_NS1_11comp_targetILNS1_3genE2ELNS1_11target_archE906ELNS1_3gpuE6ELNS1_3repE0EEENS1_47radix_sort_onesweep_sort_config_static_selectorELNS0_4arch9wavefront6targetE1EEEvSN_,@function
_ZN7rocprim17ROCPRIM_400000_NS6detail17trampoline_kernelINS0_14default_configENS1_35radix_sort_onesweep_config_selectorIjN6thrust23THRUST_200600_302600_NS5tupleIffNS6_9null_typeES8_S8_S8_S8_S8_S8_S8_EEEEZZNS1_29radix_sort_onesweep_iterationIS3_Lb0ENS6_6detail15normal_iteratorINS6_10device_ptrIjEEEESG_NSD_INSE_IS9_EEEESI_jNS0_19identity_decomposerENS1_16block_id_wrapperIjLb0EEEEE10hipError_tT1_PNSt15iterator_traitsISN_E10value_typeET2_T3_PNSO_IST_E10value_typeET4_T5_PSY_SZ_PNS1_23onesweep_lookback_stateEbbT6_jjT7_P12ihipStream_tbENKUlT_T0_SN_SS_E_clISG_SG_SI_SI_EEDaS16_S17_SN_SS_EUlS16_E_NS1_11comp_targetILNS1_3genE2ELNS1_11target_archE906ELNS1_3gpuE6ELNS1_3repE0EEENS1_47radix_sort_onesweep_sort_config_static_selectorELNS0_4arch9wavefront6targetE1EEEvSN_: ; @_ZN7rocprim17ROCPRIM_400000_NS6detail17trampoline_kernelINS0_14default_configENS1_35radix_sort_onesweep_config_selectorIjN6thrust23THRUST_200600_302600_NS5tupleIffNS6_9null_typeES8_S8_S8_S8_S8_S8_S8_EEEEZZNS1_29radix_sort_onesweep_iterationIS3_Lb0ENS6_6detail15normal_iteratorINS6_10device_ptrIjEEEESG_NSD_INSE_IS9_EEEESI_jNS0_19identity_decomposerENS1_16block_id_wrapperIjLb0EEEEE10hipError_tT1_PNSt15iterator_traitsISN_E10value_typeET2_T3_PNSO_IST_E10value_typeET4_T5_PSY_SZ_PNS1_23onesweep_lookback_stateEbbT6_jjT7_P12ihipStream_tbENKUlT_T0_SN_SS_E_clISG_SG_SI_SI_EEDaS16_S17_SN_SS_EUlS16_E_NS1_11comp_targetILNS1_3genE2ELNS1_11target_archE906ELNS1_3gpuE6ELNS1_3repE0EEENS1_47radix_sort_onesweep_sort_config_static_selectorELNS0_4arch9wavefront6targetE1EEEvSN_
; %bb.0:
	.section	.rodata,"a",@progbits
	.p2align	6, 0x0
	.amdhsa_kernel _ZN7rocprim17ROCPRIM_400000_NS6detail17trampoline_kernelINS0_14default_configENS1_35radix_sort_onesweep_config_selectorIjN6thrust23THRUST_200600_302600_NS5tupleIffNS6_9null_typeES8_S8_S8_S8_S8_S8_S8_EEEEZZNS1_29radix_sort_onesweep_iterationIS3_Lb0ENS6_6detail15normal_iteratorINS6_10device_ptrIjEEEESG_NSD_INSE_IS9_EEEESI_jNS0_19identity_decomposerENS1_16block_id_wrapperIjLb0EEEEE10hipError_tT1_PNSt15iterator_traitsISN_E10value_typeET2_T3_PNSO_IST_E10value_typeET4_T5_PSY_SZ_PNS1_23onesweep_lookback_stateEbbT6_jjT7_P12ihipStream_tbENKUlT_T0_SN_SS_E_clISG_SG_SI_SI_EEDaS16_S17_SN_SS_EUlS16_E_NS1_11comp_targetILNS1_3genE2ELNS1_11target_archE906ELNS1_3gpuE6ELNS1_3repE0EEENS1_47radix_sort_onesweep_sort_config_static_selectorELNS0_4arch9wavefront6targetE1EEEvSN_
		.amdhsa_group_segment_fixed_size 0
		.amdhsa_private_segment_fixed_size 0
		.amdhsa_kernarg_size 88
		.amdhsa_user_sgpr_count 6
		.amdhsa_user_sgpr_private_segment_buffer 1
		.amdhsa_user_sgpr_dispatch_ptr 0
		.amdhsa_user_sgpr_queue_ptr 0
		.amdhsa_user_sgpr_kernarg_segment_ptr 1
		.amdhsa_user_sgpr_dispatch_id 0
		.amdhsa_user_sgpr_flat_scratch_init 0
		.amdhsa_user_sgpr_kernarg_preload_length 0
		.amdhsa_user_sgpr_kernarg_preload_offset 0
		.amdhsa_user_sgpr_private_segment_size 0
		.amdhsa_uses_dynamic_stack 0
		.amdhsa_system_sgpr_private_segment_wavefront_offset 0
		.amdhsa_system_sgpr_workgroup_id_x 1
		.amdhsa_system_sgpr_workgroup_id_y 0
		.amdhsa_system_sgpr_workgroup_id_z 0
		.amdhsa_system_sgpr_workgroup_info 0
		.amdhsa_system_vgpr_workitem_id 0
		.amdhsa_next_free_vgpr 1
		.amdhsa_next_free_sgpr 0
		.amdhsa_accum_offset 4
		.amdhsa_reserve_vcc 0
		.amdhsa_reserve_flat_scratch 0
		.amdhsa_float_round_mode_32 0
		.amdhsa_float_round_mode_16_64 0
		.amdhsa_float_denorm_mode_32 3
		.amdhsa_float_denorm_mode_16_64 3
		.amdhsa_dx10_clamp 1
		.amdhsa_ieee_mode 1
		.amdhsa_fp16_overflow 0
		.amdhsa_tg_split 0
		.amdhsa_exception_fp_ieee_invalid_op 0
		.amdhsa_exception_fp_denorm_src 0
		.amdhsa_exception_fp_ieee_div_zero 0
		.amdhsa_exception_fp_ieee_overflow 0
		.amdhsa_exception_fp_ieee_underflow 0
		.amdhsa_exception_fp_ieee_inexact 0
		.amdhsa_exception_int_div_zero 0
	.end_amdhsa_kernel
	.section	.text._ZN7rocprim17ROCPRIM_400000_NS6detail17trampoline_kernelINS0_14default_configENS1_35radix_sort_onesweep_config_selectorIjN6thrust23THRUST_200600_302600_NS5tupleIffNS6_9null_typeES8_S8_S8_S8_S8_S8_S8_EEEEZZNS1_29radix_sort_onesweep_iterationIS3_Lb0ENS6_6detail15normal_iteratorINS6_10device_ptrIjEEEESG_NSD_INSE_IS9_EEEESI_jNS0_19identity_decomposerENS1_16block_id_wrapperIjLb0EEEEE10hipError_tT1_PNSt15iterator_traitsISN_E10value_typeET2_T3_PNSO_IST_E10value_typeET4_T5_PSY_SZ_PNS1_23onesweep_lookback_stateEbbT6_jjT7_P12ihipStream_tbENKUlT_T0_SN_SS_E_clISG_SG_SI_SI_EEDaS16_S17_SN_SS_EUlS16_E_NS1_11comp_targetILNS1_3genE2ELNS1_11target_archE906ELNS1_3gpuE6ELNS1_3repE0EEENS1_47radix_sort_onesweep_sort_config_static_selectorELNS0_4arch9wavefront6targetE1EEEvSN_,"axG",@progbits,_ZN7rocprim17ROCPRIM_400000_NS6detail17trampoline_kernelINS0_14default_configENS1_35radix_sort_onesweep_config_selectorIjN6thrust23THRUST_200600_302600_NS5tupleIffNS6_9null_typeES8_S8_S8_S8_S8_S8_S8_EEEEZZNS1_29radix_sort_onesweep_iterationIS3_Lb0ENS6_6detail15normal_iteratorINS6_10device_ptrIjEEEESG_NSD_INSE_IS9_EEEESI_jNS0_19identity_decomposerENS1_16block_id_wrapperIjLb0EEEEE10hipError_tT1_PNSt15iterator_traitsISN_E10value_typeET2_T3_PNSO_IST_E10value_typeET4_T5_PSY_SZ_PNS1_23onesweep_lookback_stateEbbT6_jjT7_P12ihipStream_tbENKUlT_T0_SN_SS_E_clISG_SG_SI_SI_EEDaS16_S17_SN_SS_EUlS16_E_NS1_11comp_targetILNS1_3genE2ELNS1_11target_archE906ELNS1_3gpuE6ELNS1_3repE0EEENS1_47radix_sort_onesweep_sort_config_static_selectorELNS0_4arch9wavefront6targetE1EEEvSN_,comdat
.Lfunc_end205:
	.size	_ZN7rocprim17ROCPRIM_400000_NS6detail17trampoline_kernelINS0_14default_configENS1_35radix_sort_onesweep_config_selectorIjN6thrust23THRUST_200600_302600_NS5tupleIffNS6_9null_typeES8_S8_S8_S8_S8_S8_S8_EEEEZZNS1_29radix_sort_onesweep_iterationIS3_Lb0ENS6_6detail15normal_iteratorINS6_10device_ptrIjEEEESG_NSD_INSE_IS9_EEEESI_jNS0_19identity_decomposerENS1_16block_id_wrapperIjLb0EEEEE10hipError_tT1_PNSt15iterator_traitsISN_E10value_typeET2_T3_PNSO_IST_E10value_typeET4_T5_PSY_SZ_PNS1_23onesweep_lookback_stateEbbT6_jjT7_P12ihipStream_tbENKUlT_T0_SN_SS_E_clISG_SG_SI_SI_EEDaS16_S17_SN_SS_EUlS16_E_NS1_11comp_targetILNS1_3genE2ELNS1_11target_archE906ELNS1_3gpuE6ELNS1_3repE0EEENS1_47radix_sort_onesweep_sort_config_static_selectorELNS0_4arch9wavefront6targetE1EEEvSN_, .Lfunc_end205-_ZN7rocprim17ROCPRIM_400000_NS6detail17trampoline_kernelINS0_14default_configENS1_35radix_sort_onesweep_config_selectorIjN6thrust23THRUST_200600_302600_NS5tupleIffNS6_9null_typeES8_S8_S8_S8_S8_S8_S8_EEEEZZNS1_29radix_sort_onesweep_iterationIS3_Lb0ENS6_6detail15normal_iteratorINS6_10device_ptrIjEEEESG_NSD_INSE_IS9_EEEESI_jNS0_19identity_decomposerENS1_16block_id_wrapperIjLb0EEEEE10hipError_tT1_PNSt15iterator_traitsISN_E10value_typeET2_T3_PNSO_IST_E10value_typeET4_T5_PSY_SZ_PNS1_23onesweep_lookback_stateEbbT6_jjT7_P12ihipStream_tbENKUlT_T0_SN_SS_E_clISG_SG_SI_SI_EEDaS16_S17_SN_SS_EUlS16_E_NS1_11comp_targetILNS1_3genE2ELNS1_11target_archE906ELNS1_3gpuE6ELNS1_3repE0EEENS1_47radix_sort_onesweep_sort_config_static_selectorELNS0_4arch9wavefront6targetE1EEEvSN_
                                        ; -- End function
	.section	.AMDGPU.csdata,"",@progbits
; Kernel info:
; codeLenInByte = 0
; NumSgprs: 4
; NumVgprs: 0
; NumAgprs: 0
; TotalNumVgprs: 0
; ScratchSize: 0
; MemoryBound: 0
; FloatMode: 240
; IeeeMode: 1
; LDSByteSize: 0 bytes/workgroup (compile time only)
; SGPRBlocks: 0
; VGPRBlocks: 0
; NumSGPRsForWavesPerEU: 4
; NumVGPRsForWavesPerEU: 1
; AccumOffset: 4
; Occupancy: 8
; WaveLimiterHint : 0
; COMPUTE_PGM_RSRC2:SCRATCH_EN: 0
; COMPUTE_PGM_RSRC2:USER_SGPR: 6
; COMPUTE_PGM_RSRC2:TRAP_HANDLER: 0
; COMPUTE_PGM_RSRC2:TGID_X_EN: 1
; COMPUTE_PGM_RSRC2:TGID_Y_EN: 0
; COMPUTE_PGM_RSRC2:TGID_Z_EN: 0
; COMPUTE_PGM_RSRC2:TIDIG_COMP_CNT: 0
; COMPUTE_PGM_RSRC3_GFX90A:ACCUM_OFFSET: 0
; COMPUTE_PGM_RSRC3_GFX90A:TG_SPLIT: 0
	.section	.text._ZN7rocprim17ROCPRIM_400000_NS6detail17trampoline_kernelINS0_14default_configENS1_35radix_sort_onesweep_config_selectorIjN6thrust23THRUST_200600_302600_NS5tupleIffNS6_9null_typeES8_S8_S8_S8_S8_S8_S8_EEEEZZNS1_29radix_sort_onesweep_iterationIS3_Lb0ENS6_6detail15normal_iteratorINS6_10device_ptrIjEEEESG_NSD_INSE_IS9_EEEESI_jNS0_19identity_decomposerENS1_16block_id_wrapperIjLb0EEEEE10hipError_tT1_PNSt15iterator_traitsISN_E10value_typeET2_T3_PNSO_IST_E10value_typeET4_T5_PSY_SZ_PNS1_23onesweep_lookback_stateEbbT6_jjT7_P12ihipStream_tbENKUlT_T0_SN_SS_E_clISG_SG_SI_SI_EEDaS16_S17_SN_SS_EUlS16_E_NS1_11comp_targetILNS1_3genE4ELNS1_11target_archE910ELNS1_3gpuE8ELNS1_3repE0EEENS1_47radix_sort_onesweep_sort_config_static_selectorELNS0_4arch9wavefront6targetE1EEEvSN_,"axG",@progbits,_ZN7rocprim17ROCPRIM_400000_NS6detail17trampoline_kernelINS0_14default_configENS1_35radix_sort_onesweep_config_selectorIjN6thrust23THRUST_200600_302600_NS5tupleIffNS6_9null_typeES8_S8_S8_S8_S8_S8_S8_EEEEZZNS1_29radix_sort_onesweep_iterationIS3_Lb0ENS6_6detail15normal_iteratorINS6_10device_ptrIjEEEESG_NSD_INSE_IS9_EEEESI_jNS0_19identity_decomposerENS1_16block_id_wrapperIjLb0EEEEE10hipError_tT1_PNSt15iterator_traitsISN_E10value_typeET2_T3_PNSO_IST_E10value_typeET4_T5_PSY_SZ_PNS1_23onesweep_lookback_stateEbbT6_jjT7_P12ihipStream_tbENKUlT_T0_SN_SS_E_clISG_SG_SI_SI_EEDaS16_S17_SN_SS_EUlS16_E_NS1_11comp_targetILNS1_3genE4ELNS1_11target_archE910ELNS1_3gpuE8ELNS1_3repE0EEENS1_47radix_sort_onesweep_sort_config_static_selectorELNS0_4arch9wavefront6targetE1EEEvSN_,comdat
	.protected	_ZN7rocprim17ROCPRIM_400000_NS6detail17trampoline_kernelINS0_14default_configENS1_35radix_sort_onesweep_config_selectorIjN6thrust23THRUST_200600_302600_NS5tupleIffNS6_9null_typeES8_S8_S8_S8_S8_S8_S8_EEEEZZNS1_29radix_sort_onesweep_iterationIS3_Lb0ENS6_6detail15normal_iteratorINS6_10device_ptrIjEEEESG_NSD_INSE_IS9_EEEESI_jNS0_19identity_decomposerENS1_16block_id_wrapperIjLb0EEEEE10hipError_tT1_PNSt15iterator_traitsISN_E10value_typeET2_T3_PNSO_IST_E10value_typeET4_T5_PSY_SZ_PNS1_23onesweep_lookback_stateEbbT6_jjT7_P12ihipStream_tbENKUlT_T0_SN_SS_E_clISG_SG_SI_SI_EEDaS16_S17_SN_SS_EUlS16_E_NS1_11comp_targetILNS1_3genE4ELNS1_11target_archE910ELNS1_3gpuE8ELNS1_3repE0EEENS1_47radix_sort_onesweep_sort_config_static_selectorELNS0_4arch9wavefront6targetE1EEEvSN_ ; -- Begin function _ZN7rocprim17ROCPRIM_400000_NS6detail17trampoline_kernelINS0_14default_configENS1_35radix_sort_onesweep_config_selectorIjN6thrust23THRUST_200600_302600_NS5tupleIffNS6_9null_typeES8_S8_S8_S8_S8_S8_S8_EEEEZZNS1_29radix_sort_onesweep_iterationIS3_Lb0ENS6_6detail15normal_iteratorINS6_10device_ptrIjEEEESG_NSD_INSE_IS9_EEEESI_jNS0_19identity_decomposerENS1_16block_id_wrapperIjLb0EEEEE10hipError_tT1_PNSt15iterator_traitsISN_E10value_typeET2_T3_PNSO_IST_E10value_typeET4_T5_PSY_SZ_PNS1_23onesweep_lookback_stateEbbT6_jjT7_P12ihipStream_tbENKUlT_T0_SN_SS_E_clISG_SG_SI_SI_EEDaS16_S17_SN_SS_EUlS16_E_NS1_11comp_targetILNS1_3genE4ELNS1_11target_archE910ELNS1_3gpuE8ELNS1_3repE0EEENS1_47radix_sort_onesweep_sort_config_static_selectorELNS0_4arch9wavefront6targetE1EEEvSN_
	.globl	_ZN7rocprim17ROCPRIM_400000_NS6detail17trampoline_kernelINS0_14default_configENS1_35radix_sort_onesweep_config_selectorIjN6thrust23THRUST_200600_302600_NS5tupleIffNS6_9null_typeES8_S8_S8_S8_S8_S8_S8_EEEEZZNS1_29radix_sort_onesweep_iterationIS3_Lb0ENS6_6detail15normal_iteratorINS6_10device_ptrIjEEEESG_NSD_INSE_IS9_EEEESI_jNS0_19identity_decomposerENS1_16block_id_wrapperIjLb0EEEEE10hipError_tT1_PNSt15iterator_traitsISN_E10value_typeET2_T3_PNSO_IST_E10value_typeET4_T5_PSY_SZ_PNS1_23onesweep_lookback_stateEbbT6_jjT7_P12ihipStream_tbENKUlT_T0_SN_SS_E_clISG_SG_SI_SI_EEDaS16_S17_SN_SS_EUlS16_E_NS1_11comp_targetILNS1_3genE4ELNS1_11target_archE910ELNS1_3gpuE8ELNS1_3repE0EEENS1_47radix_sort_onesweep_sort_config_static_selectorELNS0_4arch9wavefront6targetE1EEEvSN_
	.p2align	8
	.type	_ZN7rocprim17ROCPRIM_400000_NS6detail17trampoline_kernelINS0_14default_configENS1_35radix_sort_onesweep_config_selectorIjN6thrust23THRUST_200600_302600_NS5tupleIffNS6_9null_typeES8_S8_S8_S8_S8_S8_S8_EEEEZZNS1_29radix_sort_onesweep_iterationIS3_Lb0ENS6_6detail15normal_iteratorINS6_10device_ptrIjEEEESG_NSD_INSE_IS9_EEEESI_jNS0_19identity_decomposerENS1_16block_id_wrapperIjLb0EEEEE10hipError_tT1_PNSt15iterator_traitsISN_E10value_typeET2_T3_PNSO_IST_E10value_typeET4_T5_PSY_SZ_PNS1_23onesweep_lookback_stateEbbT6_jjT7_P12ihipStream_tbENKUlT_T0_SN_SS_E_clISG_SG_SI_SI_EEDaS16_S17_SN_SS_EUlS16_E_NS1_11comp_targetILNS1_3genE4ELNS1_11target_archE910ELNS1_3gpuE8ELNS1_3repE0EEENS1_47radix_sort_onesweep_sort_config_static_selectorELNS0_4arch9wavefront6targetE1EEEvSN_,@function
_ZN7rocprim17ROCPRIM_400000_NS6detail17trampoline_kernelINS0_14default_configENS1_35radix_sort_onesweep_config_selectorIjN6thrust23THRUST_200600_302600_NS5tupleIffNS6_9null_typeES8_S8_S8_S8_S8_S8_S8_EEEEZZNS1_29radix_sort_onesweep_iterationIS3_Lb0ENS6_6detail15normal_iteratorINS6_10device_ptrIjEEEESG_NSD_INSE_IS9_EEEESI_jNS0_19identity_decomposerENS1_16block_id_wrapperIjLb0EEEEE10hipError_tT1_PNSt15iterator_traitsISN_E10value_typeET2_T3_PNSO_IST_E10value_typeET4_T5_PSY_SZ_PNS1_23onesweep_lookback_stateEbbT6_jjT7_P12ihipStream_tbENKUlT_T0_SN_SS_E_clISG_SG_SI_SI_EEDaS16_S17_SN_SS_EUlS16_E_NS1_11comp_targetILNS1_3genE4ELNS1_11target_archE910ELNS1_3gpuE8ELNS1_3repE0EEENS1_47radix_sort_onesweep_sort_config_static_selectorELNS0_4arch9wavefront6targetE1EEEvSN_: ; @_ZN7rocprim17ROCPRIM_400000_NS6detail17trampoline_kernelINS0_14default_configENS1_35radix_sort_onesweep_config_selectorIjN6thrust23THRUST_200600_302600_NS5tupleIffNS6_9null_typeES8_S8_S8_S8_S8_S8_S8_EEEEZZNS1_29radix_sort_onesweep_iterationIS3_Lb0ENS6_6detail15normal_iteratorINS6_10device_ptrIjEEEESG_NSD_INSE_IS9_EEEESI_jNS0_19identity_decomposerENS1_16block_id_wrapperIjLb0EEEEE10hipError_tT1_PNSt15iterator_traitsISN_E10value_typeET2_T3_PNSO_IST_E10value_typeET4_T5_PSY_SZ_PNS1_23onesweep_lookback_stateEbbT6_jjT7_P12ihipStream_tbENKUlT_T0_SN_SS_E_clISG_SG_SI_SI_EEDaS16_S17_SN_SS_EUlS16_E_NS1_11comp_targetILNS1_3genE4ELNS1_11target_archE910ELNS1_3gpuE8ELNS1_3repE0EEENS1_47radix_sort_onesweep_sort_config_static_selectorELNS0_4arch9wavefront6targetE1EEEvSN_
; %bb.0:
	s_load_dwordx8 s[40:47], s[4:5], 0x0
	s_load_dwordx4 s[52:55], s[4:5], 0x44
	s_load_dwordx4 s[48:51], s[4:5], 0x28
	s_load_dwordx2 s[56:57], s[4:5], 0x38
	v_mbcnt_lo_u32_b32 v1, -1, 0
	s_waitcnt lgkmcnt(0)
	s_cmp_ge_u32 s6, s54
	s_cbranch_scc0 .LBB206_95
; %bb.1:
	s_load_dword s0, s[4:5], 0x20
	s_lshl_b32 s1, s54, 13
	s_lshl_b32 s54, s6, 13
	s_mov_b32 s55, 0
	v_and_b32_e32 v18, 0x3ff, v0
	s_waitcnt lgkmcnt(0)
	s_sub_i32 s7, s0, s1
	s_lshl_b64 s[0:1], s[54:55], 2
	v_mbcnt_hi_u32_b32 v6, -1, v1
	s_add_u32 s0, s40, s0
	v_and_b32_e32 v22, 63, v6
	v_lshlrev_b32_e32 v2, 4, v18
	s_addc_u32 s1, s41, s1
	v_and_b32_e32 v19, 0x1c00, v2
	v_lshlrev_b32_e32 v2, 2, v22
	v_mov_b32_e32 v3, s1
	v_add_co_u32_e32 v2, vcc, s0, v2
	v_addc_co_u32_e32 v3, vcc, 0, v3, vcc
	v_lshlrev_b32_e32 v4, 2, v19
	v_add_co_u32_e32 v2, vcc, v2, v4
	v_or_b32_e32 v4, v22, v19
	v_addc_co_u32_e32 v3, vcc, 0, v3, vcc
	v_cmp_gt_u32_e64 s[30:31], s7, v4
	v_mov_b32_e32 v23, -1
	v_mov_b32_e32 v24, -1
	s_and_saveexec_b64 s[0:1], s[30:31]
	s_cbranch_execz .LBB206_3
; %bb.2:
	global_load_dword v24, v[2:3], off
.LBB206_3:
	s_or_b64 exec, exec, s[0:1]
	v_or_b32_e32 v5, 64, v4
	v_cmp_gt_u32_e64 s[28:29], s7, v5
	v_mov_b32_e32 v25, -1
	s_and_saveexec_b64 s[0:1], s[28:29]
	s_cbranch_execz .LBB206_5
; %bb.4:
	global_load_dword v25, v[2:3], off offset:256
.LBB206_5:
	s_or_b64 exec, exec, s[0:1]
	v_or_b32_e32 v5, 0x80, v4
	v_cmp_gt_u32_e64 s[26:27], s7, v5
	s_and_saveexec_b64 s[0:1], s[26:27]
	s_cbranch_execz .LBB206_7
; %bb.6:
	global_load_dword v23, v[2:3], off offset:512
.LBB206_7:
	s_or_b64 exec, exec, s[0:1]
	v_or_b32_e32 v5, 0xc0, v4
	v_cmp_gt_u32_e64 s[24:25], s7, v5
	v_mov_b32_e32 v26, -1
	v_mov_b32_e32 v27, -1
	s_and_saveexec_b64 s[0:1], s[24:25]
	s_cbranch_execz .LBB206_9
; %bb.8:
	global_load_dword v27, v[2:3], off offset:768
.LBB206_9:
	s_or_b64 exec, exec, s[0:1]
	v_or_b32_e32 v5, 0x100, v4
	v_cmp_gt_u32_e64 s[22:23], s7, v5
	s_and_saveexec_b64 s[0:1], s[22:23]
	s_cbranch_execz .LBB206_11
; %bb.10:
	global_load_dword v26, v[2:3], off offset:1024
.LBB206_11:
	s_or_b64 exec, exec, s[0:1]
	v_or_b32_e32 v5, 0x140, v4
	v_cmp_gt_u32_e64 s[20:21], s7, v5
	v_mov_b32_e32 v28, -1
	;; [unrolled: 18-line block ×3, first 2 shown]
	v_mov_b32_e32 v31, -1
	s_and_saveexec_b64 s[0:1], s[16:17]
	s_cbranch_execz .LBB206_17
; %bb.16:
	global_load_dword v31, v[2:3], off offset:1792
.LBB206_17:
	s_or_b64 exec, exec, s[0:1]
	v_or_b32_e32 v5, 0x200, v4
	v_cmp_gt_u32_e32 vcc, s7, v5
	s_and_saveexec_b64 s[0:1], vcc
	s_cbranch_execz .LBB206_19
; %bb.18:
	global_load_dword v30, v[2:3], off offset:2048
.LBB206_19:
	s_or_b64 exec, exec, s[0:1]
	v_or_b32_e32 v5, 0x240, v4
	v_cmp_gt_u32_e64 s[14:15], s7, v5
	v_mov_b32_e32 v32, -1
	v_mov_b32_e32 v33, -1
	s_and_saveexec_b64 s[0:1], s[14:15]
	s_cbranch_execz .LBB206_21
; %bb.20:
	global_load_dword v33, v[2:3], off offset:2304
.LBB206_21:
	s_or_b64 exec, exec, s[0:1]
	v_or_b32_e32 v5, 0x280, v4
	v_cmp_gt_u32_e64 s[12:13], s7, v5
	s_and_saveexec_b64 s[0:1], s[12:13]
	s_cbranch_execz .LBB206_23
; %bb.22:
	global_load_dword v32, v[2:3], off offset:2560
.LBB206_23:
	s_or_b64 exec, exec, s[0:1]
	v_or_b32_e32 v5, 0x2c0, v4
	v_cmp_gt_u32_e64 s[10:11], s7, v5
	v_mov_b32_e32 v34, -1
	v_mov_b32_e32 v35, -1
	s_and_saveexec_b64 s[0:1], s[10:11]
	s_cbranch_execz .LBB206_25
; %bb.24:
	global_load_dword v35, v[2:3], off offset:2816
.LBB206_25:
	s_or_b64 exec, exec, s[0:1]
	v_or_b32_e32 v5, 0x300, v4
	v_cmp_gt_u32_e64 s[8:9], s7, v5
	s_and_saveexec_b64 s[0:1], s[8:9]
	;; [unrolled: 18-line block ×3, first 2 shown]
	s_cbranch_execz .LBB206_31
; %bb.30:
	global_load_dword v36, v[2:3], off offset:3584
.LBB206_31:
	s_or_b64 exec, exec, s[0:1]
	v_or_b32_e32 v4, 0x3c0, v4
	v_cmp_gt_u32_e64 s[0:1], s7, v4
	v_mov_b32_e32 v38, -1
	s_and_saveexec_b64 s[34:35], s[0:1]
	s_cbranch_execz .LBB206_33
; %bb.32:
	global_load_dword v38, v[2:3], off offset:3840
.LBB206_33:
	s_or_b64 exec, exec, s[34:35]
	s_load_dword s34, s[4:5], 0x64
	s_load_dword s33, s[4:5], 0x58
	s_add_u32 s35, s4, 0x58
	s_addc_u32 s38, s5, 0
	v_mov_b32_e32 v2, 0
	s_waitcnt lgkmcnt(0)
	s_lshr_b32 s39, s34, 16
	s_cmp_lt_u32 s6, s33
	s_cselect_b32 s34, 12, 18
	s_add_u32 s34, s35, s34
	s_addc_u32 s35, s38, 0
	global_load_ushort v4, v2, s[34:35]
	s_lshl_b32 s34, -1, s53
	s_waitcnt vmcnt(1)
	v_lshrrev_b32_e32 v8, s52, v24
	s_not_b32 s66, s34
	v_and_b32_e32 v8, s66, v8
	v_and_b32_e32 v10, 1, v8
	v_bfe_u32 v3, v0, 10, 10
	v_bfe_u32 v5, v0, 20, 10
	v_add_co_u32_e64 v11, s[34:35], -1, v10
	v_mad_u32_u24 v5, v5, s39, v3
	v_lshlrev_b32_e32 v3, 30, v8
	v_addc_co_u32_e64 v12, s[34:35], 0, -1, s[34:35]
	v_cmp_ne_u32_e64 s[34:35], 0, v10
	v_cmp_gt_i64_e64 s[38:39], 0, v[2:3]
	v_not_b32_e32 v10, v3
	v_lshlrev_b32_e32 v3, 29, v8
	v_xor_b32_e32 v12, s35, v12
	v_xor_b32_e32 v11, s34, v11
	v_ashrrev_i32_e32 v10, 31, v10
	v_cmp_gt_i64_e64 s[34:35], 0, v[2:3]
	v_not_b32_e32 v13, v3
	v_lshlrev_b32_e32 v3, 28, v8
	v_and_b32_e32 v12, exec_hi, v12
	v_and_b32_e32 v11, exec_lo, v11
	v_xor_b32_e32 v14, s39, v10
	v_xor_b32_e32 v10, s38, v10
	v_ashrrev_i32_e32 v13, 31, v13
	v_cmp_gt_i64_e64 s[38:39], 0, v[2:3]
	v_not_b32_e32 v15, v3
	v_lshlrev_b32_e32 v3, 27, v8
	v_and_b32_e32 v12, v12, v14
	v_and_b32_e32 v10, v11, v10
	v_xor_b32_e32 v11, s35, v13
	v_xor_b32_e32 v13, s34, v13
	v_ashrrev_i32_e32 v14, 31, v15
	v_cmp_gt_i64_e64 s[34:35], 0, v[2:3]
	v_not_b32_e32 v15, v3
	v_lshlrev_b32_e32 v3, 26, v8
	v_and_b32_e32 v11, v12, v11
	v_and_b32_e32 v10, v10, v13
	;; [unrolled: 8-line block ×3, first 2 shown]
	v_xor_b32_e32 v12, s35, v14
	v_xor_b32_e32 v13, s34, v14
	v_ashrrev_i32_e32 v14, 31, v15
	v_cmp_gt_i64_e64 s[34:35], 0, v[2:3]
	v_not_b32_e32 v15, v3
	v_lshlrev_b32_e32 v3, 24, v8
	v_lshl_add_u32 v9, v8, 3, v8
	v_and_b32_e32 v8, v11, v12
	v_and_b32_e32 v10, v10, v13
	v_xor_b32_e32 v11, s39, v14
	v_xor_b32_e32 v12, s38, v14
	v_ashrrev_i32_e32 v13, 31, v15
	v_cmp_gt_i64_e64 s[38:39], 0, v[2:3]
	v_not_b32_e32 v3, v3
	v_and_b32_e32 v8, v8, v11
	v_and_b32_e32 v10, v10, v12
	v_xor_b32_e32 v11, s35, v13
	v_xor_b32_e32 v12, s34, v13
	v_ashrrev_i32_e32 v3, 31, v3
	v_and_b32_e32 v8, v8, v11
	v_and_b32_e32 v10, v10, v12
	v_mul_u32_u24_e32 v7, 5, v18
	v_lshlrev_b32_e32 v7, 2, v7
	ds_write2_b32 v7, v2, v2 offset0:8 offset1:9
	ds_write2_b32 v7, v2, v2 offset0:10 offset1:11
	ds_write_b32 v7, v2 offset:48
	s_waitcnt lgkmcnt(0)
	s_barrier
	s_waitcnt lgkmcnt(0)
	; wave barrier
	s_waitcnt vmcnt(0)
	v_mad_u64_u32 v[4:5], s[34:35], v5, v4, v[18:19]
	v_lshrrev_b32_e32 v21, 6, v4
	v_xor_b32_e32 v4, s39, v3
	v_xor_b32_e32 v3, s38, v3
	v_and_b32_e32 v5, v8, v4
	v_and_b32_e32 v4, v10, v3
	v_mbcnt_lo_u32_b32 v3, v4, 0
	v_mbcnt_hi_u32_b32 v8, v5, v3
	v_cmp_eq_u32_e64 s[34:35], 0, v8
	v_cmp_ne_u64_e64 s[38:39], 0, v[4:5]
	v_add_lshl_u32 v12, v21, v9, 2
	s_and_b64 s[38:39], s[38:39], s[34:35]
	s_and_saveexec_b64 s[34:35], s[38:39]
	s_cbranch_execz .LBB206_35
; %bb.34:
	v_bcnt_u32_b32 v3, v4, 0
	v_bcnt_u32_b32 v3, v5, v3
	ds_write_b32 v12, v3 offset:32
.LBB206_35:
	s_or_b64 exec, exec, s[34:35]
	v_lshrrev_b32_e32 v3, s52, v25
	v_and_b32_e32 v4, s66, v3
	v_lshl_add_u32 v3, v4, 3, v4
	v_add_lshl_u32 v13, v21, v3, 2
	v_and_b32_e32 v3, 1, v4
	v_add_co_u32_e64 v5, s[34:35], -1, v3
	v_addc_co_u32_e64 v10, s[34:35], 0, -1, s[34:35]
	v_cmp_ne_u32_e64 s[34:35], 0, v3
	v_xor_b32_e32 v3, s35, v10
	v_and_b32_e32 v10, exec_hi, v3
	v_lshlrev_b32_e32 v3, 30, v4
	v_xor_b32_e32 v5, s34, v5
	v_cmp_gt_i64_e64 s[34:35], 0, v[2:3]
	v_not_b32_e32 v3, v3
	v_ashrrev_i32_e32 v3, 31, v3
	v_and_b32_e32 v5, exec_lo, v5
	v_xor_b32_e32 v11, s35, v3
	v_xor_b32_e32 v3, s34, v3
	v_and_b32_e32 v5, v5, v3
	v_lshlrev_b32_e32 v3, 29, v4
	v_cmp_gt_i64_e64 s[34:35], 0, v[2:3]
	v_not_b32_e32 v3, v3
	v_ashrrev_i32_e32 v3, 31, v3
	v_and_b32_e32 v10, v10, v11
	v_xor_b32_e32 v11, s35, v3
	v_xor_b32_e32 v3, s34, v3
	v_and_b32_e32 v5, v5, v3
	v_lshlrev_b32_e32 v3, 28, v4
	v_cmp_gt_i64_e64 s[34:35], 0, v[2:3]
	v_not_b32_e32 v3, v3
	v_ashrrev_i32_e32 v3, 31, v3
	v_and_b32_e32 v10, v10, v11
	;; [unrolled: 8-line block ×5, first 2 shown]
	v_xor_b32_e32 v11, s35, v3
	v_xor_b32_e32 v3, s34, v3
	v_and_b32_e32 v5, v5, v3
	v_lshlrev_b32_e32 v3, 24, v4
	v_cmp_gt_i64_e64 s[34:35], 0, v[2:3]
	v_not_b32_e32 v2, v3
	v_ashrrev_i32_e32 v2, 31, v2
	v_xor_b32_e32 v3, s35, v2
	v_xor_b32_e32 v2, s34, v2
	; wave barrier
	ds_read_b32 v9, v13 offset:32
	v_and_b32_e32 v10, v10, v11
	v_and_b32_e32 v2, v5, v2
	;; [unrolled: 1-line block ×3, first 2 shown]
	v_mbcnt_lo_u32_b32 v4, v2, 0
	v_mbcnt_hi_u32_b32 v10, v3, v4
	v_cmp_eq_u32_e64 s[34:35], 0, v10
	v_cmp_ne_u64_e64 s[38:39], 0, v[2:3]
	s_and_b64 s[38:39], s[38:39], s[34:35]
	; wave barrier
	s_and_saveexec_b64 s[34:35], s[38:39]
	s_cbranch_execz .LBB206_37
; %bb.36:
	v_bcnt_u32_b32 v2, v2, 0
	v_bcnt_u32_b32 v2, v3, v2
	s_waitcnt lgkmcnt(0)
	v_add_u32_e32 v2, v9, v2
	ds_write_b32 v13, v2 offset:32
.LBB206_37:
	s_or_b64 exec, exec, s[34:35]
	v_lshrrev_b32_e32 v2, s52, v23
	v_and_b32_e32 v4, s66, v2
	v_and_b32_e32 v3, 1, v4
	v_add_co_u32_e64 v5, s[34:35], -1, v3
	v_addc_co_u32_e64 v14, s[34:35], 0, -1, s[34:35]
	v_cmp_ne_u32_e64 s[34:35], 0, v3
	v_lshl_add_u32 v2, v4, 3, v4
	v_xor_b32_e32 v3, s35, v14
	v_add_lshl_u32 v16, v21, v2, 2
	v_mov_b32_e32 v2, 0
	v_and_b32_e32 v14, exec_hi, v3
	v_lshlrev_b32_e32 v3, 30, v4
	v_xor_b32_e32 v5, s34, v5
	v_cmp_gt_i64_e64 s[34:35], 0, v[2:3]
	v_not_b32_e32 v3, v3
	v_ashrrev_i32_e32 v3, 31, v3
	v_and_b32_e32 v5, exec_lo, v5
	v_xor_b32_e32 v15, s35, v3
	v_xor_b32_e32 v3, s34, v3
	v_and_b32_e32 v5, v5, v3
	v_lshlrev_b32_e32 v3, 29, v4
	v_cmp_gt_i64_e64 s[34:35], 0, v[2:3]
	v_not_b32_e32 v3, v3
	v_ashrrev_i32_e32 v3, 31, v3
	v_and_b32_e32 v14, v14, v15
	v_xor_b32_e32 v15, s35, v3
	v_xor_b32_e32 v3, s34, v3
	v_and_b32_e32 v5, v5, v3
	v_lshlrev_b32_e32 v3, 28, v4
	v_cmp_gt_i64_e64 s[34:35], 0, v[2:3]
	v_not_b32_e32 v3, v3
	v_ashrrev_i32_e32 v3, 31, v3
	v_and_b32_e32 v14, v14, v15
	;; [unrolled: 8-line block ×5, first 2 shown]
	v_xor_b32_e32 v15, s35, v3
	v_xor_b32_e32 v3, s34, v3
	v_and_b32_e32 v14, v14, v15
	v_and_b32_e32 v15, v5, v3
	v_lshlrev_b32_e32 v3, 24, v4
	v_cmp_gt_i64_e64 s[34:35], 0, v[2:3]
	v_not_b32_e32 v3, v3
	v_ashrrev_i32_e32 v3, 31, v3
	v_xor_b32_e32 v4, s35, v3
	v_xor_b32_e32 v3, s34, v3
	; wave barrier
	ds_read_b32 v11, v16 offset:32
	v_and_b32_e32 v5, v14, v4
	v_and_b32_e32 v4, v15, v3
	v_mbcnt_lo_u32_b32 v3, v4, 0
	v_mbcnt_hi_u32_b32 v14, v5, v3
	v_cmp_eq_u32_e64 s[34:35], 0, v14
	v_cmp_ne_u64_e64 s[38:39], 0, v[4:5]
	s_and_b64 s[38:39], s[38:39], s[34:35]
	; wave barrier
	s_and_saveexec_b64 s[34:35], s[38:39]
	s_cbranch_execz .LBB206_39
; %bb.38:
	v_bcnt_u32_b32 v3, v4, 0
	v_bcnt_u32_b32 v3, v5, v3
	s_waitcnt lgkmcnt(0)
	v_add_u32_e32 v3, v11, v3
	ds_write_b32 v16, v3 offset:32
.LBB206_39:
	s_or_b64 exec, exec, s[34:35]
	v_lshrrev_b32_e32 v3, s52, v27
	v_and_b32_e32 v4, s66, v3
	v_lshl_add_u32 v3, v4, 3, v4
	v_add_lshl_u32 v39, v21, v3, 2
	v_and_b32_e32 v3, 1, v4
	v_add_co_u32_e64 v5, s[34:35], -1, v3
	v_addc_co_u32_e64 v17, s[34:35], 0, -1, s[34:35]
	v_cmp_ne_u32_e64 s[34:35], 0, v3
	v_xor_b32_e32 v3, s35, v17
	v_and_b32_e32 v17, exec_hi, v3
	v_lshlrev_b32_e32 v3, 30, v4
	v_xor_b32_e32 v5, s34, v5
	v_cmp_gt_i64_e64 s[34:35], 0, v[2:3]
	v_not_b32_e32 v3, v3
	v_ashrrev_i32_e32 v3, 31, v3
	v_and_b32_e32 v5, exec_lo, v5
	v_xor_b32_e32 v20, s35, v3
	v_xor_b32_e32 v3, s34, v3
	v_and_b32_e32 v5, v5, v3
	v_lshlrev_b32_e32 v3, 29, v4
	v_cmp_gt_i64_e64 s[34:35], 0, v[2:3]
	v_not_b32_e32 v3, v3
	v_ashrrev_i32_e32 v3, 31, v3
	v_and_b32_e32 v17, v17, v20
	v_xor_b32_e32 v20, s35, v3
	v_xor_b32_e32 v3, s34, v3
	v_and_b32_e32 v5, v5, v3
	v_lshlrev_b32_e32 v3, 28, v4
	v_cmp_gt_i64_e64 s[34:35], 0, v[2:3]
	v_not_b32_e32 v3, v3
	v_ashrrev_i32_e32 v3, 31, v3
	v_and_b32_e32 v17, v17, v20
	;; [unrolled: 8-line block ×5, first 2 shown]
	v_xor_b32_e32 v20, s35, v3
	v_xor_b32_e32 v3, s34, v3
	v_and_b32_e32 v5, v5, v3
	v_lshlrev_b32_e32 v3, 24, v4
	v_cmp_gt_i64_e64 s[34:35], 0, v[2:3]
	v_not_b32_e32 v2, v3
	v_ashrrev_i32_e32 v2, 31, v2
	v_xor_b32_e32 v3, s35, v2
	v_xor_b32_e32 v2, s34, v2
	; wave barrier
	ds_read_b32 v15, v39 offset:32
	v_and_b32_e32 v17, v17, v20
	v_and_b32_e32 v2, v5, v2
	;; [unrolled: 1-line block ×3, first 2 shown]
	v_mbcnt_lo_u32_b32 v4, v2, 0
	v_mbcnt_hi_u32_b32 v17, v3, v4
	v_cmp_eq_u32_e64 s[34:35], 0, v17
	v_cmp_ne_u64_e64 s[38:39], 0, v[2:3]
	s_and_b64 s[38:39], s[38:39], s[34:35]
	; wave barrier
	s_and_saveexec_b64 s[34:35], s[38:39]
	s_cbranch_execz .LBB206_41
; %bb.40:
	v_bcnt_u32_b32 v2, v2, 0
	v_bcnt_u32_b32 v2, v3, v2
	s_waitcnt lgkmcnt(0)
	v_add_u32_e32 v2, v15, v2
	ds_write_b32 v39, v2 offset:32
.LBB206_41:
	s_or_b64 exec, exec, s[34:35]
	v_lshrrev_b32_e32 v2, s52, v26
	v_and_b32_e32 v4, s66, v2
	v_and_b32_e32 v3, 1, v4
	v_add_co_u32_e64 v5, s[34:35], -1, v3
	v_addc_co_u32_e64 v40, s[34:35], 0, -1, s[34:35]
	v_cmp_ne_u32_e64 s[34:35], 0, v3
	v_lshl_add_u32 v2, v4, 3, v4
	v_xor_b32_e32 v3, s35, v40
	v_add_lshl_u32 v42, v21, v2, 2
	v_mov_b32_e32 v2, 0
	v_and_b32_e32 v40, exec_hi, v3
	v_lshlrev_b32_e32 v3, 30, v4
	v_xor_b32_e32 v5, s34, v5
	v_cmp_gt_i64_e64 s[34:35], 0, v[2:3]
	v_not_b32_e32 v3, v3
	v_ashrrev_i32_e32 v3, 31, v3
	v_and_b32_e32 v5, exec_lo, v5
	v_xor_b32_e32 v41, s35, v3
	v_xor_b32_e32 v3, s34, v3
	v_and_b32_e32 v5, v5, v3
	v_lshlrev_b32_e32 v3, 29, v4
	v_cmp_gt_i64_e64 s[34:35], 0, v[2:3]
	v_not_b32_e32 v3, v3
	v_ashrrev_i32_e32 v3, 31, v3
	v_and_b32_e32 v40, v40, v41
	v_xor_b32_e32 v41, s35, v3
	v_xor_b32_e32 v3, s34, v3
	v_and_b32_e32 v5, v5, v3
	v_lshlrev_b32_e32 v3, 28, v4
	v_cmp_gt_i64_e64 s[34:35], 0, v[2:3]
	v_not_b32_e32 v3, v3
	v_ashrrev_i32_e32 v3, 31, v3
	v_and_b32_e32 v40, v40, v41
	;; [unrolled: 8-line block ×5, first 2 shown]
	v_xor_b32_e32 v41, s35, v3
	v_xor_b32_e32 v3, s34, v3
	v_and_b32_e32 v40, v40, v41
	v_and_b32_e32 v41, v5, v3
	v_lshlrev_b32_e32 v3, 24, v4
	v_cmp_gt_i64_e64 s[34:35], 0, v[2:3]
	v_not_b32_e32 v3, v3
	v_ashrrev_i32_e32 v3, 31, v3
	v_xor_b32_e32 v4, s35, v3
	v_xor_b32_e32 v3, s34, v3
	; wave barrier
	ds_read_b32 v20, v42 offset:32
	v_and_b32_e32 v5, v40, v4
	v_and_b32_e32 v4, v41, v3
	v_mbcnt_lo_u32_b32 v3, v4, 0
	v_mbcnt_hi_u32_b32 v40, v5, v3
	v_cmp_eq_u32_e64 s[34:35], 0, v40
	v_cmp_ne_u64_e64 s[38:39], 0, v[4:5]
	s_and_b64 s[38:39], s[38:39], s[34:35]
	; wave barrier
	s_and_saveexec_b64 s[34:35], s[38:39]
	s_cbranch_execz .LBB206_43
; %bb.42:
	v_bcnt_u32_b32 v3, v4, 0
	v_bcnt_u32_b32 v3, v5, v3
	s_waitcnt lgkmcnt(0)
	v_add_u32_e32 v3, v20, v3
	ds_write_b32 v42, v3 offset:32
.LBB206_43:
	s_or_b64 exec, exec, s[34:35]
	v_lshrrev_b32_e32 v3, s52, v29
	v_and_b32_e32 v4, s66, v3
	v_lshl_add_u32 v3, v4, 3, v4
	v_add_lshl_u32 v45, v21, v3, 2
	v_and_b32_e32 v3, 1, v4
	v_add_co_u32_e64 v5, s[34:35], -1, v3
	v_addc_co_u32_e64 v43, s[34:35], 0, -1, s[34:35]
	v_cmp_ne_u32_e64 s[34:35], 0, v3
	v_xor_b32_e32 v3, s35, v43
	v_and_b32_e32 v43, exec_hi, v3
	v_lshlrev_b32_e32 v3, 30, v4
	v_xor_b32_e32 v5, s34, v5
	v_cmp_gt_i64_e64 s[34:35], 0, v[2:3]
	v_not_b32_e32 v3, v3
	v_ashrrev_i32_e32 v3, 31, v3
	v_and_b32_e32 v5, exec_lo, v5
	v_xor_b32_e32 v44, s35, v3
	v_xor_b32_e32 v3, s34, v3
	v_and_b32_e32 v5, v5, v3
	v_lshlrev_b32_e32 v3, 29, v4
	v_cmp_gt_i64_e64 s[34:35], 0, v[2:3]
	v_not_b32_e32 v3, v3
	v_ashrrev_i32_e32 v3, 31, v3
	v_and_b32_e32 v43, v43, v44
	v_xor_b32_e32 v44, s35, v3
	v_xor_b32_e32 v3, s34, v3
	v_and_b32_e32 v5, v5, v3
	v_lshlrev_b32_e32 v3, 28, v4
	v_cmp_gt_i64_e64 s[34:35], 0, v[2:3]
	v_not_b32_e32 v3, v3
	v_ashrrev_i32_e32 v3, 31, v3
	v_and_b32_e32 v43, v43, v44
	;; [unrolled: 8-line block ×5, first 2 shown]
	v_xor_b32_e32 v44, s35, v3
	v_xor_b32_e32 v3, s34, v3
	v_and_b32_e32 v5, v5, v3
	v_lshlrev_b32_e32 v3, 24, v4
	v_cmp_gt_i64_e64 s[34:35], 0, v[2:3]
	v_not_b32_e32 v2, v3
	v_ashrrev_i32_e32 v2, 31, v2
	v_xor_b32_e32 v3, s35, v2
	v_xor_b32_e32 v2, s34, v2
	; wave barrier
	ds_read_b32 v41, v45 offset:32
	v_and_b32_e32 v43, v43, v44
	v_and_b32_e32 v2, v5, v2
	;; [unrolled: 1-line block ×3, first 2 shown]
	v_mbcnt_lo_u32_b32 v4, v2, 0
	v_mbcnt_hi_u32_b32 v43, v3, v4
	v_cmp_eq_u32_e64 s[34:35], 0, v43
	v_cmp_ne_u64_e64 s[38:39], 0, v[2:3]
	s_and_b64 s[38:39], s[38:39], s[34:35]
	; wave barrier
	s_and_saveexec_b64 s[34:35], s[38:39]
	s_cbranch_execz .LBB206_45
; %bb.44:
	v_bcnt_u32_b32 v2, v2, 0
	v_bcnt_u32_b32 v2, v3, v2
	s_waitcnt lgkmcnt(0)
	v_add_u32_e32 v2, v41, v2
	ds_write_b32 v45, v2 offset:32
.LBB206_45:
	s_or_b64 exec, exec, s[34:35]
	v_lshrrev_b32_e32 v2, s52, v28
	v_and_b32_e32 v4, s66, v2
	v_and_b32_e32 v3, 1, v4
	v_add_co_u32_e64 v5, s[34:35], -1, v3
	v_addc_co_u32_e64 v46, s[34:35], 0, -1, s[34:35]
	v_cmp_ne_u32_e64 s[34:35], 0, v3
	v_lshl_add_u32 v2, v4, 3, v4
	v_xor_b32_e32 v3, s35, v46
	v_add_lshl_u32 v48, v21, v2, 2
	v_mov_b32_e32 v2, 0
	v_and_b32_e32 v46, exec_hi, v3
	v_lshlrev_b32_e32 v3, 30, v4
	v_xor_b32_e32 v5, s34, v5
	v_cmp_gt_i64_e64 s[34:35], 0, v[2:3]
	v_not_b32_e32 v3, v3
	v_ashrrev_i32_e32 v3, 31, v3
	v_and_b32_e32 v5, exec_lo, v5
	v_xor_b32_e32 v47, s35, v3
	v_xor_b32_e32 v3, s34, v3
	v_and_b32_e32 v5, v5, v3
	v_lshlrev_b32_e32 v3, 29, v4
	v_cmp_gt_i64_e64 s[34:35], 0, v[2:3]
	v_not_b32_e32 v3, v3
	v_ashrrev_i32_e32 v3, 31, v3
	v_and_b32_e32 v46, v46, v47
	v_xor_b32_e32 v47, s35, v3
	v_xor_b32_e32 v3, s34, v3
	v_and_b32_e32 v5, v5, v3
	v_lshlrev_b32_e32 v3, 28, v4
	v_cmp_gt_i64_e64 s[34:35], 0, v[2:3]
	v_not_b32_e32 v3, v3
	v_ashrrev_i32_e32 v3, 31, v3
	v_and_b32_e32 v46, v46, v47
	;; [unrolled: 8-line block ×5, first 2 shown]
	v_xor_b32_e32 v47, s35, v3
	v_xor_b32_e32 v3, s34, v3
	v_and_b32_e32 v46, v46, v47
	v_and_b32_e32 v47, v5, v3
	v_lshlrev_b32_e32 v3, 24, v4
	v_cmp_gt_i64_e64 s[34:35], 0, v[2:3]
	v_not_b32_e32 v3, v3
	v_ashrrev_i32_e32 v3, 31, v3
	v_xor_b32_e32 v4, s35, v3
	v_xor_b32_e32 v3, s34, v3
	; wave barrier
	ds_read_b32 v44, v48 offset:32
	v_and_b32_e32 v5, v46, v4
	v_and_b32_e32 v4, v47, v3
	v_mbcnt_lo_u32_b32 v3, v4, 0
	v_mbcnt_hi_u32_b32 v46, v5, v3
	v_cmp_eq_u32_e64 s[34:35], 0, v46
	v_cmp_ne_u64_e64 s[38:39], 0, v[4:5]
	s_and_b64 s[38:39], s[38:39], s[34:35]
	; wave barrier
	s_and_saveexec_b64 s[34:35], s[38:39]
	s_cbranch_execz .LBB206_47
; %bb.46:
	v_bcnt_u32_b32 v3, v4, 0
	v_bcnt_u32_b32 v3, v5, v3
	s_waitcnt lgkmcnt(0)
	v_add_u32_e32 v3, v44, v3
	ds_write_b32 v48, v3 offset:32
.LBB206_47:
	s_or_b64 exec, exec, s[34:35]
	v_lshrrev_b32_e32 v3, s52, v31
	v_and_b32_e32 v4, s66, v3
	v_lshl_add_u32 v3, v4, 3, v4
	v_add_lshl_u32 v51, v21, v3, 2
	v_and_b32_e32 v3, 1, v4
	v_add_co_u32_e64 v5, s[34:35], -1, v3
	v_addc_co_u32_e64 v49, s[34:35], 0, -1, s[34:35]
	v_cmp_ne_u32_e64 s[34:35], 0, v3
	v_xor_b32_e32 v3, s35, v49
	v_and_b32_e32 v49, exec_hi, v3
	v_lshlrev_b32_e32 v3, 30, v4
	v_xor_b32_e32 v5, s34, v5
	v_cmp_gt_i64_e64 s[34:35], 0, v[2:3]
	v_not_b32_e32 v3, v3
	v_ashrrev_i32_e32 v3, 31, v3
	v_and_b32_e32 v5, exec_lo, v5
	v_xor_b32_e32 v50, s35, v3
	v_xor_b32_e32 v3, s34, v3
	v_and_b32_e32 v5, v5, v3
	v_lshlrev_b32_e32 v3, 29, v4
	v_cmp_gt_i64_e64 s[34:35], 0, v[2:3]
	v_not_b32_e32 v3, v3
	v_ashrrev_i32_e32 v3, 31, v3
	v_and_b32_e32 v49, v49, v50
	v_xor_b32_e32 v50, s35, v3
	v_xor_b32_e32 v3, s34, v3
	v_and_b32_e32 v5, v5, v3
	v_lshlrev_b32_e32 v3, 28, v4
	v_cmp_gt_i64_e64 s[34:35], 0, v[2:3]
	v_not_b32_e32 v3, v3
	v_ashrrev_i32_e32 v3, 31, v3
	v_and_b32_e32 v49, v49, v50
	;; [unrolled: 8-line block ×5, first 2 shown]
	v_xor_b32_e32 v50, s35, v3
	v_xor_b32_e32 v3, s34, v3
	v_and_b32_e32 v5, v5, v3
	v_lshlrev_b32_e32 v3, 24, v4
	v_cmp_gt_i64_e64 s[34:35], 0, v[2:3]
	v_not_b32_e32 v2, v3
	v_ashrrev_i32_e32 v2, 31, v2
	v_xor_b32_e32 v3, s35, v2
	v_xor_b32_e32 v2, s34, v2
	; wave barrier
	ds_read_b32 v47, v51 offset:32
	v_and_b32_e32 v49, v49, v50
	v_and_b32_e32 v2, v5, v2
	;; [unrolled: 1-line block ×3, first 2 shown]
	v_mbcnt_lo_u32_b32 v4, v2, 0
	v_mbcnt_hi_u32_b32 v49, v3, v4
	v_cmp_eq_u32_e64 s[34:35], 0, v49
	v_cmp_ne_u64_e64 s[38:39], 0, v[2:3]
	s_and_b64 s[38:39], s[38:39], s[34:35]
	; wave barrier
	s_and_saveexec_b64 s[34:35], s[38:39]
	s_cbranch_execz .LBB206_49
; %bb.48:
	v_bcnt_u32_b32 v2, v2, 0
	v_bcnt_u32_b32 v2, v3, v2
	s_waitcnt lgkmcnt(0)
	v_add_u32_e32 v2, v47, v2
	ds_write_b32 v51, v2 offset:32
.LBB206_49:
	s_or_b64 exec, exec, s[34:35]
	v_lshrrev_b32_e32 v2, s52, v30
	v_and_b32_e32 v4, s66, v2
	v_and_b32_e32 v3, 1, v4
	v_add_co_u32_e64 v5, s[34:35], -1, v3
	v_addc_co_u32_e64 v52, s[34:35], 0, -1, s[34:35]
	v_cmp_ne_u32_e64 s[34:35], 0, v3
	v_lshl_add_u32 v2, v4, 3, v4
	v_xor_b32_e32 v3, s35, v52
	v_add_lshl_u32 v54, v21, v2, 2
	v_mov_b32_e32 v2, 0
	v_and_b32_e32 v52, exec_hi, v3
	v_lshlrev_b32_e32 v3, 30, v4
	v_xor_b32_e32 v5, s34, v5
	v_cmp_gt_i64_e64 s[34:35], 0, v[2:3]
	v_not_b32_e32 v3, v3
	v_ashrrev_i32_e32 v3, 31, v3
	v_and_b32_e32 v5, exec_lo, v5
	v_xor_b32_e32 v53, s35, v3
	v_xor_b32_e32 v3, s34, v3
	v_and_b32_e32 v5, v5, v3
	v_lshlrev_b32_e32 v3, 29, v4
	v_cmp_gt_i64_e64 s[34:35], 0, v[2:3]
	v_not_b32_e32 v3, v3
	v_ashrrev_i32_e32 v3, 31, v3
	v_and_b32_e32 v52, v52, v53
	v_xor_b32_e32 v53, s35, v3
	v_xor_b32_e32 v3, s34, v3
	v_and_b32_e32 v5, v5, v3
	v_lshlrev_b32_e32 v3, 28, v4
	v_cmp_gt_i64_e64 s[34:35], 0, v[2:3]
	v_not_b32_e32 v3, v3
	v_ashrrev_i32_e32 v3, 31, v3
	v_and_b32_e32 v52, v52, v53
	v_xor_b32_e32 v53, s35, v3
	v_xor_b32_e32 v3, s34, v3
	v_and_b32_e32 v5, v5, v3
	v_lshlrev_b32_e32 v3, 27, v4
	v_cmp_gt_i64_e64 s[34:35], 0, v[2:3]
	v_not_b32_e32 v3, v3
	v_ashrrev_i32_e32 v3, 31, v3
	v_and_b32_e32 v52, v52, v53
	v_xor_b32_e32 v53, s35, v3
	v_xor_b32_e32 v3, s34, v3
	v_and_b32_e32 v5, v5, v3
	v_lshlrev_b32_e32 v3, 26, v4
	v_cmp_gt_i64_e64 s[34:35], 0, v[2:3]
	v_not_b32_e32 v3, v3
	v_ashrrev_i32_e32 v3, 31, v3
	v_and_b32_e32 v52, v52, v53
	v_xor_b32_e32 v53, s35, v3
	v_xor_b32_e32 v3, s34, v3
	v_and_b32_e32 v5, v5, v3
	v_lshlrev_b32_e32 v3, 25, v4
	v_cmp_gt_i64_e64 s[34:35], 0, v[2:3]
	v_not_b32_e32 v3, v3
	v_ashrrev_i32_e32 v3, 31, v3
	v_and_b32_e32 v52, v52, v53
	v_xor_b32_e32 v53, s35, v3
	v_xor_b32_e32 v3, s34, v3
	v_and_b32_e32 v52, v52, v53
	v_and_b32_e32 v53, v5, v3
	v_lshlrev_b32_e32 v3, 24, v4
	v_cmp_gt_i64_e64 s[34:35], 0, v[2:3]
	v_not_b32_e32 v3, v3
	v_ashrrev_i32_e32 v3, 31, v3
	v_xor_b32_e32 v4, s35, v3
	v_xor_b32_e32 v3, s34, v3
	; wave barrier
	ds_read_b32 v50, v54 offset:32
	v_and_b32_e32 v5, v52, v4
	v_and_b32_e32 v4, v53, v3
	v_mbcnt_lo_u32_b32 v3, v4, 0
	v_mbcnt_hi_u32_b32 v52, v5, v3
	v_cmp_eq_u32_e64 s[34:35], 0, v52
	v_cmp_ne_u64_e64 s[38:39], 0, v[4:5]
	s_and_b64 s[38:39], s[38:39], s[34:35]
	; wave barrier
	s_and_saveexec_b64 s[34:35], s[38:39]
	s_cbranch_execz .LBB206_51
; %bb.50:
	v_bcnt_u32_b32 v3, v4, 0
	v_bcnt_u32_b32 v3, v5, v3
	s_waitcnt lgkmcnt(0)
	v_add_u32_e32 v3, v50, v3
	ds_write_b32 v54, v3 offset:32
.LBB206_51:
	s_or_b64 exec, exec, s[34:35]
	v_lshrrev_b32_e32 v3, s52, v33
	v_and_b32_e32 v4, s66, v3
	v_lshl_add_u32 v3, v4, 3, v4
	v_add_lshl_u32 v57, v21, v3, 2
	v_and_b32_e32 v3, 1, v4
	v_add_co_u32_e64 v5, s[34:35], -1, v3
	v_addc_co_u32_e64 v55, s[34:35], 0, -1, s[34:35]
	v_cmp_ne_u32_e64 s[34:35], 0, v3
	v_xor_b32_e32 v3, s35, v55
	v_and_b32_e32 v55, exec_hi, v3
	v_lshlrev_b32_e32 v3, 30, v4
	v_xor_b32_e32 v5, s34, v5
	v_cmp_gt_i64_e64 s[34:35], 0, v[2:3]
	v_not_b32_e32 v3, v3
	v_ashrrev_i32_e32 v3, 31, v3
	v_and_b32_e32 v5, exec_lo, v5
	v_xor_b32_e32 v56, s35, v3
	v_xor_b32_e32 v3, s34, v3
	v_and_b32_e32 v5, v5, v3
	v_lshlrev_b32_e32 v3, 29, v4
	v_cmp_gt_i64_e64 s[34:35], 0, v[2:3]
	v_not_b32_e32 v3, v3
	v_ashrrev_i32_e32 v3, 31, v3
	v_and_b32_e32 v55, v55, v56
	v_xor_b32_e32 v56, s35, v3
	v_xor_b32_e32 v3, s34, v3
	v_and_b32_e32 v5, v5, v3
	v_lshlrev_b32_e32 v3, 28, v4
	v_cmp_gt_i64_e64 s[34:35], 0, v[2:3]
	v_not_b32_e32 v3, v3
	v_ashrrev_i32_e32 v3, 31, v3
	v_and_b32_e32 v55, v55, v56
	;; [unrolled: 8-line block ×5, first 2 shown]
	v_xor_b32_e32 v56, s35, v3
	v_xor_b32_e32 v3, s34, v3
	v_and_b32_e32 v5, v5, v3
	v_lshlrev_b32_e32 v3, 24, v4
	v_cmp_gt_i64_e64 s[34:35], 0, v[2:3]
	v_not_b32_e32 v2, v3
	v_ashrrev_i32_e32 v2, 31, v2
	v_xor_b32_e32 v3, s35, v2
	v_xor_b32_e32 v2, s34, v2
	; wave barrier
	ds_read_b32 v53, v57 offset:32
	v_and_b32_e32 v55, v55, v56
	v_and_b32_e32 v2, v5, v2
	;; [unrolled: 1-line block ×3, first 2 shown]
	v_mbcnt_lo_u32_b32 v4, v2, 0
	v_mbcnt_hi_u32_b32 v55, v3, v4
	v_cmp_eq_u32_e64 s[34:35], 0, v55
	v_cmp_ne_u64_e64 s[38:39], 0, v[2:3]
	s_and_b64 s[38:39], s[38:39], s[34:35]
	; wave barrier
	s_and_saveexec_b64 s[34:35], s[38:39]
	s_cbranch_execz .LBB206_53
; %bb.52:
	v_bcnt_u32_b32 v2, v2, 0
	v_bcnt_u32_b32 v2, v3, v2
	s_waitcnt lgkmcnt(0)
	v_add_u32_e32 v2, v53, v2
	ds_write_b32 v57, v2 offset:32
.LBB206_53:
	s_or_b64 exec, exec, s[34:35]
	v_lshrrev_b32_e32 v2, s52, v32
	v_and_b32_e32 v4, s66, v2
	v_and_b32_e32 v3, 1, v4
	v_add_co_u32_e64 v5, s[34:35], -1, v3
	v_addc_co_u32_e64 v58, s[34:35], 0, -1, s[34:35]
	v_cmp_ne_u32_e64 s[34:35], 0, v3
	v_lshl_add_u32 v2, v4, 3, v4
	v_xor_b32_e32 v3, s35, v58
	v_add_lshl_u32 v60, v21, v2, 2
	v_mov_b32_e32 v2, 0
	v_and_b32_e32 v58, exec_hi, v3
	v_lshlrev_b32_e32 v3, 30, v4
	v_xor_b32_e32 v5, s34, v5
	v_cmp_gt_i64_e64 s[34:35], 0, v[2:3]
	v_not_b32_e32 v3, v3
	v_ashrrev_i32_e32 v3, 31, v3
	v_and_b32_e32 v5, exec_lo, v5
	v_xor_b32_e32 v59, s35, v3
	v_xor_b32_e32 v3, s34, v3
	v_and_b32_e32 v5, v5, v3
	v_lshlrev_b32_e32 v3, 29, v4
	v_cmp_gt_i64_e64 s[34:35], 0, v[2:3]
	v_not_b32_e32 v3, v3
	v_ashrrev_i32_e32 v3, 31, v3
	v_and_b32_e32 v58, v58, v59
	v_xor_b32_e32 v59, s35, v3
	v_xor_b32_e32 v3, s34, v3
	v_and_b32_e32 v5, v5, v3
	v_lshlrev_b32_e32 v3, 28, v4
	v_cmp_gt_i64_e64 s[34:35], 0, v[2:3]
	v_not_b32_e32 v3, v3
	v_ashrrev_i32_e32 v3, 31, v3
	v_and_b32_e32 v58, v58, v59
	;; [unrolled: 8-line block ×5, first 2 shown]
	v_xor_b32_e32 v59, s35, v3
	v_xor_b32_e32 v3, s34, v3
	v_and_b32_e32 v58, v58, v59
	v_and_b32_e32 v59, v5, v3
	v_lshlrev_b32_e32 v3, 24, v4
	v_cmp_gt_i64_e64 s[34:35], 0, v[2:3]
	v_not_b32_e32 v3, v3
	v_ashrrev_i32_e32 v3, 31, v3
	v_xor_b32_e32 v4, s35, v3
	v_xor_b32_e32 v3, s34, v3
	; wave barrier
	ds_read_b32 v56, v60 offset:32
	v_and_b32_e32 v5, v58, v4
	v_and_b32_e32 v4, v59, v3
	v_mbcnt_lo_u32_b32 v3, v4, 0
	v_mbcnt_hi_u32_b32 v58, v5, v3
	v_cmp_eq_u32_e64 s[34:35], 0, v58
	v_cmp_ne_u64_e64 s[38:39], 0, v[4:5]
	s_and_b64 s[38:39], s[38:39], s[34:35]
	; wave barrier
	s_and_saveexec_b64 s[34:35], s[38:39]
	s_cbranch_execz .LBB206_55
; %bb.54:
	v_bcnt_u32_b32 v3, v4, 0
	v_bcnt_u32_b32 v3, v5, v3
	s_waitcnt lgkmcnt(0)
	v_add_u32_e32 v3, v56, v3
	ds_write_b32 v60, v3 offset:32
.LBB206_55:
	s_or_b64 exec, exec, s[34:35]
	v_lshrrev_b32_e32 v3, s52, v35
	v_and_b32_e32 v4, s66, v3
	v_lshl_add_u32 v3, v4, 3, v4
	v_add_lshl_u32 v61, v21, v3, 2
	v_and_b32_e32 v3, 1, v4
	v_add_co_u32_e64 v5, s[34:35], -1, v3
	v_addc_co_u32_e64 v62, s[34:35], 0, -1, s[34:35]
	v_cmp_ne_u32_e64 s[34:35], 0, v3
	v_xor_b32_e32 v3, s35, v62
	v_and_b32_e32 v62, exec_hi, v3
	v_lshlrev_b32_e32 v3, 30, v4
	v_xor_b32_e32 v5, s34, v5
	v_cmp_gt_i64_e64 s[34:35], 0, v[2:3]
	v_not_b32_e32 v3, v3
	v_ashrrev_i32_e32 v3, 31, v3
	v_and_b32_e32 v5, exec_lo, v5
	v_xor_b32_e32 v63, s35, v3
	v_xor_b32_e32 v3, s34, v3
	v_and_b32_e32 v5, v5, v3
	v_lshlrev_b32_e32 v3, 29, v4
	v_cmp_gt_i64_e64 s[34:35], 0, v[2:3]
	v_not_b32_e32 v3, v3
	v_ashrrev_i32_e32 v3, 31, v3
	v_and_b32_e32 v62, v62, v63
	v_xor_b32_e32 v63, s35, v3
	v_xor_b32_e32 v3, s34, v3
	v_and_b32_e32 v5, v5, v3
	v_lshlrev_b32_e32 v3, 28, v4
	v_cmp_gt_i64_e64 s[34:35], 0, v[2:3]
	v_not_b32_e32 v3, v3
	v_ashrrev_i32_e32 v3, 31, v3
	v_and_b32_e32 v62, v62, v63
	;; [unrolled: 8-line block ×5, first 2 shown]
	v_xor_b32_e32 v63, s35, v3
	v_xor_b32_e32 v3, s34, v3
	v_and_b32_e32 v5, v5, v3
	v_lshlrev_b32_e32 v3, 24, v4
	v_cmp_gt_i64_e64 s[34:35], 0, v[2:3]
	v_not_b32_e32 v2, v3
	v_ashrrev_i32_e32 v2, 31, v2
	v_xor_b32_e32 v3, s35, v2
	v_xor_b32_e32 v2, s34, v2
	; wave barrier
	ds_read_b32 v59, v61 offset:32
	v_and_b32_e32 v62, v62, v63
	v_and_b32_e32 v2, v5, v2
	;; [unrolled: 1-line block ×3, first 2 shown]
	v_mbcnt_lo_u32_b32 v4, v2, 0
	v_mbcnt_hi_u32_b32 v65, v3, v4
	v_cmp_eq_u32_e64 s[34:35], 0, v65
	v_cmp_ne_u64_e64 s[38:39], 0, v[2:3]
	s_and_b64 s[38:39], s[38:39], s[34:35]
	; wave barrier
	s_and_saveexec_b64 s[34:35], s[38:39]
	s_cbranch_execz .LBB206_57
; %bb.56:
	v_bcnt_u32_b32 v2, v2, 0
	v_bcnt_u32_b32 v2, v3, v2
	s_waitcnt lgkmcnt(0)
	v_add_u32_e32 v2, v59, v2
	ds_write_b32 v61, v2 offset:32
.LBB206_57:
	s_or_b64 exec, exec, s[34:35]
	v_lshrrev_b32_e32 v2, s52, v34
	v_and_b32_e32 v4, s66, v2
	v_and_b32_e32 v3, 1, v4
	v_add_co_u32_e64 v5, s[34:35], -1, v3
	v_addc_co_u32_e64 v63, s[34:35], 0, -1, s[34:35]
	v_cmp_ne_u32_e64 s[34:35], 0, v3
	v_lshl_add_u32 v2, v4, 3, v4
	v_xor_b32_e32 v3, s35, v63
	v_add_lshl_u32 v62, v21, v2, 2
	v_mov_b32_e32 v2, 0
	v_and_b32_e32 v63, exec_hi, v3
	v_lshlrev_b32_e32 v3, 30, v4
	v_xor_b32_e32 v5, s34, v5
	v_cmp_gt_i64_e64 s[34:35], 0, v[2:3]
	v_not_b32_e32 v3, v3
	v_ashrrev_i32_e32 v3, 31, v3
	v_and_b32_e32 v5, exec_lo, v5
	v_xor_b32_e32 v66, s35, v3
	v_xor_b32_e32 v3, s34, v3
	v_and_b32_e32 v5, v5, v3
	v_lshlrev_b32_e32 v3, 29, v4
	v_cmp_gt_i64_e64 s[34:35], 0, v[2:3]
	v_not_b32_e32 v3, v3
	v_ashrrev_i32_e32 v3, 31, v3
	v_and_b32_e32 v63, v63, v66
	v_xor_b32_e32 v66, s35, v3
	v_xor_b32_e32 v3, s34, v3
	v_and_b32_e32 v5, v5, v3
	v_lshlrev_b32_e32 v3, 28, v4
	v_cmp_gt_i64_e64 s[34:35], 0, v[2:3]
	v_not_b32_e32 v3, v3
	v_ashrrev_i32_e32 v3, 31, v3
	v_and_b32_e32 v63, v63, v66
	;; [unrolled: 8-line block ×5, first 2 shown]
	v_xor_b32_e32 v66, s35, v3
	v_xor_b32_e32 v3, s34, v3
	v_and_b32_e32 v63, v63, v66
	v_and_b32_e32 v66, v5, v3
	v_lshlrev_b32_e32 v3, 24, v4
	v_cmp_gt_i64_e64 s[34:35], 0, v[2:3]
	v_not_b32_e32 v3, v3
	v_ashrrev_i32_e32 v3, 31, v3
	v_xor_b32_e32 v4, s35, v3
	v_xor_b32_e32 v3, s34, v3
	; wave barrier
	ds_read_b32 v64, v62 offset:32
	v_and_b32_e32 v5, v63, v4
	v_and_b32_e32 v4, v66, v3
	v_mbcnt_lo_u32_b32 v3, v4, 0
	v_mbcnt_hi_u32_b32 v66, v5, v3
	v_cmp_eq_u32_e64 s[34:35], 0, v66
	v_cmp_ne_u64_e64 s[38:39], 0, v[4:5]
	s_and_b64 s[38:39], s[38:39], s[34:35]
	; wave barrier
	s_and_saveexec_b64 s[34:35], s[38:39]
	s_cbranch_execz .LBB206_59
; %bb.58:
	v_bcnt_u32_b32 v3, v4, 0
	v_bcnt_u32_b32 v3, v5, v3
	s_waitcnt lgkmcnt(0)
	v_add_u32_e32 v3, v64, v3
	ds_write_b32 v62, v3 offset:32
.LBB206_59:
	s_or_b64 exec, exec, s[34:35]
	v_lshrrev_b32_e32 v3, s52, v37
	v_and_b32_e32 v4, s66, v3
	v_lshl_add_u32 v3, v4, 3, v4
	v_add_lshl_u32 v69, v21, v3, 2
	v_and_b32_e32 v3, 1, v4
	v_add_co_u32_e64 v5, s[34:35], -1, v3
	v_addc_co_u32_e64 v67, s[34:35], 0, -1, s[34:35]
	v_cmp_ne_u32_e64 s[34:35], 0, v3
	v_xor_b32_e32 v3, s35, v67
	v_and_b32_e32 v67, exec_hi, v3
	v_lshlrev_b32_e32 v3, 30, v4
	v_xor_b32_e32 v5, s34, v5
	v_cmp_gt_i64_e64 s[34:35], 0, v[2:3]
	v_not_b32_e32 v3, v3
	v_ashrrev_i32_e32 v3, 31, v3
	v_and_b32_e32 v5, exec_lo, v5
	v_xor_b32_e32 v68, s35, v3
	v_xor_b32_e32 v3, s34, v3
	v_and_b32_e32 v5, v5, v3
	v_lshlrev_b32_e32 v3, 29, v4
	v_cmp_gt_i64_e64 s[34:35], 0, v[2:3]
	v_not_b32_e32 v3, v3
	v_ashrrev_i32_e32 v3, 31, v3
	v_and_b32_e32 v67, v67, v68
	v_xor_b32_e32 v68, s35, v3
	v_xor_b32_e32 v3, s34, v3
	v_and_b32_e32 v5, v5, v3
	v_lshlrev_b32_e32 v3, 28, v4
	v_cmp_gt_i64_e64 s[34:35], 0, v[2:3]
	v_not_b32_e32 v3, v3
	v_ashrrev_i32_e32 v3, 31, v3
	v_and_b32_e32 v67, v67, v68
	;; [unrolled: 8-line block ×5, first 2 shown]
	v_xor_b32_e32 v68, s35, v3
	v_xor_b32_e32 v3, s34, v3
	v_and_b32_e32 v5, v5, v3
	v_lshlrev_b32_e32 v3, 24, v4
	v_cmp_gt_i64_e64 s[34:35], 0, v[2:3]
	v_not_b32_e32 v2, v3
	v_ashrrev_i32_e32 v2, 31, v2
	v_xor_b32_e32 v3, s35, v2
	v_xor_b32_e32 v2, s34, v2
	; wave barrier
	ds_read_b32 v63, v69 offset:32
	v_and_b32_e32 v67, v67, v68
	v_and_b32_e32 v2, v5, v2
	v_and_b32_e32 v3, v67, v3
	v_mbcnt_lo_u32_b32 v4, v2, 0
	v_mbcnt_hi_u32_b32 v67, v3, v4
	v_cmp_eq_u32_e64 s[34:35], 0, v67
	v_cmp_ne_u64_e64 s[38:39], 0, v[2:3]
	s_and_b64 s[38:39], s[38:39], s[34:35]
	; wave barrier
	s_and_saveexec_b64 s[34:35], s[38:39]
	s_cbranch_execz .LBB206_61
; %bb.60:
	v_bcnt_u32_b32 v2, v2, 0
	v_bcnt_u32_b32 v2, v3, v2
	s_waitcnt lgkmcnt(0)
	v_add_u32_e32 v2, v63, v2
	ds_write_b32 v69, v2 offset:32
.LBB206_61:
	s_or_b64 exec, exec, s[34:35]
	v_lshrrev_b32_e32 v2, s52, v36
	v_and_b32_e32 v4, s66, v2
	v_and_b32_e32 v3, 1, v4
	v_add_co_u32_e64 v5, s[34:35], -1, v3
	v_addc_co_u32_e64 v70, s[34:35], 0, -1, s[34:35]
	v_cmp_ne_u32_e64 s[34:35], 0, v3
	v_lshl_add_u32 v2, v4, 3, v4
	v_xor_b32_e32 v3, s35, v70
	v_add_lshl_u32 v71, v21, v2, 2
	v_mov_b32_e32 v2, 0
	v_and_b32_e32 v70, exec_hi, v3
	v_lshlrev_b32_e32 v3, 30, v4
	v_xor_b32_e32 v5, s34, v5
	v_cmp_gt_i64_e64 s[34:35], 0, v[2:3]
	v_not_b32_e32 v3, v3
	v_ashrrev_i32_e32 v3, 31, v3
	v_and_b32_e32 v5, exec_lo, v5
	v_xor_b32_e32 v72, s35, v3
	v_xor_b32_e32 v3, s34, v3
	v_and_b32_e32 v5, v5, v3
	v_lshlrev_b32_e32 v3, 29, v4
	v_cmp_gt_i64_e64 s[34:35], 0, v[2:3]
	v_not_b32_e32 v3, v3
	v_ashrrev_i32_e32 v3, 31, v3
	v_and_b32_e32 v70, v70, v72
	v_xor_b32_e32 v72, s35, v3
	v_xor_b32_e32 v3, s34, v3
	v_and_b32_e32 v5, v5, v3
	v_lshlrev_b32_e32 v3, 28, v4
	v_cmp_gt_i64_e64 s[34:35], 0, v[2:3]
	v_not_b32_e32 v3, v3
	v_ashrrev_i32_e32 v3, 31, v3
	v_and_b32_e32 v70, v70, v72
	;; [unrolled: 8-line block ×5, first 2 shown]
	v_xor_b32_e32 v72, s35, v3
	v_xor_b32_e32 v3, s34, v3
	v_and_b32_e32 v70, v70, v72
	v_and_b32_e32 v72, v5, v3
	v_lshlrev_b32_e32 v3, 24, v4
	v_cmp_gt_i64_e64 s[34:35], 0, v[2:3]
	v_not_b32_e32 v3, v3
	v_ashrrev_i32_e32 v3, 31, v3
	v_xor_b32_e32 v4, s35, v3
	v_xor_b32_e32 v3, s34, v3
	; wave barrier
	ds_read_b32 v68, v71 offset:32
	v_and_b32_e32 v5, v70, v4
	v_and_b32_e32 v4, v72, v3
	v_mbcnt_lo_u32_b32 v3, v4, 0
	v_mbcnt_hi_u32_b32 v70, v5, v3
	v_cmp_eq_u32_e64 s[34:35], 0, v70
	v_cmp_ne_u64_e64 s[38:39], 0, v[4:5]
	s_and_b64 s[38:39], s[38:39], s[34:35]
	; wave barrier
	s_and_saveexec_b64 s[34:35], s[38:39]
	s_cbranch_execz .LBB206_63
; %bb.62:
	v_bcnt_u32_b32 v3, v4, 0
	v_bcnt_u32_b32 v3, v5, v3
	s_waitcnt lgkmcnt(0)
	v_add_u32_e32 v3, v68, v3
	ds_write_b32 v71, v3 offset:32
.LBB206_63:
	s_or_b64 exec, exec, s[34:35]
	v_lshrrev_b32_e32 v3, s52, v38
	v_and_b32_e32 v4, s66, v3
	v_lshl_add_u32 v3, v4, 3, v4
	v_add_lshl_u32 v74, v21, v3, 2
	v_and_b32_e32 v3, 1, v4
	v_add_co_u32_e64 v5, s[34:35], -1, v3
	v_addc_co_u32_e64 v72, s[34:35], 0, -1, s[34:35]
	v_cmp_ne_u32_e64 s[34:35], 0, v3
	v_xor_b32_e32 v3, s35, v72
	v_and_b32_e32 v72, exec_hi, v3
	v_lshlrev_b32_e32 v3, 30, v4
	v_xor_b32_e32 v5, s34, v5
	v_cmp_gt_i64_e64 s[34:35], 0, v[2:3]
	v_not_b32_e32 v3, v3
	v_ashrrev_i32_e32 v3, 31, v3
	v_and_b32_e32 v5, exec_lo, v5
	v_xor_b32_e32 v73, s35, v3
	v_xor_b32_e32 v3, s34, v3
	v_and_b32_e32 v5, v5, v3
	v_lshlrev_b32_e32 v3, 29, v4
	v_cmp_gt_i64_e64 s[34:35], 0, v[2:3]
	v_not_b32_e32 v3, v3
	v_ashrrev_i32_e32 v3, 31, v3
	v_and_b32_e32 v72, v72, v73
	v_xor_b32_e32 v73, s35, v3
	v_xor_b32_e32 v3, s34, v3
	v_and_b32_e32 v5, v5, v3
	v_lshlrev_b32_e32 v3, 28, v4
	v_cmp_gt_i64_e64 s[34:35], 0, v[2:3]
	v_not_b32_e32 v3, v3
	v_ashrrev_i32_e32 v3, 31, v3
	v_and_b32_e32 v72, v72, v73
	;; [unrolled: 8-line block ×5, first 2 shown]
	v_xor_b32_e32 v73, s35, v3
	v_xor_b32_e32 v3, s34, v3
	v_and_b32_e32 v5, v5, v3
	v_lshlrev_b32_e32 v3, 24, v4
	v_cmp_gt_i64_e64 s[34:35], 0, v[2:3]
	v_not_b32_e32 v2, v3
	v_ashrrev_i32_e32 v2, 31, v2
	v_xor_b32_e32 v3, s35, v2
	v_xor_b32_e32 v2, s34, v2
	; wave barrier
	ds_read_b32 v21, v74 offset:32
	v_and_b32_e32 v72, v72, v73
	v_and_b32_e32 v2, v5, v2
	;; [unrolled: 1-line block ×3, first 2 shown]
	v_mbcnt_lo_u32_b32 v4, v2, 0
	v_mbcnt_hi_u32_b32 v73, v3, v4
	v_cmp_eq_u32_e64 s[34:35], 0, v73
	v_cmp_ne_u64_e64 s[38:39], 0, v[2:3]
	v_add_u32_e32 v75, 32, v7
	s_and_b64 s[38:39], s[38:39], s[34:35]
	; wave barrier
	s_and_saveexec_b64 s[34:35], s[38:39]
	s_cbranch_execz .LBB206_65
; %bb.64:
	v_bcnt_u32_b32 v2, v2, 0
	v_bcnt_u32_b32 v2, v3, v2
	s_waitcnt lgkmcnt(0)
	v_add_u32_e32 v2, v21, v2
	ds_write_b32 v74, v2 offset:32
.LBB206_65:
	s_or_b64 exec, exec, s[34:35]
	; wave barrier
	s_waitcnt lgkmcnt(0)
	s_barrier
	ds_read2_b32 v[4:5], v7 offset0:8 offset1:9
	ds_read2_b32 v[2:3], v75 offset0:2 offset1:3
	ds_read_b32 v72, v75 offset:16
	s_waitcnt lgkmcnt(1)
	v_add3_u32 v76, v5, v4, v2
	s_waitcnt lgkmcnt(0)
	v_add3_u32 v72, v76, v3, v72
	v_and_b32_e32 v76, 15, v6
	v_cmp_ne_u32_e64 s[34:35], 0, v76
	v_mov_b32_dpp v77, v72 row_shr:1 row_mask:0xf bank_mask:0xf
	v_cndmask_b32_e64 v77, 0, v77, s[34:35]
	v_add_u32_e32 v72, v77, v72
	v_cmp_lt_u32_e64 s[34:35], 1, v76
	s_nop 0
	v_mov_b32_dpp v77, v72 row_shr:2 row_mask:0xf bank_mask:0xf
	v_cndmask_b32_e64 v77, 0, v77, s[34:35]
	v_add_u32_e32 v72, v72, v77
	v_cmp_lt_u32_e64 s[34:35], 3, v76
	s_nop 0
	;; [unrolled: 5-line block ×3, first 2 shown]
	v_mov_b32_dpp v77, v72 row_shr:8 row_mask:0xf bank_mask:0xf
	v_cndmask_b32_e64 v76, 0, v77, s[34:35]
	v_add_u32_e32 v72, v72, v76
	v_bfe_i32 v77, v6, 4, 1
	v_cmp_lt_u32_e64 s[34:35], 31, v6
	v_mov_b32_dpp v76, v72 row_bcast:15 row_mask:0xf bank_mask:0xf
	v_and_b32_e32 v76, v77, v76
	v_add_u32_e32 v72, v72, v76
	v_lshrrev_b32_e32 v77, 6, v18
	s_nop 0
	v_mov_b32_dpp v76, v72 row_bcast:31 row_mask:0xf bank_mask:0xf
	v_cndmask_b32_e64 v76, 0, v76, s[34:35]
	v_add_u32_e32 v76, v72, v76
	v_and_b32_e32 v72, 0x3c0, v18
	v_min_u32_e32 v72, 0x1c0, v72
	v_or_b32_e32 v72, 63, v72
	v_cmp_eq_u32_e64 s[34:35], v72, v18
	s_and_saveexec_b64 s[38:39], s[34:35]
	s_cbranch_execz .LBB206_67
; %bb.66:
	v_lshlrev_b32_e32 v72, 2, v77
	ds_write_b32 v72, v76
.LBB206_67:
	s_or_b64 exec, exec, s[38:39]
	v_cmp_gt_u32_e64 s[34:35], 8, v18
	v_lshlrev_b32_e32 v72, 2, v18
	s_waitcnt lgkmcnt(0)
	s_barrier
	s_and_saveexec_b64 s[58:59], s[34:35]
	s_cbranch_execz .LBB206_69
; %bb.68:
	ds_read_b32 v78, v72
	v_and_b32_e32 v79, 7, v6
	v_cmp_ne_u32_e64 s[34:35], 0, v79
	v_cmp_lt_u32_e64 s[38:39], 1, v79
	s_waitcnt lgkmcnt(0)
	v_mov_b32_dpp v80, v78 row_shr:1 row_mask:0xf bank_mask:0xf
	v_cndmask_b32_e64 v80, 0, v80, s[34:35]
	v_add_u32_e32 v78, v80, v78
	v_cmp_lt_u32_e64 s[34:35], 3, v79
	s_nop 0
	v_mov_b32_dpp v80, v78 row_shr:2 row_mask:0xf bank_mask:0xf
	v_cndmask_b32_e64 v80, 0, v80, s[38:39]
	v_add_u32_e32 v78, v78, v80
	s_nop 1
	v_mov_b32_dpp v80, v78 row_shr:4 row_mask:0xf bank_mask:0xf
	v_cndmask_b32_e64 v79, 0, v80, s[34:35]
	v_add_u32_e32 v78, v78, v79
	ds_write_b32 v72, v78
.LBB206_69:
	s_or_b64 exec, exec, s[58:59]
	v_cmp_lt_u32_e64 s[34:35], 63, v18
	v_mov_b32_e32 v78, 0
	s_waitcnt lgkmcnt(0)
	s_barrier
	s_and_saveexec_b64 s[38:39], s[34:35]
	s_cbranch_execz .LBB206_71
; %bb.70:
	v_lshl_add_u32 v77, v77, 2, -4
	ds_read_b32 v78, v77
.LBB206_71:
	s_or_b64 exec, exec, s[38:39]
	v_add_u32_e32 v77, -1, v6
	v_and_b32_e32 v79, 64, v6
	v_cmp_lt_i32_e64 s[34:35], v77, v79
	v_cndmask_b32_e64 v77, v77, v6, s[34:35]
	s_waitcnt lgkmcnt(0)
	v_add_u32_e32 v76, v78, v76
	v_lshlrev_b32_e32 v77, 2, v77
	ds_bpermute_b32 v76, v77, v76
	v_cmp_eq_u32_e64 s[34:35], 0, v6
	s_waitcnt lgkmcnt(0)
	v_cndmask_b32_e64 v6, v76, v78, s[34:35]
	v_cmp_ne_u32_e64 s[34:35], 0, v18
	v_cndmask_b32_e64 v6, 0, v6, s[34:35]
	v_add_u32_e32 v4, v6, v4
	v_add_u32_e32 v5, v4, v5
	;; [unrolled: 1-line block ×4, first 2 shown]
	ds_write2_b32 v7, v6, v4 offset0:8 offset1:9
	ds_write2_b32 v75, v5, v2 offset0:2 offset1:3
	ds_write_b32 v75, v3 offset:16
	s_waitcnt lgkmcnt(0)
	s_barrier
	ds_read_b32 v76, v12 offset:32
	ds_read_b32 v12, v13 offset:32
	;; [unrolled: 1-line block ×16, first 2 shown]
	s_movk_i32 s34, 0x100
	v_cmp_gt_u32_e64 s[34:35], s34, v18
                                        ; implicit-def: $vgpr54
                                        ; implicit-def: $vgpr57
	s_and_saveexec_b64 s[58:59], s[34:35]
	s_cbranch_execz .LBB206_75
; %bb.72:
	v_mul_u32_u24_e32 v2, 9, v18
	v_lshlrev_b32_e32 v3, 2, v2
	ds_read_b32 v54, v3 offset:32
	s_movk_i32 s38, 0xff
	v_cmp_ne_u32_e64 s[38:39], s38, v18
	v_mov_b32_e32 v2, 0x2000
	s_and_saveexec_b64 s[60:61], s[38:39]
	s_cbranch_execz .LBB206_74
; %bb.73:
	ds_read_b32 v2, v3 offset:68
.LBB206_74:
	s_or_b64 exec, exec, s[60:61]
	s_waitcnt lgkmcnt(0)
	v_sub_u32_e32 v57, v2, v54
.LBB206_75:
	s_or_b64 exec, exec, s[58:59]
	s_waitcnt lgkmcnt(0)
	s_barrier
	s_and_saveexec_b64 s[58:59], s[34:35]
	s_cbranch_execz .LBB206_85
; %bb.76:
	v_lshl_or_b32 v2, s6, 8, v18
	v_mov_b32_e32 v3, 0
	v_lshlrev_b64 v[4:5], 2, v[2:3]
	v_mov_b32_e32 v39, s57
	v_add_co_u32_e64 v4, s[38:39], s56, v4
	v_addc_co_u32_e64 v5, s[38:39], v39, v5, s[38:39]
	v_or_b32_e32 v2, 2.0, v57
	s_mov_b64 s[60:61], 0
	s_brev_b32 s67, 1
	s_mov_b32 s68, s6
	v_mov_b32_e32 v60, 0
	global_store_dword v[4:5], v2, off
                                        ; implicit-def: $sgpr38_sgpr39
	s_branch .LBB206_78
.LBB206_77:                             ;   in Loop: Header=BB206_78 Depth=1
	s_or_b64 exec, exec, s[62:63]
	v_and_b32_e32 v6, 0x3fffffff, v71
	v_add_u32_e32 v60, v6, v60
	v_cmp_eq_u32_e64 s[38:39], s67, v2
	s_and_b64 s[62:63], exec, s[38:39]
	s_or_b64 s[60:61], s[62:63], s[60:61]
	s_andn2_b64 exec, exec, s[60:61]
	s_cbranch_execz .LBB206_84
.LBB206_78:                             ; =>This Loop Header: Depth=1
                                        ;     Child Loop BB206_81 Depth 2
	s_or_b64 s[38:39], s[38:39], exec
	s_cmp_eq_u32 s68, 0
	s_cbranch_scc1 .LBB206_83
; %bb.79:                               ;   in Loop: Header=BB206_78 Depth=1
	s_add_i32 s68, s68, -1
	v_lshl_or_b32 v2, s68, 8, v18
	v_lshlrev_b64 v[6:7], 2, v[2:3]
	v_add_co_u32_e64 v6, s[38:39], s56, v6
	v_addc_co_u32_e64 v7, s[38:39], v39, v7, s[38:39]
	global_load_dword v71, v[6:7], off glc
	s_waitcnt vmcnt(0)
	v_and_b32_e32 v2, -2.0, v71
	v_cmp_eq_u32_e64 s[38:39], 0, v2
	s_and_saveexec_b64 s[62:63], s[38:39]
	s_cbranch_execz .LBB206_77
; %bb.80:                               ;   in Loop: Header=BB206_78 Depth=1
	s_mov_b64 s[64:65], 0
.LBB206_81:                             ;   Parent Loop BB206_78 Depth=1
                                        ; =>  This Inner Loop Header: Depth=2
	global_load_dword v71, v[6:7], off glc
	s_waitcnt vmcnt(0)
	v_and_b32_e32 v2, -2.0, v71
	v_cmp_ne_u32_e64 s[38:39], 0, v2
	s_or_b64 s[64:65], s[38:39], s[64:65]
	s_andn2_b64 exec, exec, s[64:65]
	s_cbranch_execnz .LBB206_81
; %bb.82:                               ;   in Loop: Header=BB206_78 Depth=1
	s_or_b64 exec, exec, s[64:65]
	s_branch .LBB206_77
.LBB206_83:                             ;   in Loop: Header=BB206_78 Depth=1
                                        ; implicit-def: $sgpr68
	s_and_b64 s[62:63], exec, s[38:39]
	s_or_b64 s[60:61], s[62:63], s[60:61]
	s_andn2_b64 exec, exec, s[60:61]
	s_cbranch_execnz .LBB206_78
.LBB206_84:
	s_or_b64 exec, exec, s[60:61]
	v_add_u32_e32 v2, v60, v57
	v_or_b32_e32 v2, 0x80000000, v2
	global_store_dword v[4:5], v2, off
	global_load_dword v2, v72, s[48:49]
	v_sub_u32_e32 v3, v60, v54
	s_waitcnt vmcnt(0)
	v_add_u32_e32 v2, v3, v2
	ds_write_b32 v72, v2
.LBB206_85:
	s_or_b64 exec, exec, s[58:59]
	v_add_u32_e32 v60, v76, v8
	s_movk_i32 s60, 0x400
	v_add_u32_e32 v39, 0x400, v72
	v_add3_u32 v61, v73, v61, v21
	v_add3_u32 v62, v70, v62, v68
	;; [unrolled: 1-line block ×15, first 2 shown]
	s_mov_b32 s61, 0
	v_mov_b32_e32 v21, 0
	s_movk_i32 s62, 0x200
	s_movk_i32 s63, 0x600
	s_mov_b32 s64, 0
	s_mov_b32 s65, 0
                                        ; implicit-def: $vgpr2_vgpr3_vgpr4_vgpr5_vgpr6_vgpr7_vgpr8_vgpr9_vgpr10_vgpr11_vgpr12_vgpr13_vgpr14_vgpr15_vgpr16_vgpr17
	s_branch .LBB206_87
.LBB206_86:                             ;   in Loop: Header=BB206_87 Depth=1
	s_or_b64 exec, exec, s[58:59]
	s_addk_i32 s65, 0x800
	s_addk_i32 s64, 0xf800
	s_add_i32 s61, s61, 4
	s_cmpk_eq_i32 s64, 0xe000
	s_barrier
	s_cbranch_scc1 .LBB206_96
.LBB206_87:                             ; =>This Inner Loop Header: Depth=1
	v_add_u32_e32 v20, s64, v60
	v_min_u32_e32 v20, 0x800, v20
	v_lshlrev_b32_e32 v20, 2, v20
	ds_write_b32 v20, v24 offset:1024
	v_add_u32_e32 v20, s64, v71
	v_min_u32_e32 v20, 0x800, v20
	v_lshlrev_b32_e32 v20, 2, v20
	ds_write_b32 v20, v25 offset:1024
	;; [unrolled: 4-line block ×15, first 2 shown]
	v_add_u32_e32 v20, s64, v61
	v_min_u32_e32 v20, 0x800, v20
	v_add_u32_e32 v40, s65, v18
	v_lshlrev_b32_e32 v20, 2, v20
	v_cmp_gt_u32_e64 s[38:39], s7, v40
	ds_write_b32 v20, v38 offset:1024
	s_waitcnt lgkmcnt(0)
	s_barrier
	s_and_saveexec_b64 s[58:59], s[38:39]
	s_cbranch_execz .LBB206_89
; %bb.88:                               ;   in Loop: Header=BB206_87 Depth=1
	ds_read_b32 v41, v72 offset:1024
	v_mov_b32_e32 v45, s43
	s_waitcnt lgkmcnt(0)
	v_lshrrev_b32_e32 v20, s52, v41
	v_and_b32_e32 v44, s66, v20
	v_lshlrev_b32_e32 v20, 2, v44
	ds_read_b32 v20, v20
	s_waitcnt lgkmcnt(0)
	v_add_u32_e32 v20, v40, v20
	v_lshlrev_b64 v[42:43], 2, v[20:21]
	v_add_co_u32_e64 v42, s[38:39], s42, v42
	v_addc_co_u32_e64 v43, s[38:39], v45, v43, s[38:39]
	global_store_dword v[42:43], v41, off
	s_set_gpr_idx_on s61, gpr_idx(DST)
	v_mov_b32_e32 v2, v44
	s_set_gpr_idx_off
.LBB206_89:                             ;   in Loop: Header=BB206_87 Depth=1
	s_or_b64 exec, exec, s[58:59]
	v_add_u32_e32 v20, 0x200, v40
	v_cmp_gt_u32_e64 s[38:39], s7, v20
	s_and_saveexec_b64 s[58:59], s[38:39]
	s_cbranch_execz .LBB206_91
; %bb.90:                               ;   in Loop: Header=BB206_87 Depth=1
	ds_read_b32 v41, v39 offset:2048
	v_mov_b32_e32 v45, s43
	s_add_i32 s67, s61, 1
	s_waitcnt lgkmcnt(0)
	v_lshrrev_b32_e32 v20, s52, v41
	v_and_b32_e32 v44, s66, v20
	v_lshlrev_b32_e32 v20, 2, v44
	ds_read_b32 v20, v20
	s_waitcnt lgkmcnt(0)
	v_add3_u32 v20, v40, v20, s62
	v_lshlrev_b64 v[42:43], 2, v[20:21]
	v_add_co_u32_e64 v42, s[38:39], s42, v42
	v_addc_co_u32_e64 v43, s[38:39], v45, v43, s[38:39]
	global_store_dword v[42:43], v41, off
	s_set_gpr_idx_on s67, gpr_idx(DST)
	v_mov_b32_e32 v2, v44
	s_set_gpr_idx_off
.LBB206_91:                             ;   in Loop: Header=BB206_87 Depth=1
	s_or_b64 exec, exec, s[58:59]
	v_add_u32_e32 v20, 0x400, v40
	v_cmp_gt_u32_e64 s[38:39], s7, v20
	s_and_saveexec_b64 s[58:59], s[38:39]
	s_cbranch_execz .LBB206_93
; %bb.92:                               ;   in Loop: Header=BB206_87 Depth=1
	ds_read_b32 v41, v39 offset:4096
	v_mov_b32_e32 v45, s43
	s_add_i32 s67, s61, 2
	s_waitcnt lgkmcnt(0)
	v_lshrrev_b32_e32 v20, s52, v41
	v_and_b32_e32 v44, s66, v20
	v_lshlrev_b32_e32 v20, 2, v44
	ds_read_b32 v20, v20
	s_waitcnt lgkmcnt(0)
	v_add3_u32 v20, v40, v20, s60
	v_lshlrev_b64 v[42:43], 2, v[20:21]
	v_add_co_u32_e64 v42, s[38:39], s42, v42
	v_addc_co_u32_e64 v43, s[38:39], v45, v43, s[38:39]
	global_store_dword v[42:43], v41, off
	s_set_gpr_idx_on s67, gpr_idx(DST)
	v_mov_b32_e32 v2, v44
	s_set_gpr_idx_off
.LBB206_93:                             ;   in Loop: Header=BB206_87 Depth=1
	s_or_b64 exec, exec, s[58:59]
	v_add_u32_e32 v20, 0x600, v40
	v_cmp_gt_u32_e64 s[38:39], s7, v20
	s_and_saveexec_b64 s[58:59], s[38:39]
	s_cbranch_execz .LBB206_86
; %bb.94:                               ;   in Loop: Header=BB206_87 Depth=1
	ds_read_b32 v42, v39 offset:6144
	v_mov_b32_e32 v44, s43
	s_add_i32 s67, s61, 3
	s_waitcnt lgkmcnt(0)
	v_lshrrev_b32_e32 v20, s52, v42
	v_and_b32_e32 v43, s66, v20
	v_lshlrev_b32_e32 v20, 2, v43
	ds_read_b32 v20, v20
	s_waitcnt lgkmcnt(0)
	v_add3_u32 v20, v40, v20, s63
	v_lshlrev_b64 v[40:41], 2, v[20:21]
	v_add_co_u32_e64 v40, s[38:39], s42, v40
	v_addc_co_u32_e64 v41, s[38:39], v44, v41, s[38:39]
	global_store_dword v[40:41], v42, off
	s_set_gpr_idx_on s67, gpr_idx(DST)
	v_mov_b32_e32 v2, v43
	s_set_gpr_idx_off
	s_branch .LBB206_86
.LBB206_95:
	s_mov_b64 s[2:3], 0
                                        ; implicit-def: $vgpr2
                                        ; implicit-def: $vgpr18
	s_cbranch_execnz .LBB206_137
	s_branch .LBB206_196
.LBB206_96:
	s_lshl_b64 s[38:39], s[54:55], 3
	s_add_u32 s38, s44, s38
	s_addc_u32 s39, s45, s39
	v_lshlrev_b32_e32 v20, 3, v22
	v_mov_b32_e32 v21, s39
	v_add_co_u32_e64 v20, s[38:39], s38, v20
	v_addc_co_u32_e64 v21, s[38:39], 0, v21, s[38:39]
	v_lshlrev_b32_e32 v19, 3, v19
	v_add_co_u32_e64 v40, s[38:39], v20, v19
	v_addc_co_u32_e64 v41, s[38:39], 0, v21, s[38:39]
	v_mov_b32_e32 v20, 0
	v_mov_b32_e32 v22, 0
	v_mov_b32_e32 v23, 0
	s_and_saveexec_b64 s[38:39], s[30:31]
	s_cbranch_execz .LBB206_98
; %bb.97:
	global_load_dwordx2 v[22:23], v[40:41], off
.LBB206_98:
	s_or_b64 exec, exec, s[38:39]
	v_mov_b32_e32 v21, 0
	s_and_saveexec_b64 s[30:31], s[28:29]
	s_cbranch_execz .LBB206_100
; %bb.99:
	global_load_dwordx2 v[20:21], v[40:41], off offset:512
.LBB206_100:
	s_or_b64 exec, exec, s[30:31]
	v_mov_b32_e32 v24, 0
	v_mov_b32_e32 v26, 0
	v_mov_b32_e32 v27, 0
	s_and_saveexec_b64 s[28:29], s[26:27]
	s_cbranch_execz .LBB206_102
; %bb.101:
	global_load_dwordx2 v[26:27], v[40:41], off offset:1024
.LBB206_102:
	s_or_b64 exec, exec, s[28:29]
	v_mov_b32_e32 v25, 0
	s_and_saveexec_b64 s[26:27], s[24:25]
	s_cbranch_execz .LBB206_104
; %bb.103:
	global_load_dwordx2 v[24:25], v[40:41], off offset:1536
.LBB206_104:
	s_or_b64 exec, exec, s[26:27]
	v_mov_b32_e32 v28, 0
	v_mov_b32_e32 v30, 0
	v_mov_b32_e32 v31, 0
	s_and_saveexec_b64 s[24:25], s[22:23]
	s_cbranch_execz .LBB206_106
; %bb.105:
	global_load_dwordx2 v[30:31], v[40:41], off offset:2048
.LBB206_106:
	;; [unrolled: 16-line block ×3, first 2 shown]
	s_or_b64 exec, exec, s[20:21]
	v_mov_b32_e32 v33, 0
	s_and_saveexec_b64 s[18:19], s[16:17]
	s_cbranch_execz .LBB206_112
; %bb.111:
	global_load_dwordx2 v[32:33], v[40:41], off offset:3584
.LBB206_112:
	s_or_b64 exec, exec, s[18:19]
	v_mov_b32_e32 v36, 0
	v_mov_b32_e32 v38, 0
	v_mov_b32_e32 v39, 0
	s_and_saveexec_b64 s[16:17], vcc
	s_cbranch_execz .LBB206_114
; %bb.113:
	v_add_co_u32_e32 v38, vcc, 0x1000, v40
	v_addc_co_u32_e32 v39, vcc, 0, v41, vcc
	global_load_dwordx2 v[38:39], v[38:39], off
.LBB206_114:
	s_or_b64 exec, exec, s[16:17]
	v_mov_b32_e32 v37, 0
	s_and_saveexec_b64 s[16:17], s[14:15]
	s_cbranch_execz .LBB206_116
; %bb.115:
	v_add_co_u32_e32 v36, vcc, 0x1000, v40
	v_addc_co_u32_e32 v37, vcc, 0, v41, vcc
	global_load_dwordx2 v[36:37], v[36:37], off offset:512
.LBB206_116:
	s_or_b64 exec, exec, s[16:17]
	v_mov_b32_e32 v42, 0
	v_mov_b32_e32 v44, 0
	v_mov_b32_e32 v45, 0
	s_and_saveexec_b64 s[14:15], s[12:13]
	s_cbranch_execz .LBB206_118
; %bb.117:
	v_add_co_u32_e32 v44, vcc, 0x1000, v40
	v_addc_co_u32_e32 v45, vcc, 0, v41, vcc
	global_load_dwordx2 v[44:45], v[44:45], off offset:1024
.LBB206_118:
	s_or_b64 exec, exec, s[14:15]
	v_mov_b32_e32 v43, 0
	s_and_saveexec_b64 s[12:13], s[10:11]
	s_cbranch_execz .LBB206_120
; %bb.119:
	v_add_co_u32_e32 v42, vcc, 0x1000, v40
	v_addc_co_u32_e32 v43, vcc, 0, v41, vcc
	global_load_dwordx2 v[42:43], v[42:43], off offset:1536
.LBB206_120:
	s_or_b64 exec, exec, s[12:13]
	v_mov_b32_e32 v46, 0
	v_mov_b32_e32 v48, 0
	v_mov_b32_e32 v49, 0
	s_and_saveexec_b64 s[10:11], s[8:9]
	s_cbranch_execz .LBB206_122
; %bb.121:
	v_add_co_u32_e32 v48, vcc, 0x1000, v40
	v_addc_co_u32_e32 v49, vcc, 0, v41, vcc
	global_load_dwordx2 v[48:49], v[48:49], off offset:2048
.LBB206_122:
	;; [unrolled: 20-line block ×3, first 2 shown]
	s_or_b64 exec, exec, s[8:9]
	s_mov_b32 s8, 0
	v_mov_b32_e32 v51, 0
	s_and_saveexec_b64 s[2:3], s[0:1]
	s_cbranch_execz .LBB206_128
; %bb.127:
	v_add_co_u32_e32 v40, vcc, 0x1000, v40
	v_addc_co_u32_e32 v41, vcc, 0, v41, vcc
	global_load_dwordx2 v[50:51], v[40:41], off offset:3584
.LBB206_128:
	s_or_b64 exec, exec, s[2:3]
	v_lshlrev_b32_e32 v19, 3, v18
	v_add_u32_e32 v72, 0x400, v19
	v_mov_b32_e32 v41, 0
	s_movk_i32 s2, 0x200
	s_mov_b32 s3, 0
	v_mov_b32_e32 v73, v18
	s_waitcnt vmcnt(0)
	s_branch .LBB206_130
.LBB206_129:                            ;   in Loop: Header=BB206_130 Depth=1
	s_or_b64 exec, exec, s[0:1]
	s_addk_i32 s3, 0xfc00
	s_add_i32 s8, s8, 2
	s_cmpk_eq_i32 s3, 0xe000
	v_add_u32_e32 v73, 0x400, v73
	s_barrier
	s_cbranch_scc1 .LBB206_134
.LBB206_130:                            ; =>This Inner Loop Header: Depth=1
	v_add_u32_e32 v40, s3, v60
	v_min_u32_e32 v40, 0x400, v40
	v_lshlrev_b32_e32 v40, 3, v40
	ds_write_b64 v40, v[22:23] offset:1024
	v_add_u32_e32 v40, s3, v71
	v_min_u32_e32 v40, 0x400, v40
	v_lshlrev_b32_e32 v40, 3, v40
	ds_write_b64 v40, v[20:21] offset:1024
	;; [unrolled: 4-line block ×15, first 2 shown]
	v_add_u32_e32 v40, s3, v61
	v_min_u32_e32 v40, 0x400, v40
	v_lshlrev_b32_e32 v40, 3, v40
	v_cmp_gt_u32_e32 vcc, s7, v73
	ds_write_b64 v40, v[50:51] offset:1024
	s_waitcnt lgkmcnt(0)
	s_barrier
	s_and_saveexec_b64 s[0:1], vcc
	s_cbranch_execz .LBB206_132
; %bb.131:                              ;   in Loop: Header=BB206_130 Depth=1
	s_set_gpr_idx_on s8, gpr_idx(SRC0)
	v_mov_b32_e32 v40, v2
	s_set_gpr_idx_off
	v_lshlrev_b32_e32 v40, 2, v40
	ds_read_b32 v40, v40
	ds_read_b64 v[74:75], v19 offset:1024
	v_mov_b32_e32 v78, s47
	s_waitcnt lgkmcnt(1)
	v_add_u32_e32 v40, v73, v40
	v_lshlrev_b64 v[76:77], 3, v[40:41]
	v_add_co_u32_e32 v76, vcc, s46, v76
	v_addc_co_u32_e32 v77, vcc, v78, v77, vcc
	s_waitcnt lgkmcnt(0)
	global_store_dwordx2 v[76:77], v[74:75], off
.LBB206_132:                            ;   in Loop: Header=BB206_130 Depth=1
	s_or_b64 exec, exec, s[0:1]
	v_add_u32_e32 v40, 0x200, v73
	v_cmp_gt_u32_e32 vcc, s7, v40
	s_and_saveexec_b64 s[0:1], vcc
	s_cbranch_execz .LBB206_129
; %bb.133:                              ;   in Loop: Header=BB206_130 Depth=1
	s_add_i32 s9, s8, 1
	s_set_gpr_idx_on s9, gpr_idx(SRC0)
	v_mov_b32_e32 v40, v2
	s_set_gpr_idx_off
	v_lshlrev_b32_e32 v40, 2, v40
	ds_read_b32 v40, v40
	ds_read_b64 v[74:75], v72 offset:4096
	v_mov_b32_e32 v78, s47
	s_waitcnt lgkmcnt(1)
	v_add3_u32 v40, v73, v40, s2
	v_lshlrev_b64 v[76:77], 3, v[40:41]
	v_add_co_u32_e32 v76, vcc, s46, v76
	v_addc_co_u32_e32 v77, vcc, v78, v77, vcc
	s_waitcnt lgkmcnt(0)
	global_store_dwordx2 v[76:77], v[74:75], off
	s_branch .LBB206_129
.LBB206_134:
	s_add_i32 s33, s33, -1
	s_cmp_eq_u32 s33, s6
	s_cselect_b64 s[0:1], -1, 0
	s_and_b64 s[8:9], s[34:35], s[0:1]
	s_mov_b64 s[0:1], 0
	s_mov_b64 s[2:3], 0
                                        ; implicit-def: $vgpr2
	s_and_saveexec_b64 s[10:11], s[8:9]
	s_xor_b64 s[8:9], exec, s[10:11]
; %bb.135:
	s_mov_b64 s[2:3], exec
	v_add_u32_e32 v2, v54, v57
; %bb.136:
	s_or_b64 exec, exec, s[8:9]
	s_and_b64 vcc, exec, s[0:1]
	s_cbranch_vccz .LBB206_196
.LBB206_137:
	v_and_b32_e32 v18, 0x3ff, v0
	s_lshl_b32 s8, s6, 13
	s_mov_b32 s9, 0
	v_mbcnt_hi_u32_b32 v4, -1, v1
	s_lshl_b64 s[0:1], s[8:9], 2
	v_and_b32_e32 v20, 63, v4
	v_lshlrev_b32_e32 v1, 4, v18
	s_add_u32 s0, s40, s0
	v_and_b32_e32 v19, 0x1c00, v1
	v_lshlrev_b32_e32 v1, 2, v20
	v_add_co_u32_e32 v1, vcc, s0, v1
	s_load_dword s7, s[4:5], 0x58
	s_load_dword s0, s[4:5], 0x64
	s_addc_u32 s1, s41, s1
	v_mov_b32_e32 v3, s1
	s_add_u32 s1, s4, 0x58
	v_addc_co_u32_e32 v3, vcc, 0, v3, vcc
	v_lshlrev_b32_e32 v5, 2, v19
	s_addc_u32 s4, s5, 0
	s_waitcnt lgkmcnt(0)
	s_lshr_b32 s5, s0, 16
	v_add_co_u32_e32 v6, vcc, v1, v5
	s_cmp_lt_u32 s6, s7
	v_addc_co_u32_e32 v7, vcc, 0, v3, vcc
	s_cselect_b32 s0, 12, 18
	global_load_dword v21, v[6:7], off
	s_add_u32 s0, s1, s0
	v_mov_b32_e32 v2, 0
	s_addc_u32 s1, s4, 0
	global_load_ushort v1, v2, s[0:1]
	v_mul_u32_u24_e32 v5, 5, v18
	v_lshlrev_b32_e32 v5, 2, v5
	ds_write2_b32 v5, v2, v2 offset0:8 offset1:9
	ds_write2_b32 v5, v2, v2 offset0:10 offset1:11
	ds_write_b32 v5, v2 offset:48
	global_load_dword v22, v[6:7], off offset:256
	global_load_dword v23, v[6:7], off offset:512
	;; [unrolled: 1-line block ×15, first 2 shown]
	v_bfe_u32 v3, v0, 10, 10
	v_bfe_u32 v0, v0, 20, 10
	s_lshl_b32 s0, -1, s53
	v_mad_u32_u24 v0, v0, s5, v3
	s_not_b32 s16, s0
	s_waitcnt lgkmcnt(0)
	s_barrier
	s_waitcnt lgkmcnt(0)
	; wave barrier
	s_waitcnt vmcnt(16)
	v_lshrrev_b32_e32 v3, s52, v21
	v_and_b32_e32 v6, s16, v3
	v_and_b32_e32 v8, 1, v6
	v_lshlrev_b32_e32 v3, 30, v6
	s_waitcnt vmcnt(15)
	v_mad_u64_u32 v[0:1], s[0:1], v0, v1, v[18:19]
	v_add_co_u32_e32 v1, vcc, -1, v8
	v_addc_co_u32_e64 v9, s[0:1], 0, -1, vcc
	v_cmp_ne_u32_e32 vcc, 0, v8
	v_cmp_gt_i64_e64 s[0:1], 0, v[2:3]
	v_not_b32_e32 v8, v3
	v_lshlrev_b32_e32 v3, 29, v6
	v_lshl_add_u32 v7, v6, 3, v6
	v_lshrrev_b32_e32 v16, 6, v0
	v_xor_b32_e32 v0, vcc_hi, v9
	v_xor_b32_e32 v1, vcc_lo, v1
	v_ashrrev_i32_e32 v8, 31, v8
	v_not_b32_e32 v10, v3
	v_cmp_gt_i64_e32 vcc, 0, v[2:3]
	v_lshlrev_b32_e32 v3, 28, v6
	v_add_lshl_u32 v9, v16, v7, 2
	v_and_b32_e32 v0, exec_hi, v0
	v_and_b32_e32 v1, exec_lo, v1
	v_xor_b32_e32 v7, s1, v8
	v_xor_b32_e32 v8, s0, v8
	v_ashrrev_i32_e32 v10, 31, v10
	v_and_b32_e32 v0, v0, v7
	v_and_b32_e32 v1, v1, v8
	v_xor_b32_e32 v7, vcc_hi, v10
	v_xor_b32_e32 v8, vcc_lo, v10
	v_cmp_gt_i64_e32 vcc, 0, v[2:3]
	v_not_b32_e32 v3, v3
	v_ashrrev_i32_e32 v3, 31, v3
	v_and_b32_e32 v0, v0, v7
	v_and_b32_e32 v1, v1, v8
	v_xor_b32_e32 v7, vcc_hi, v3
	v_xor_b32_e32 v3, vcc_lo, v3
	v_and_b32_e32 v1, v1, v3
	v_lshlrev_b32_e32 v3, 27, v6
	v_cmp_gt_i64_e32 vcc, 0, v[2:3]
	v_not_b32_e32 v3, v3
	v_ashrrev_i32_e32 v3, 31, v3
	v_and_b32_e32 v0, v0, v7
	v_xor_b32_e32 v7, vcc_hi, v3
	v_xor_b32_e32 v3, vcc_lo, v3
	v_and_b32_e32 v1, v1, v3
	v_lshlrev_b32_e32 v3, 26, v6
	v_cmp_gt_i64_e32 vcc, 0, v[2:3]
	v_not_b32_e32 v3, v3
	v_ashrrev_i32_e32 v3, 31, v3
	v_and_b32_e32 v0, v0, v7
	v_xor_b32_e32 v7, vcc_hi, v3
	v_xor_b32_e32 v3, vcc_lo, v3
	v_and_b32_e32 v1, v1, v3
	v_lshlrev_b32_e32 v3, 25, v6
	v_cmp_gt_i64_e32 vcc, 0, v[2:3]
	v_not_b32_e32 v3, v3
	v_ashrrev_i32_e32 v3, 31, v3
	v_and_b32_e32 v0, v0, v7
	v_xor_b32_e32 v7, vcc_hi, v3
	v_xor_b32_e32 v3, vcc_lo, v3
	v_and_b32_e32 v0, v0, v7
	v_and_b32_e32 v7, v1, v3
	v_lshlrev_b32_e32 v3, 24, v6
	v_not_b32_e32 v1, v3
	v_cmp_gt_i64_e32 vcc, 0, v[2:3]
	v_ashrrev_i32_e32 v1, 31, v1
	v_xor_b32_e32 v3, vcc_hi, v1
	v_xor_b32_e32 v6, vcc_lo, v1
	v_and_b32_e32 v1, v0, v3
	v_and_b32_e32 v0, v7, v6
	v_mbcnt_lo_u32_b32 v3, v0, 0
	v_mbcnt_hi_u32_b32 v6, v1, v3
	v_cmp_eq_u32_e32 vcc, 0, v6
	v_cmp_ne_u64_e64 s[0:1], 0, v[0:1]
	s_and_b64 s[4:5], s[0:1], vcc
	s_and_saveexec_b64 s[0:1], s[4:5]
	s_cbranch_execz .LBB206_139
; %bb.138:
	v_bcnt_u32_b32 v0, v0, 0
	v_bcnt_u32_b32 v0, v1, v0
	ds_write_b32 v9, v0 offset:32
.LBB206_139:
	s_or_b64 exec, exec, s[0:1]
	s_waitcnt vmcnt(14)
	v_lshrrev_b32_e32 v0, s52, v22
	v_and_b32_e32 v0, s16, v0
	v_lshl_add_u32 v1, v0, 3, v0
	v_add_lshl_u32 v11, v16, v1, 2
	v_and_b32_e32 v1, 1, v0
	v_add_co_u32_e32 v3, vcc, -1, v1
	v_addc_co_u32_e64 v8, s[0:1], 0, -1, vcc
	v_cmp_ne_u32_e32 vcc, 0, v1
	v_xor_b32_e32 v3, vcc_lo, v3
	v_xor_b32_e32 v1, vcc_hi, v8
	v_and_b32_e32 v8, exec_lo, v3
	v_lshlrev_b32_e32 v3, 30, v0
	v_cmp_gt_i64_e32 vcc, 0, v[2:3]
	v_not_b32_e32 v3, v3
	v_ashrrev_i32_e32 v3, 31, v3
	v_xor_b32_e32 v10, vcc_hi, v3
	v_xor_b32_e32 v3, vcc_lo, v3
	v_and_b32_e32 v8, v8, v3
	v_lshlrev_b32_e32 v3, 29, v0
	v_cmp_gt_i64_e32 vcc, 0, v[2:3]
	v_not_b32_e32 v3, v3
	v_and_b32_e32 v1, exec_hi, v1
	v_ashrrev_i32_e32 v3, 31, v3
	v_and_b32_e32 v1, v1, v10
	v_xor_b32_e32 v10, vcc_hi, v3
	v_xor_b32_e32 v3, vcc_lo, v3
	v_and_b32_e32 v8, v8, v3
	v_lshlrev_b32_e32 v3, 28, v0
	v_cmp_gt_i64_e32 vcc, 0, v[2:3]
	v_not_b32_e32 v3, v3
	v_ashrrev_i32_e32 v3, 31, v3
	v_and_b32_e32 v1, v1, v10
	v_xor_b32_e32 v10, vcc_hi, v3
	v_xor_b32_e32 v3, vcc_lo, v3
	v_and_b32_e32 v8, v8, v3
	v_lshlrev_b32_e32 v3, 27, v0
	v_cmp_gt_i64_e32 vcc, 0, v[2:3]
	v_not_b32_e32 v3, v3
	;; [unrolled: 8-line block ×4, first 2 shown]
	v_ashrrev_i32_e32 v3, 31, v3
	v_and_b32_e32 v1, v1, v10
	v_xor_b32_e32 v10, vcc_hi, v3
	v_xor_b32_e32 v3, vcc_lo, v3
	v_and_b32_e32 v8, v8, v3
	v_lshlrev_b32_e32 v3, 24, v0
	v_not_b32_e32 v0, v3
	v_cmp_gt_i64_e32 vcc, 0, v[2:3]
	v_ashrrev_i32_e32 v0, 31, v0
	v_xor_b32_e32 v2, vcc_hi, v0
	v_xor_b32_e32 v0, vcc_lo, v0
	; wave barrier
	ds_read_b32 v7, v11 offset:32
	v_and_b32_e32 v1, v1, v10
	v_and_b32_e32 v0, v8, v0
	v_and_b32_e32 v1, v1, v2
	v_mbcnt_lo_u32_b32 v2, v0, 0
	v_mbcnt_hi_u32_b32 v8, v1, v2
	v_cmp_eq_u32_e32 vcc, 0, v8
	v_cmp_ne_u64_e64 s[0:1], 0, v[0:1]
	s_and_b64 s[4:5], s[0:1], vcc
	; wave barrier
	s_and_saveexec_b64 s[0:1], s[4:5]
	s_cbranch_execz .LBB206_141
; %bb.140:
	v_bcnt_u32_b32 v0, v0, 0
	v_bcnt_u32_b32 v0, v1, v0
	s_waitcnt lgkmcnt(0)
	v_add_u32_e32 v0, v7, v0
	ds_write_b32 v11, v0 offset:32
.LBB206_141:
	s_or_b64 exec, exec, s[0:1]
	s_waitcnt vmcnt(13)
	v_lshrrev_b32_e32 v0, s52, v23
	v_and_b32_e32 v2, s16, v0
	v_and_b32_e32 v1, 1, v2
	v_add_co_u32_e32 v3, vcc, -1, v1
	v_addc_co_u32_e64 v12, s[0:1], 0, -1, vcc
	v_cmp_ne_u32_e32 vcc, 0, v1
	v_lshl_add_u32 v0, v2, 3, v2
	v_xor_b32_e32 v1, vcc_hi, v12
	v_add_lshl_u32 v14, v16, v0, 2
	v_mov_b32_e32 v0, 0
	v_and_b32_e32 v12, exec_hi, v1
	v_lshlrev_b32_e32 v1, 30, v2
	v_xor_b32_e32 v3, vcc_lo, v3
	v_cmp_gt_i64_e32 vcc, 0, v[0:1]
	v_not_b32_e32 v1, v1
	v_ashrrev_i32_e32 v1, 31, v1
	v_and_b32_e32 v3, exec_lo, v3
	v_xor_b32_e32 v13, vcc_hi, v1
	v_xor_b32_e32 v1, vcc_lo, v1
	v_and_b32_e32 v3, v3, v1
	v_lshlrev_b32_e32 v1, 29, v2
	v_cmp_gt_i64_e32 vcc, 0, v[0:1]
	v_not_b32_e32 v1, v1
	v_ashrrev_i32_e32 v1, 31, v1
	v_and_b32_e32 v12, v12, v13
	v_xor_b32_e32 v13, vcc_hi, v1
	v_xor_b32_e32 v1, vcc_lo, v1
	v_and_b32_e32 v3, v3, v1
	v_lshlrev_b32_e32 v1, 28, v2
	v_cmp_gt_i64_e32 vcc, 0, v[0:1]
	v_not_b32_e32 v1, v1
	v_ashrrev_i32_e32 v1, 31, v1
	v_and_b32_e32 v12, v12, v13
	;; [unrolled: 8-line block ×5, first 2 shown]
	v_xor_b32_e32 v13, vcc_hi, v1
	v_xor_b32_e32 v1, vcc_lo, v1
	v_and_b32_e32 v12, v12, v13
	v_and_b32_e32 v13, v3, v1
	v_lshlrev_b32_e32 v1, 24, v2
	v_cmp_gt_i64_e32 vcc, 0, v[0:1]
	v_not_b32_e32 v1, v1
	v_ashrrev_i32_e32 v1, 31, v1
	v_xor_b32_e32 v2, vcc_hi, v1
	v_xor_b32_e32 v1, vcc_lo, v1
	; wave barrier
	ds_read_b32 v10, v14 offset:32
	v_and_b32_e32 v3, v12, v2
	v_and_b32_e32 v2, v13, v1
	v_mbcnt_lo_u32_b32 v1, v2, 0
	v_mbcnt_hi_u32_b32 v12, v3, v1
	v_cmp_eq_u32_e32 vcc, 0, v12
	v_cmp_ne_u64_e64 s[0:1], 0, v[2:3]
	s_and_b64 s[4:5], s[0:1], vcc
	; wave barrier
	s_and_saveexec_b64 s[0:1], s[4:5]
	s_cbranch_execz .LBB206_143
; %bb.142:
	v_bcnt_u32_b32 v1, v2, 0
	v_bcnt_u32_b32 v1, v3, v1
	s_waitcnt lgkmcnt(0)
	v_add_u32_e32 v1, v10, v1
	ds_write_b32 v14, v1 offset:32
.LBB206_143:
	s_or_b64 exec, exec, s[0:1]
	s_waitcnt vmcnt(12)
	v_lshrrev_b32_e32 v1, s52, v24
	v_and_b32_e32 v2, s16, v1
	v_lshl_add_u32 v1, v2, 3, v2
	v_add_lshl_u32 v37, v16, v1, 2
	v_and_b32_e32 v1, 1, v2
	v_add_co_u32_e32 v3, vcc, -1, v1
	v_addc_co_u32_e64 v15, s[0:1], 0, -1, vcc
	v_cmp_ne_u32_e32 vcc, 0, v1
	v_xor_b32_e32 v1, vcc_hi, v15
	v_and_b32_e32 v15, exec_hi, v1
	v_lshlrev_b32_e32 v1, 30, v2
	v_xor_b32_e32 v3, vcc_lo, v3
	v_cmp_gt_i64_e32 vcc, 0, v[0:1]
	v_not_b32_e32 v1, v1
	v_ashrrev_i32_e32 v1, 31, v1
	v_and_b32_e32 v3, exec_lo, v3
	v_xor_b32_e32 v17, vcc_hi, v1
	v_xor_b32_e32 v1, vcc_lo, v1
	v_and_b32_e32 v3, v3, v1
	v_lshlrev_b32_e32 v1, 29, v2
	v_cmp_gt_i64_e32 vcc, 0, v[0:1]
	v_not_b32_e32 v1, v1
	v_ashrrev_i32_e32 v1, 31, v1
	v_and_b32_e32 v15, v15, v17
	v_xor_b32_e32 v17, vcc_hi, v1
	v_xor_b32_e32 v1, vcc_lo, v1
	v_and_b32_e32 v3, v3, v1
	v_lshlrev_b32_e32 v1, 28, v2
	v_cmp_gt_i64_e32 vcc, 0, v[0:1]
	v_not_b32_e32 v1, v1
	v_ashrrev_i32_e32 v1, 31, v1
	v_and_b32_e32 v15, v15, v17
	;; [unrolled: 8-line block ×5, first 2 shown]
	v_xor_b32_e32 v17, vcc_hi, v1
	v_xor_b32_e32 v1, vcc_lo, v1
	v_and_b32_e32 v3, v3, v1
	v_lshlrev_b32_e32 v1, 24, v2
	v_cmp_gt_i64_e32 vcc, 0, v[0:1]
	v_not_b32_e32 v0, v1
	v_ashrrev_i32_e32 v0, 31, v0
	v_xor_b32_e32 v1, vcc_hi, v0
	v_xor_b32_e32 v0, vcc_lo, v0
	; wave barrier
	ds_read_b32 v13, v37 offset:32
	v_and_b32_e32 v15, v15, v17
	v_and_b32_e32 v0, v3, v0
	;; [unrolled: 1-line block ×3, first 2 shown]
	v_mbcnt_lo_u32_b32 v2, v0, 0
	v_mbcnt_hi_u32_b32 v15, v1, v2
	v_cmp_eq_u32_e32 vcc, 0, v15
	v_cmp_ne_u64_e64 s[0:1], 0, v[0:1]
	s_and_b64 s[4:5], s[0:1], vcc
	; wave barrier
	s_and_saveexec_b64 s[0:1], s[4:5]
	s_cbranch_execz .LBB206_145
; %bb.144:
	v_bcnt_u32_b32 v0, v0, 0
	v_bcnt_u32_b32 v0, v1, v0
	s_waitcnt lgkmcnt(0)
	v_add_u32_e32 v0, v13, v0
	ds_write_b32 v37, v0 offset:32
.LBB206_145:
	s_or_b64 exec, exec, s[0:1]
	s_waitcnt vmcnt(11)
	v_lshrrev_b32_e32 v0, s52, v25
	v_and_b32_e32 v2, s16, v0
	v_and_b32_e32 v1, 1, v2
	v_add_co_u32_e32 v3, vcc, -1, v1
	v_addc_co_u32_e64 v38, s[0:1], 0, -1, vcc
	v_cmp_ne_u32_e32 vcc, 0, v1
	v_lshl_add_u32 v0, v2, 3, v2
	v_xor_b32_e32 v1, vcc_hi, v38
	v_add_lshl_u32 v40, v16, v0, 2
	v_mov_b32_e32 v0, 0
	v_and_b32_e32 v38, exec_hi, v1
	v_lshlrev_b32_e32 v1, 30, v2
	v_xor_b32_e32 v3, vcc_lo, v3
	v_cmp_gt_i64_e32 vcc, 0, v[0:1]
	v_not_b32_e32 v1, v1
	v_ashrrev_i32_e32 v1, 31, v1
	v_and_b32_e32 v3, exec_lo, v3
	v_xor_b32_e32 v39, vcc_hi, v1
	v_xor_b32_e32 v1, vcc_lo, v1
	v_and_b32_e32 v3, v3, v1
	v_lshlrev_b32_e32 v1, 29, v2
	v_cmp_gt_i64_e32 vcc, 0, v[0:1]
	v_not_b32_e32 v1, v1
	v_ashrrev_i32_e32 v1, 31, v1
	v_and_b32_e32 v38, v38, v39
	v_xor_b32_e32 v39, vcc_hi, v1
	v_xor_b32_e32 v1, vcc_lo, v1
	v_and_b32_e32 v3, v3, v1
	v_lshlrev_b32_e32 v1, 28, v2
	v_cmp_gt_i64_e32 vcc, 0, v[0:1]
	v_not_b32_e32 v1, v1
	v_ashrrev_i32_e32 v1, 31, v1
	v_and_b32_e32 v38, v38, v39
	;; [unrolled: 8-line block ×5, first 2 shown]
	v_xor_b32_e32 v39, vcc_hi, v1
	v_xor_b32_e32 v1, vcc_lo, v1
	v_and_b32_e32 v38, v38, v39
	v_and_b32_e32 v39, v3, v1
	v_lshlrev_b32_e32 v1, 24, v2
	v_cmp_gt_i64_e32 vcc, 0, v[0:1]
	v_not_b32_e32 v1, v1
	v_ashrrev_i32_e32 v1, 31, v1
	v_xor_b32_e32 v2, vcc_hi, v1
	v_xor_b32_e32 v1, vcc_lo, v1
	; wave barrier
	ds_read_b32 v17, v40 offset:32
	v_and_b32_e32 v3, v38, v2
	v_and_b32_e32 v2, v39, v1
	v_mbcnt_lo_u32_b32 v1, v2, 0
	v_mbcnt_hi_u32_b32 v38, v3, v1
	v_cmp_eq_u32_e32 vcc, 0, v38
	v_cmp_ne_u64_e64 s[0:1], 0, v[2:3]
	s_and_b64 s[4:5], s[0:1], vcc
	; wave barrier
	s_and_saveexec_b64 s[0:1], s[4:5]
	s_cbranch_execz .LBB206_147
; %bb.146:
	v_bcnt_u32_b32 v1, v2, 0
	v_bcnt_u32_b32 v1, v3, v1
	s_waitcnt lgkmcnt(0)
	v_add_u32_e32 v1, v17, v1
	ds_write_b32 v40, v1 offset:32
.LBB206_147:
	s_or_b64 exec, exec, s[0:1]
	s_waitcnt vmcnt(10)
	v_lshrrev_b32_e32 v1, s52, v26
	v_and_b32_e32 v2, s16, v1
	v_lshl_add_u32 v1, v2, 3, v2
	v_add_lshl_u32 v43, v16, v1, 2
	v_and_b32_e32 v1, 1, v2
	v_add_co_u32_e32 v3, vcc, -1, v1
	v_addc_co_u32_e64 v41, s[0:1], 0, -1, vcc
	v_cmp_ne_u32_e32 vcc, 0, v1
	v_xor_b32_e32 v1, vcc_hi, v41
	v_and_b32_e32 v41, exec_hi, v1
	v_lshlrev_b32_e32 v1, 30, v2
	v_xor_b32_e32 v3, vcc_lo, v3
	v_cmp_gt_i64_e32 vcc, 0, v[0:1]
	v_not_b32_e32 v1, v1
	v_ashrrev_i32_e32 v1, 31, v1
	v_and_b32_e32 v3, exec_lo, v3
	v_xor_b32_e32 v42, vcc_hi, v1
	v_xor_b32_e32 v1, vcc_lo, v1
	v_and_b32_e32 v3, v3, v1
	v_lshlrev_b32_e32 v1, 29, v2
	v_cmp_gt_i64_e32 vcc, 0, v[0:1]
	v_not_b32_e32 v1, v1
	v_ashrrev_i32_e32 v1, 31, v1
	v_and_b32_e32 v41, v41, v42
	v_xor_b32_e32 v42, vcc_hi, v1
	v_xor_b32_e32 v1, vcc_lo, v1
	v_and_b32_e32 v3, v3, v1
	v_lshlrev_b32_e32 v1, 28, v2
	v_cmp_gt_i64_e32 vcc, 0, v[0:1]
	v_not_b32_e32 v1, v1
	v_ashrrev_i32_e32 v1, 31, v1
	v_and_b32_e32 v41, v41, v42
	;; [unrolled: 8-line block ×5, first 2 shown]
	v_xor_b32_e32 v42, vcc_hi, v1
	v_xor_b32_e32 v1, vcc_lo, v1
	v_and_b32_e32 v3, v3, v1
	v_lshlrev_b32_e32 v1, 24, v2
	v_cmp_gt_i64_e32 vcc, 0, v[0:1]
	v_not_b32_e32 v0, v1
	v_ashrrev_i32_e32 v0, 31, v0
	v_xor_b32_e32 v1, vcc_hi, v0
	v_xor_b32_e32 v0, vcc_lo, v0
	; wave barrier
	ds_read_b32 v39, v43 offset:32
	v_and_b32_e32 v41, v41, v42
	v_and_b32_e32 v0, v3, v0
	;; [unrolled: 1-line block ×3, first 2 shown]
	v_mbcnt_lo_u32_b32 v2, v0, 0
	v_mbcnt_hi_u32_b32 v41, v1, v2
	v_cmp_eq_u32_e32 vcc, 0, v41
	v_cmp_ne_u64_e64 s[0:1], 0, v[0:1]
	s_and_b64 s[4:5], s[0:1], vcc
	; wave barrier
	s_and_saveexec_b64 s[0:1], s[4:5]
	s_cbranch_execz .LBB206_149
; %bb.148:
	v_bcnt_u32_b32 v0, v0, 0
	v_bcnt_u32_b32 v0, v1, v0
	s_waitcnt lgkmcnt(0)
	v_add_u32_e32 v0, v39, v0
	ds_write_b32 v43, v0 offset:32
.LBB206_149:
	s_or_b64 exec, exec, s[0:1]
	s_waitcnt vmcnt(9)
	v_lshrrev_b32_e32 v0, s52, v27
	v_and_b32_e32 v2, s16, v0
	v_and_b32_e32 v1, 1, v2
	v_add_co_u32_e32 v3, vcc, -1, v1
	v_addc_co_u32_e64 v44, s[0:1], 0, -1, vcc
	v_cmp_ne_u32_e32 vcc, 0, v1
	v_lshl_add_u32 v0, v2, 3, v2
	v_xor_b32_e32 v1, vcc_hi, v44
	v_add_lshl_u32 v46, v16, v0, 2
	v_mov_b32_e32 v0, 0
	v_and_b32_e32 v44, exec_hi, v1
	v_lshlrev_b32_e32 v1, 30, v2
	v_xor_b32_e32 v3, vcc_lo, v3
	v_cmp_gt_i64_e32 vcc, 0, v[0:1]
	v_not_b32_e32 v1, v1
	v_ashrrev_i32_e32 v1, 31, v1
	v_and_b32_e32 v3, exec_lo, v3
	v_xor_b32_e32 v45, vcc_hi, v1
	v_xor_b32_e32 v1, vcc_lo, v1
	v_and_b32_e32 v3, v3, v1
	v_lshlrev_b32_e32 v1, 29, v2
	v_cmp_gt_i64_e32 vcc, 0, v[0:1]
	v_not_b32_e32 v1, v1
	v_ashrrev_i32_e32 v1, 31, v1
	v_and_b32_e32 v44, v44, v45
	v_xor_b32_e32 v45, vcc_hi, v1
	v_xor_b32_e32 v1, vcc_lo, v1
	v_and_b32_e32 v3, v3, v1
	v_lshlrev_b32_e32 v1, 28, v2
	v_cmp_gt_i64_e32 vcc, 0, v[0:1]
	v_not_b32_e32 v1, v1
	v_ashrrev_i32_e32 v1, 31, v1
	v_and_b32_e32 v44, v44, v45
	;; [unrolled: 8-line block ×5, first 2 shown]
	v_xor_b32_e32 v45, vcc_hi, v1
	v_xor_b32_e32 v1, vcc_lo, v1
	v_and_b32_e32 v44, v44, v45
	v_and_b32_e32 v45, v3, v1
	v_lshlrev_b32_e32 v1, 24, v2
	v_cmp_gt_i64_e32 vcc, 0, v[0:1]
	v_not_b32_e32 v1, v1
	v_ashrrev_i32_e32 v1, 31, v1
	v_xor_b32_e32 v2, vcc_hi, v1
	v_xor_b32_e32 v1, vcc_lo, v1
	; wave barrier
	ds_read_b32 v42, v46 offset:32
	v_and_b32_e32 v3, v44, v2
	v_and_b32_e32 v2, v45, v1
	v_mbcnt_lo_u32_b32 v1, v2, 0
	v_mbcnt_hi_u32_b32 v44, v3, v1
	v_cmp_eq_u32_e32 vcc, 0, v44
	v_cmp_ne_u64_e64 s[0:1], 0, v[2:3]
	s_and_b64 s[4:5], s[0:1], vcc
	; wave barrier
	s_and_saveexec_b64 s[0:1], s[4:5]
	s_cbranch_execz .LBB206_151
; %bb.150:
	v_bcnt_u32_b32 v1, v2, 0
	v_bcnt_u32_b32 v1, v3, v1
	s_waitcnt lgkmcnt(0)
	v_add_u32_e32 v1, v42, v1
	ds_write_b32 v46, v1 offset:32
.LBB206_151:
	s_or_b64 exec, exec, s[0:1]
	s_waitcnt vmcnt(8)
	v_lshrrev_b32_e32 v1, s52, v28
	v_and_b32_e32 v2, s16, v1
	v_lshl_add_u32 v1, v2, 3, v2
	v_add_lshl_u32 v49, v16, v1, 2
	v_and_b32_e32 v1, 1, v2
	v_add_co_u32_e32 v3, vcc, -1, v1
	v_addc_co_u32_e64 v47, s[0:1], 0, -1, vcc
	v_cmp_ne_u32_e32 vcc, 0, v1
	v_xor_b32_e32 v1, vcc_hi, v47
	v_and_b32_e32 v47, exec_hi, v1
	v_lshlrev_b32_e32 v1, 30, v2
	v_xor_b32_e32 v3, vcc_lo, v3
	v_cmp_gt_i64_e32 vcc, 0, v[0:1]
	v_not_b32_e32 v1, v1
	v_ashrrev_i32_e32 v1, 31, v1
	v_and_b32_e32 v3, exec_lo, v3
	v_xor_b32_e32 v48, vcc_hi, v1
	v_xor_b32_e32 v1, vcc_lo, v1
	v_and_b32_e32 v3, v3, v1
	v_lshlrev_b32_e32 v1, 29, v2
	v_cmp_gt_i64_e32 vcc, 0, v[0:1]
	v_not_b32_e32 v1, v1
	v_ashrrev_i32_e32 v1, 31, v1
	v_and_b32_e32 v47, v47, v48
	v_xor_b32_e32 v48, vcc_hi, v1
	v_xor_b32_e32 v1, vcc_lo, v1
	v_and_b32_e32 v3, v3, v1
	v_lshlrev_b32_e32 v1, 28, v2
	v_cmp_gt_i64_e32 vcc, 0, v[0:1]
	v_not_b32_e32 v1, v1
	v_ashrrev_i32_e32 v1, 31, v1
	v_and_b32_e32 v47, v47, v48
	;; [unrolled: 8-line block ×5, first 2 shown]
	v_xor_b32_e32 v48, vcc_hi, v1
	v_xor_b32_e32 v1, vcc_lo, v1
	v_and_b32_e32 v3, v3, v1
	v_lshlrev_b32_e32 v1, 24, v2
	v_cmp_gt_i64_e32 vcc, 0, v[0:1]
	v_not_b32_e32 v0, v1
	v_ashrrev_i32_e32 v0, 31, v0
	v_xor_b32_e32 v1, vcc_hi, v0
	v_xor_b32_e32 v0, vcc_lo, v0
	; wave barrier
	ds_read_b32 v45, v49 offset:32
	v_and_b32_e32 v47, v47, v48
	v_and_b32_e32 v0, v3, v0
	;; [unrolled: 1-line block ×3, first 2 shown]
	v_mbcnt_lo_u32_b32 v2, v0, 0
	v_mbcnt_hi_u32_b32 v47, v1, v2
	v_cmp_eq_u32_e32 vcc, 0, v47
	v_cmp_ne_u64_e64 s[0:1], 0, v[0:1]
	s_and_b64 s[4:5], s[0:1], vcc
	; wave barrier
	s_and_saveexec_b64 s[0:1], s[4:5]
	s_cbranch_execz .LBB206_153
; %bb.152:
	v_bcnt_u32_b32 v0, v0, 0
	v_bcnt_u32_b32 v0, v1, v0
	s_waitcnt lgkmcnt(0)
	v_add_u32_e32 v0, v45, v0
	ds_write_b32 v49, v0 offset:32
.LBB206_153:
	s_or_b64 exec, exec, s[0:1]
	s_waitcnt vmcnt(7)
	v_lshrrev_b32_e32 v0, s52, v29
	v_and_b32_e32 v2, s16, v0
	v_and_b32_e32 v1, 1, v2
	v_add_co_u32_e32 v3, vcc, -1, v1
	v_addc_co_u32_e64 v50, s[0:1], 0, -1, vcc
	v_cmp_ne_u32_e32 vcc, 0, v1
	v_lshl_add_u32 v0, v2, 3, v2
	v_xor_b32_e32 v1, vcc_hi, v50
	v_add_lshl_u32 v52, v16, v0, 2
	v_mov_b32_e32 v0, 0
	v_and_b32_e32 v50, exec_hi, v1
	v_lshlrev_b32_e32 v1, 30, v2
	v_xor_b32_e32 v3, vcc_lo, v3
	v_cmp_gt_i64_e32 vcc, 0, v[0:1]
	v_not_b32_e32 v1, v1
	v_ashrrev_i32_e32 v1, 31, v1
	v_and_b32_e32 v3, exec_lo, v3
	v_xor_b32_e32 v51, vcc_hi, v1
	v_xor_b32_e32 v1, vcc_lo, v1
	v_and_b32_e32 v3, v3, v1
	v_lshlrev_b32_e32 v1, 29, v2
	v_cmp_gt_i64_e32 vcc, 0, v[0:1]
	v_not_b32_e32 v1, v1
	v_ashrrev_i32_e32 v1, 31, v1
	v_and_b32_e32 v50, v50, v51
	v_xor_b32_e32 v51, vcc_hi, v1
	v_xor_b32_e32 v1, vcc_lo, v1
	v_and_b32_e32 v3, v3, v1
	v_lshlrev_b32_e32 v1, 28, v2
	v_cmp_gt_i64_e32 vcc, 0, v[0:1]
	v_not_b32_e32 v1, v1
	v_ashrrev_i32_e32 v1, 31, v1
	v_and_b32_e32 v50, v50, v51
	;; [unrolled: 8-line block ×5, first 2 shown]
	v_xor_b32_e32 v51, vcc_hi, v1
	v_xor_b32_e32 v1, vcc_lo, v1
	v_and_b32_e32 v50, v50, v51
	v_and_b32_e32 v51, v3, v1
	v_lshlrev_b32_e32 v1, 24, v2
	v_cmp_gt_i64_e32 vcc, 0, v[0:1]
	v_not_b32_e32 v1, v1
	v_ashrrev_i32_e32 v1, 31, v1
	v_xor_b32_e32 v2, vcc_hi, v1
	v_xor_b32_e32 v1, vcc_lo, v1
	; wave barrier
	ds_read_b32 v48, v52 offset:32
	v_and_b32_e32 v3, v50, v2
	v_and_b32_e32 v2, v51, v1
	v_mbcnt_lo_u32_b32 v1, v2, 0
	v_mbcnt_hi_u32_b32 v50, v3, v1
	v_cmp_eq_u32_e32 vcc, 0, v50
	v_cmp_ne_u64_e64 s[0:1], 0, v[2:3]
	s_and_b64 s[4:5], s[0:1], vcc
	; wave barrier
	s_and_saveexec_b64 s[0:1], s[4:5]
	s_cbranch_execz .LBB206_155
; %bb.154:
	v_bcnt_u32_b32 v1, v2, 0
	v_bcnt_u32_b32 v1, v3, v1
	s_waitcnt lgkmcnt(0)
	v_add_u32_e32 v1, v48, v1
	ds_write_b32 v52, v1 offset:32
.LBB206_155:
	s_or_b64 exec, exec, s[0:1]
	s_waitcnt vmcnt(6)
	v_lshrrev_b32_e32 v1, s52, v30
	v_and_b32_e32 v2, s16, v1
	v_lshl_add_u32 v1, v2, 3, v2
	v_add_lshl_u32 v55, v16, v1, 2
	v_and_b32_e32 v1, 1, v2
	v_add_co_u32_e32 v3, vcc, -1, v1
	v_addc_co_u32_e64 v53, s[0:1], 0, -1, vcc
	v_cmp_ne_u32_e32 vcc, 0, v1
	v_xor_b32_e32 v1, vcc_hi, v53
	v_and_b32_e32 v53, exec_hi, v1
	v_lshlrev_b32_e32 v1, 30, v2
	v_xor_b32_e32 v3, vcc_lo, v3
	v_cmp_gt_i64_e32 vcc, 0, v[0:1]
	v_not_b32_e32 v1, v1
	v_ashrrev_i32_e32 v1, 31, v1
	v_and_b32_e32 v3, exec_lo, v3
	v_xor_b32_e32 v54, vcc_hi, v1
	v_xor_b32_e32 v1, vcc_lo, v1
	v_and_b32_e32 v3, v3, v1
	v_lshlrev_b32_e32 v1, 29, v2
	v_cmp_gt_i64_e32 vcc, 0, v[0:1]
	v_not_b32_e32 v1, v1
	v_ashrrev_i32_e32 v1, 31, v1
	v_and_b32_e32 v53, v53, v54
	v_xor_b32_e32 v54, vcc_hi, v1
	v_xor_b32_e32 v1, vcc_lo, v1
	v_and_b32_e32 v3, v3, v1
	v_lshlrev_b32_e32 v1, 28, v2
	v_cmp_gt_i64_e32 vcc, 0, v[0:1]
	v_not_b32_e32 v1, v1
	v_ashrrev_i32_e32 v1, 31, v1
	v_and_b32_e32 v53, v53, v54
	;; [unrolled: 8-line block ×5, first 2 shown]
	v_xor_b32_e32 v54, vcc_hi, v1
	v_xor_b32_e32 v1, vcc_lo, v1
	v_and_b32_e32 v3, v3, v1
	v_lshlrev_b32_e32 v1, 24, v2
	v_cmp_gt_i64_e32 vcc, 0, v[0:1]
	v_not_b32_e32 v0, v1
	v_ashrrev_i32_e32 v0, 31, v0
	v_xor_b32_e32 v1, vcc_hi, v0
	v_xor_b32_e32 v0, vcc_lo, v0
	; wave barrier
	ds_read_b32 v51, v55 offset:32
	v_and_b32_e32 v53, v53, v54
	v_and_b32_e32 v0, v3, v0
	;; [unrolled: 1-line block ×3, first 2 shown]
	v_mbcnt_lo_u32_b32 v2, v0, 0
	v_mbcnt_hi_u32_b32 v53, v1, v2
	v_cmp_eq_u32_e32 vcc, 0, v53
	v_cmp_ne_u64_e64 s[0:1], 0, v[0:1]
	s_and_b64 s[4:5], s[0:1], vcc
	; wave barrier
	s_and_saveexec_b64 s[0:1], s[4:5]
	s_cbranch_execz .LBB206_157
; %bb.156:
	v_bcnt_u32_b32 v0, v0, 0
	v_bcnt_u32_b32 v0, v1, v0
	s_waitcnt lgkmcnt(0)
	v_add_u32_e32 v0, v51, v0
	ds_write_b32 v55, v0 offset:32
.LBB206_157:
	s_or_b64 exec, exec, s[0:1]
	s_waitcnt vmcnt(5)
	v_lshrrev_b32_e32 v0, s52, v31
	v_and_b32_e32 v2, s16, v0
	v_and_b32_e32 v1, 1, v2
	v_add_co_u32_e32 v3, vcc, -1, v1
	v_addc_co_u32_e64 v56, s[0:1], 0, -1, vcc
	v_cmp_ne_u32_e32 vcc, 0, v1
	v_lshl_add_u32 v0, v2, 3, v2
	v_xor_b32_e32 v1, vcc_hi, v56
	v_add_lshl_u32 v58, v16, v0, 2
	v_mov_b32_e32 v0, 0
	v_and_b32_e32 v56, exec_hi, v1
	v_lshlrev_b32_e32 v1, 30, v2
	v_xor_b32_e32 v3, vcc_lo, v3
	v_cmp_gt_i64_e32 vcc, 0, v[0:1]
	v_not_b32_e32 v1, v1
	v_ashrrev_i32_e32 v1, 31, v1
	v_and_b32_e32 v3, exec_lo, v3
	v_xor_b32_e32 v57, vcc_hi, v1
	v_xor_b32_e32 v1, vcc_lo, v1
	v_and_b32_e32 v3, v3, v1
	v_lshlrev_b32_e32 v1, 29, v2
	v_cmp_gt_i64_e32 vcc, 0, v[0:1]
	v_not_b32_e32 v1, v1
	v_ashrrev_i32_e32 v1, 31, v1
	v_and_b32_e32 v56, v56, v57
	v_xor_b32_e32 v57, vcc_hi, v1
	v_xor_b32_e32 v1, vcc_lo, v1
	v_and_b32_e32 v3, v3, v1
	v_lshlrev_b32_e32 v1, 28, v2
	v_cmp_gt_i64_e32 vcc, 0, v[0:1]
	v_not_b32_e32 v1, v1
	v_ashrrev_i32_e32 v1, 31, v1
	v_and_b32_e32 v56, v56, v57
	;; [unrolled: 8-line block ×5, first 2 shown]
	v_xor_b32_e32 v57, vcc_hi, v1
	v_xor_b32_e32 v1, vcc_lo, v1
	v_and_b32_e32 v56, v56, v57
	v_and_b32_e32 v57, v3, v1
	v_lshlrev_b32_e32 v1, 24, v2
	v_cmp_gt_i64_e32 vcc, 0, v[0:1]
	v_not_b32_e32 v1, v1
	v_ashrrev_i32_e32 v1, 31, v1
	v_xor_b32_e32 v2, vcc_hi, v1
	v_xor_b32_e32 v1, vcc_lo, v1
	; wave barrier
	ds_read_b32 v54, v58 offset:32
	v_and_b32_e32 v3, v56, v2
	v_and_b32_e32 v2, v57, v1
	v_mbcnt_lo_u32_b32 v1, v2, 0
	v_mbcnt_hi_u32_b32 v56, v3, v1
	v_cmp_eq_u32_e32 vcc, 0, v56
	v_cmp_ne_u64_e64 s[0:1], 0, v[2:3]
	s_and_b64 s[4:5], s[0:1], vcc
	; wave barrier
	s_and_saveexec_b64 s[0:1], s[4:5]
	s_cbranch_execz .LBB206_159
; %bb.158:
	v_bcnt_u32_b32 v1, v2, 0
	v_bcnt_u32_b32 v1, v3, v1
	s_waitcnt lgkmcnt(0)
	v_add_u32_e32 v1, v54, v1
	ds_write_b32 v58, v1 offset:32
.LBB206_159:
	s_or_b64 exec, exec, s[0:1]
	s_waitcnt vmcnt(4)
	v_lshrrev_b32_e32 v1, s52, v32
	v_and_b32_e32 v2, s16, v1
	v_lshl_add_u32 v1, v2, 3, v2
	v_add_lshl_u32 v61, v16, v1, 2
	v_and_b32_e32 v1, 1, v2
	v_add_co_u32_e32 v3, vcc, -1, v1
	v_addc_co_u32_e64 v59, s[0:1], 0, -1, vcc
	v_cmp_ne_u32_e32 vcc, 0, v1
	v_xor_b32_e32 v1, vcc_hi, v59
	v_and_b32_e32 v59, exec_hi, v1
	v_lshlrev_b32_e32 v1, 30, v2
	v_xor_b32_e32 v3, vcc_lo, v3
	v_cmp_gt_i64_e32 vcc, 0, v[0:1]
	v_not_b32_e32 v1, v1
	v_ashrrev_i32_e32 v1, 31, v1
	v_and_b32_e32 v3, exec_lo, v3
	v_xor_b32_e32 v60, vcc_hi, v1
	v_xor_b32_e32 v1, vcc_lo, v1
	v_and_b32_e32 v3, v3, v1
	v_lshlrev_b32_e32 v1, 29, v2
	v_cmp_gt_i64_e32 vcc, 0, v[0:1]
	v_not_b32_e32 v1, v1
	v_ashrrev_i32_e32 v1, 31, v1
	v_and_b32_e32 v59, v59, v60
	v_xor_b32_e32 v60, vcc_hi, v1
	v_xor_b32_e32 v1, vcc_lo, v1
	v_and_b32_e32 v3, v3, v1
	v_lshlrev_b32_e32 v1, 28, v2
	v_cmp_gt_i64_e32 vcc, 0, v[0:1]
	v_not_b32_e32 v1, v1
	v_ashrrev_i32_e32 v1, 31, v1
	v_and_b32_e32 v59, v59, v60
	;; [unrolled: 8-line block ×5, first 2 shown]
	v_xor_b32_e32 v60, vcc_hi, v1
	v_xor_b32_e32 v1, vcc_lo, v1
	v_and_b32_e32 v3, v3, v1
	v_lshlrev_b32_e32 v1, 24, v2
	v_cmp_gt_i64_e32 vcc, 0, v[0:1]
	v_not_b32_e32 v0, v1
	v_ashrrev_i32_e32 v0, 31, v0
	v_xor_b32_e32 v1, vcc_hi, v0
	v_xor_b32_e32 v0, vcc_lo, v0
	; wave barrier
	ds_read_b32 v57, v61 offset:32
	v_and_b32_e32 v59, v59, v60
	v_and_b32_e32 v0, v3, v0
	;; [unrolled: 1-line block ×3, first 2 shown]
	v_mbcnt_lo_u32_b32 v2, v0, 0
	v_mbcnt_hi_u32_b32 v59, v1, v2
	v_cmp_eq_u32_e32 vcc, 0, v59
	v_cmp_ne_u64_e64 s[0:1], 0, v[0:1]
	s_and_b64 s[4:5], s[0:1], vcc
	; wave barrier
	s_and_saveexec_b64 s[0:1], s[4:5]
	s_cbranch_execz .LBB206_161
; %bb.160:
	v_bcnt_u32_b32 v0, v0, 0
	v_bcnt_u32_b32 v0, v1, v0
	s_waitcnt lgkmcnt(0)
	v_add_u32_e32 v0, v57, v0
	ds_write_b32 v61, v0 offset:32
.LBB206_161:
	s_or_b64 exec, exec, s[0:1]
	s_waitcnt vmcnt(3)
	v_lshrrev_b32_e32 v0, s52, v33
	v_and_b32_e32 v2, s16, v0
	v_and_b32_e32 v1, 1, v2
	v_add_co_u32_e32 v3, vcc, -1, v1
	v_addc_co_u32_e64 v62, s[0:1], 0, -1, vcc
	v_cmp_ne_u32_e32 vcc, 0, v1
	v_lshl_add_u32 v0, v2, 3, v2
	v_xor_b32_e32 v1, vcc_hi, v62
	v_add_lshl_u32 v64, v16, v0, 2
	v_mov_b32_e32 v0, 0
	v_and_b32_e32 v62, exec_hi, v1
	v_lshlrev_b32_e32 v1, 30, v2
	v_xor_b32_e32 v3, vcc_lo, v3
	v_cmp_gt_i64_e32 vcc, 0, v[0:1]
	v_not_b32_e32 v1, v1
	v_ashrrev_i32_e32 v1, 31, v1
	v_and_b32_e32 v3, exec_lo, v3
	v_xor_b32_e32 v63, vcc_hi, v1
	v_xor_b32_e32 v1, vcc_lo, v1
	v_and_b32_e32 v3, v3, v1
	v_lshlrev_b32_e32 v1, 29, v2
	v_cmp_gt_i64_e32 vcc, 0, v[0:1]
	v_not_b32_e32 v1, v1
	v_ashrrev_i32_e32 v1, 31, v1
	v_and_b32_e32 v62, v62, v63
	v_xor_b32_e32 v63, vcc_hi, v1
	v_xor_b32_e32 v1, vcc_lo, v1
	v_and_b32_e32 v3, v3, v1
	v_lshlrev_b32_e32 v1, 28, v2
	v_cmp_gt_i64_e32 vcc, 0, v[0:1]
	v_not_b32_e32 v1, v1
	v_ashrrev_i32_e32 v1, 31, v1
	v_and_b32_e32 v62, v62, v63
	;; [unrolled: 8-line block ×5, first 2 shown]
	v_xor_b32_e32 v63, vcc_hi, v1
	v_xor_b32_e32 v1, vcc_lo, v1
	v_and_b32_e32 v62, v62, v63
	v_and_b32_e32 v63, v3, v1
	v_lshlrev_b32_e32 v1, 24, v2
	v_cmp_gt_i64_e32 vcc, 0, v[0:1]
	v_not_b32_e32 v1, v1
	v_ashrrev_i32_e32 v1, 31, v1
	v_xor_b32_e32 v2, vcc_hi, v1
	v_xor_b32_e32 v1, vcc_lo, v1
	; wave barrier
	ds_read_b32 v60, v64 offset:32
	v_and_b32_e32 v3, v62, v2
	v_and_b32_e32 v2, v63, v1
	v_mbcnt_lo_u32_b32 v1, v2, 0
	v_mbcnt_hi_u32_b32 v62, v3, v1
	v_cmp_eq_u32_e32 vcc, 0, v62
	v_cmp_ne_u64_e64 s[0:1], 0, v[2:3]
	s_and_b64 s[4:5], s[0:1], vcc
	; wave barrier
	s_and_saveexec_b64 s[0:1], s[4:5]
	s_cbranch_execz .LBB206_163
; %bb.162:
	v_bcnt_u32_b32 v1, v2, 0
	v_bcnt_u32_b32 v1, v3, v1
	s_waitcnt lgkmcnt(0)
	v_add_u32_e32 v1, v60, v1
	ds_write_b32 v64, v1 offset:32
.LBB206_163:
	s_or_b64 exec, exec, s[0:1]
	s_waitcnt vmcnt(2)
	v_lshrrev_b32_e32 v1, s52, v34
	v_and_b32_e32 v2, s16, v1
	v_lshl_add_u32 v1, v2, 3, v2
	v_add_lshl_u32 v67, v16, v1, 2
	v_and_b32_e32 v1, 1, v2
	v_add_co_u32_e32 v3, vcc, -1, v1
	v_addc_co_u32_e64 v65, s[0:1], 0, -1, vcc
	v_cmp_ne_u32_e32 vcc, 0, v1
	v_xor_b32_e32 v1, vcc_hi, v65
	v_and_b32_e32 v65, exec_hi, v1
	v_lshlrev_b32_e32 v1, 30, v2
	v_xor_b32_e32 v3, vcc_lo, v3
	v_cmp_gt_i64_e32 vcc, 0, v[0:1]
	v_not_b32_e32 v1, v1
	v_ashrrev_i32_e32 v1, 31, v1
	v_and_b32_e32 v3, exec_lo, v3
	v_xor_b32_e32 v66, vcc_hi, v1
	v_xor_b32_e32 v1, vcc_lo, v1
	v_and_b32_e32 v3, v3, v1
	v_lshlrev_b32_e32 v1, 29, v2
	v_cmp_gt_i64_e32 vcc, 0, v[0:1]
	v_not_b32_e32 v1, v1
	v_ashrrev_i32_e32 v1, 31, v1
	v_and_b32_e32 v65, v65, v66
	v_xor_b32_e32 v66, vcc_hi, v1
	v_xor_b32_e32 v1, vcc_lo, v1
	v_and_b32_e32 v3, v3, v1
	v_lshlrev_b32_e32 v1, 28, v2
	v_cmp_gt_i64_e32 vcc, 0, v[0:1]
	v_not_b32_e32 v1, v1
	v_ashrrev_i32_e32 v1, 31, v1
	v_and_b32_e32 v65, v65, v66
	;; [unrolled: 8-line block ×5, first 2 shown]
	v_xor_b32_e32 v66, vcc_hi, v1
	v_xor_b32_e32 v1, vcc_lo, v1
	v_and_b32_e32 v3, v3, v1
	v_lshlrev_b32_e32 v1, 24, v2
	v_cmp_gt_i64_e32 vcc, 0, v[0:1]
	v_not_b32_e32 v0, v1
	v_ashrrev_i32_e32 v0, 31, v0
	v_xor_b32_e32 v1, vcc_hi, v0
	v_xor_b32_e32 v0, vcc_lo, v0
	; wave barrier
	ds_read_b32 v63, v67 offset:32
	v_and_b32_e32 v65, v65, v66
	v_and_b32_e32 v0, v3, v0
	;; [unrolled: 1-line block ×3, first 2 shown]
	v_mbcnt_lo_u32_b32 v2, v0, 0
	v_mbcnt_hi_u32_b32 v65, v1, v2
	v_cmp_eq_u32_e32 vcc, 0, v65
	v_cmp_ne_u64_e64 s[0:1], 0, v[0:1]
	s_and_b64 s[4:5], s[0:1], vcc
	; wave barrier
	s_and_saveexec_b64 s[0:1], s[4:5]
	s_cbranch_execz .LBB206_165
; %bb.164:
	v_bcnt_u32_b32 v0, v0, 0
	v_bcnt_u32_b32 v0, v1, v0
	s_waitcnt lgkmcnt(0)
	v_add_u32_e32 v0, v63, v0
	ds_write_b32 v67, v0 offset:32
.LBB206_165:
	s_or_b64 exec, exec, s[0:1]
	s_waitcnt vmcnt(1)
	v_lshrrev_b32_e32 v0, s52, v35
	v_and_b32_e32 v2, s16, v0
	v_and_b32_e32 v1, 1, v2
	v_add_co_u32_e32 v3, vcc, -1, v1
	v_addc_co_u32_e64 v68, s[0:1], 0, -1, vcc
	v_cmp_ne_u32_e32 vcc, 0, v1
	v_lshl_add_u32 v0, v2, 3, v2
	v_xor_b32_e32 v1, vcc_hi, v68
	v_add_lshl_u32 v69, v16, v0, 2
	v_mov_b32_e32 v0, 0
	v_and_b32_e32 v68, exec_hi, v1
	v_lshlrev_b32_e32 v1, 30, v2
	v_xor_b32_e32 v3, vcc_lo, v3
	v_cmp_gt_i64_e32 vcc, 0, v[0:1]
	v_not_b32_e32 v1, v1
	v_ashrrev_i32_e32 v1, 31, v1
	v_and_b32_e32 v3, exec_lo, v3
	v_xor_b32_e32 v70, vcc_hi, v1
	v_xor_b32_e32 v1, vcc_lo, v1
	v_and_b32_e32 v3, v3, v1
	v_lshlrev_b32_e32 v1, 29, v2
	v_cmp_gt_i64_e32 vcc, 0, v[0:1]
	v_not_b32_e32 v1, v1
	v_ashrrev_i32_e32 v1, 31, v1
	v_and_b32_e32 v68, v68, v70
	v_xor_b32_e32 v70, vcc_hi, v1
	v_xor_b32_e32 v1, vcc_lo, v1
	v_and_b32_e32 v3, v3, v1
	v_lshlrev_b32_e32 v1, 28, v2
	v_cmp_gt_i64_e32 vcc, 0, v[0:1]
	v_not_b32_e32 v1, v1
	v_ashrrev_i32_e32 v1, 31, v1
	v_and_b32_e32 v68, v68, v70
	;; [unrolled: 8-line block ×5, first 2 shown]
	v_xor_b32_e32 v70, vcc_hi, v1
	v_xor_b32_e32 v1, vcc_lo, v1
	v_and_b32_e32 v68, v68, v70
	v_and_b32_e32 v70, v3, v1
	v_lshlrev_b32_e32 v1, 24, v2
	v_cmp_gt_i64_e32 vcc, 0, v[0:1]
	v_not_b32_e32 v1, v1
	v_ashrrev_i32_e32 v1, 31, v1
	v_xor_b32_e32 v2, vcc_hi, v1
	v_xor_b32_e32 v1, vcc_lo, v1
	; wave barrier
	ds_read_b32 v66, v69 offset:32
	v_and_b32_e32 v3, v68, v2
	v_and_b32_e32 v2, v70, v1
	v_mbcnt_lo_u32_b32 v1, v2, 0
	v_mbcnt_hi_u32_b32 v68, v3, v1
	v_cmp_eq_u32_e32 vcc, 0, v68
	v_cmp_ne_u64_e64 s[0:1], 0, v[2:3]
	s_and_b64 s[4:5], s[0:1], vcc
	; wave barrier
	s_and_saveexec_b64 s[0:1], s[4:5]
	s_cbranch_execz .LBB206_167
; %bb.166:
	v_bcnt_u32_b32 v1, v2, 0
	v_bcnt_u32_b32 v1, v3, v1
	s_waitcnt lgkmcnt(0)
	v_add_u32_e32 v1, v66, v1
	ds_write_b32 v69, v1 offset:32
.LBB206_167:
	s_or_b64 exec, exec, s[0:1]
	s_waitcnt vmcnt(0)
	v_lshrrev_b32_e32 v1, s52, v36
	v_and_b32_e32 v2, s16, v1
	v_lshl_add_u32 v1, v2, 3, v2
	v_add_lshl_u32 v72, v16, v1, 2
	v_and_b32_e32 v1, 1, v2
	v_add_co_u32_e32 v3, vcc, -1, v1
	v_addc_co_u32_e64 v70, s[0:1], 0, -1, vcc
	v_cmp_ne_u32_e32 vcc, 0, v1
	v_xor_b32_e32 v1, vcc_hi, v70
	v_and_b32_e32 v70, exec_hi, v1
	v_lshlrev_b32_e32 v1, 30, v2
	v_xor_b32_e32 v3, vcc_lo, v3
	v_cmp_gt_i64_e32 vcc, 0, v[0:1]
	v_not_b32_e32 v1, v1
	v_ashrrev_i32_e32 v1, 31, v1
	v_and_b32_e32 v3, exec_lo, v3
	v_xor_b32_e32 v71, vcc_hi, v1
	v_xor_b32_e32 v1, vcc_lo, v1
	v_and_b32_e32 v3, v3, v1
	v_lshlrev_b32_e32 v1, 29, v2
	v_cmp_gt_i64_e32 vcc, 0, v[0:1]
	v_not_b32_e32 v1, v1
	v_ashrrev_i32_e32 v1, 31, v1
	v_and_b32_e32 v70, v70, v71
	v_xor_b32_e32 v71, vcc_hi, v1
	v_xor_b32_e32 v1, vcc_lo, v1
	v_and_b32_e32 v3, v3, v1
	v_lshlrev_b32_e32 v1, 28, v2
	v_cmp_gt_i64_e32 vcc, 0, v[0:1]
	v_not_b32_e32 v1, v1
	v_ashrrev_i32_e32 v1, 31, v1
	v_and_b32_e32 v70, v70, v71
	;; [unrolled: 8-line block ×5, first 2 shown]
	v_xor_b32_e32 v71, vcc_hi, v1
	v_xor_b32_e32 v1, vcc_lo, v1
	v_and_b32_e32 v3, v3, v1
	v_lshlrev_b32_e32 v1, 24, v2
	v_cmp_gt_i64_e32 vcc, 0, v[0:1]
	v_not_b32_e32 v0, v1
	v_ashrrev_i32_e32 v0, 31, v0
	v_xor_b32_e32 v1, vcc_hi, v0
	v_xor_b32_e32 v0, vcc_lo, v0
	; wave barrier
	ds_read_b32 v16, v72 offset:32
	v_and_b32_e32 v70, v70, v71
	v_and_b32_e32 v0, v3, v0
	v_and_b32_e32 v1, v70, v1
	v_mbcnt_lo_u32_b32 v2, v0, 0
	v_mbcnt_hi_u32_b32 v71, v1, v2
	v_cmp_eq_u32_e32 vcc, 0, v71
	v_cmp_ne_u64_e64 s[0:1], 0, v[0:1]
	v_add_u32_e32 v73, 32, v5
	s_and_b64 s[4:5], s[0:1], vcc
	; wave barrier
	s_and_saveexec_b64 s[0:1], s[4:5]
	s_cbranch_execz .LBB206_169
; %bb.168:
	v_bcnt_u32_b32 v0, v0, 0
	v_bcnt_u32_b32 v0, v1, v0
	s_waitcnt lgkmcnt(0)
	v_add_u32_e32 v0, v16, v0
	ds_write_b32 v72, v0 offset:32
.LBB206_169:
	s_or_b64 exec, exec, s[0:1]
	; wave barrier
	s_waitcnt lgkmcnt(0)
	s_barrier
	ds_read2_b32 v[2:3], v5 offset0:8 offset1:9
	ds_read2_b32 v[0:1], v73 offset0:2 offset1:3
	ds_read_b32 v70, v73 offset:16
	s_waitcnt lgkmcnt(1)
	v_add3_u32 v74, v3, v2, v0
	s_waitcnt lgkmcnt(0)
	v_add3_u32 v70, v74, v1, v70
	v_and_b32_e32 v74, 15, v4
	v_cmp_ne_u32_e32 vcc, 0, v74
	v_mov_b32_dpp v75, v70 row_shr:1 row_mask:0xf bank_mask:0xf
	v_cndmask_b32_e32 v75, 0, v75, vcc
	v_add_u32_e32 v70, v75, v70
	v_cmp_lt_u32_e32 vcc, 1, v74
	s_nop 0
	v_mov_b32_dpp v75, v70 row_shr:2 row_mask:0xf bank_mask:0xf
	v_cndmask_b32_e32 v75, 0, v75, vcc
	v_add_u32_e32 v70, v70, v75
	v_cmp_lt_u32_e32 vcc, 3, v74
	s_nop 0
	v_mov_b32_dpp v75, v70 row_shr:4 row_mask:0xf bank_mask:0xf
	v_cndmask_b32_e32 v75, 0, v75, vcc
	v_add_u32_e32 v70, v70, v75
	v_cmp_lt_u32_e32 vcc, 7, v74
	s_nop 0
	v_mov_b32_dpp v75, v70 row_shr:8 row_mask:0xf bank_mask:0xf
	v_cndmask_b32_e32 v74, 0, v75, vcc
	v_add_u32_e32 v70, v70, v74
	v_bfe_i32 v75, v4, 4, 1
	v_cmp_lt_u32_e32 vcc, 31, v4
	v_mov_b32_dpp v74, v70 row_bcast:15 row_mask:0xf bank_mask:0xf
	v_and_b32_e32 v74, v75, v74
	v_add_u32_e32 v70, v70, v74
	v_lshrrev_b32_e32 v75, 6, v18
	s_nop 0
	v_mov_b32_dpp v74, v70 row_bcast:31 row_mask:0xf bank_mask:0xf
	v_cndmask_b32_e32 v74, 0, v74, vcc
	v_add_u32_e32 v74, v70, v74
	v_and_b32_e32 v70, 0x3c0, v18
	v_min_u32_e32 v70, 0x1c0, v70
	v_or_b32_e32 v70, 63, v70
	v_cmp_eq_u32_e32 vcc, v70, v18
	s_and_saveexec_b64 s[0:1], vcc
	s_cbranch_execz .LBB206_171
; %bb.170:
	v_lshlrev_b32_e32 v70, 2, v75
	ds_write_b32 v70, v74
.LBB206_171:
	s_or_b64 exec, exec, s[0:1]
	v_cmp_gt_u32_e32 vcc, 8, v18
	v_lshlrev_b32_e32 v70, 2, v18
	s_waitcnt lgkmcnt(0)
	s_barrier
	s_and_saveexec_b64 s[0:1], vcc
	s_cbranch_execz .LBB206_173
; %bb.172:
	ds_read_b32 v76, v70
	v_and_b32_e32 v77, 7, v4
	v_cmp_ne_u32_e32 vcc, 0, v77
	s_waitcnt lgkmcnt(0)
	v_mov_b32_dpp v78, v76 row_shr:1 row_mask:0xf bank_mask:0xf
	v_cndmask_b32_e32 v78, 0, v78, vcc
	v_add_u32_e32 v76, v78, v76
	v_cmp_lt_u32_e32 vcc, 1, v77
	s_nop 0
	v_mov_b32_dpp v78, v76 row_shr:2 row_mask:0xf bank_mask:0xf
	v_cndmask_b32_e32 v78, 0, v78, vcc
	v_add_u32_e32 v76, v76, v78
	v_cmp_lt_u32_e32 vcc, 3, v77
	s_nop 0
	v_mov_b32_dpp v78, v76 row_shr:4 row_mask:0xf bank_mask:0xf
	v_cndmask_b32_e32 v77, 0, v78, vcc
	v_add_u32_e32 v76, v76, v77
	ds_write_b32 v70, v76
.LBB206_173:
	s_or_b64 exec, exec, s[0:1]
	v_cmp_lt_u32_e32 vcc, 63, v18
	v_mov_b32_e32 v76, 0
	s_waitcnt lgkmcnt(0)
	s_barrier
	s_and_saveexec_b64 s[0:1], vcc
	s_cbranch_execz .LBB206_175
; %bb.174:
	v_lshl_add_u32 v75, v75, 2, -4
	ds_read_b32 v76, v75
.LBB206_175:
	s_or_b64 exec, exec, s[0:1]
	v_add_u32_e32 v75, -1, v4
	v_and_b32_e32 v77, 64, v4
	v_cmp_lt_i32_e32 vcc, v75, v77
	v_cndmask_b32_e32 v75, v75, v4, vcc
	s_waitcnt lgkmcnt(0)
	v_add_u32_e32 v74, v76, v74
	v_lshlrev_b32_e32 v75, 2, v75
	ds_bpermute_b32 v74, v75, v74
	v_cmp_eq_u32_e32 vcc, 0, v4
	s_movk_i32 s0, 0x100
	s_waitcnt lgkmcnt(0)
	v_cndmask_b32_e32 v4, v74, v76, vcc
	v_cmp_ne_u32_e32 vcc, 0, v18
	v_cndmask_b32_e32 v4, 0, v4, vcc
	v_add_u32_e32 v2, v4, v2
	v_add_u32_e32 v3, v2, v3
	;; [unrolled: 1-line block ×4, first 2 shown]
	ds_write2_b32 v5, v4, v2 offset0:8 offset1:9
	ds_write2_b32 v73, v3, v0 offset0:2 offset1:3
	ds_write_b32 v73, v1 offset:16
	s_waitcnt lgkmcnt(0)
	s_barrier
	ds_read_b32 v74, v9 offset:32
	ds_read_b32 v9, v11 offset:32
	;; [unrolled: 1-line block ×16, first 2 shown]
	v_cmp_gt_u32_e32 vcc, s0, v18
                                        ; implicit-def: $vgpr52
                                        ; implicit-def: $vgpr55
	s_and_saveexec_b64 s[4:5], vcc
	s_cbranch_execz .LBB206_179
; %bb.176:
	v_mul_u32_u24_e32 v0, 9, v18
	v_lshlrev_b32_e32 v1, 2, v0
	ds_read_b32 v52, v1 offset:32
	s_movk_i32 s0, 0xff
	v_cmp_ne_u32_e64 s[0:1], s0, v18
	v_mov_b32_e32 v0, 0x2000
	s_and_saveexec_b64 s[10:11], s[0:1]
	s_cbranch_execz .LBB206_178
; %bb.177:
	ds_read_b32 v0, v1 offset:68
.LBB206_178:
	s_or_b64 exec, exec, s[10:11]
	s_waitcnt lgkmcnt(0)
	v_sub_u32_e32 v55, v0, v52
.LBB206_179:
	s_or_b64 exec, exec, s[4:5]
	s_waitcnt lgkmcnt(0)
	s_barrier
	s_and_saveexec_b64 s[4:5], vcc
	s_cbranch_execz .LBB206_189
; %bb.180:
	v_lshl_or_b32 v0, s6, 8, v18
	v_mov_b32_e32 v1, 0
	v_lshlrev_b64 v[2:3], 2, v[0:1]
	v_mov_b32_e32 v37, s57
	v_add_co_u32_e64 v2, s[0:1], s56, v2
	v_addc_co_u32_e64 v3, s[0:1], v37, v3, s[0:1]
	v_or_b32_e32 v0, 2.0, v55
	s_mov_b64 s[10:11], 0
	s_brev_b32 s17, 1
	s_mov_b32 s18, s6
	v_mov_b32_e32 v58, 0
	global_store_dword v[2:3], v0, off
                                        ; implicit-def: $sgpr0_sgpr1
	s_branch .LBB206_183
.LBB206_181:                            ;   in Loop: Header=BB206_183 Depth=1
	s_or_b64 exec, exec, s[14:15]
.LBB206_182:                            ;   in Loop: Header=BB206_183 Depth=1
	s_or_b64 exec, exec, s[12:13]
	v_and_b32_e32 v4, 0x3fffffff, v69
	v_add_u32_e32 v58, v4, v58
	v_cmp_eq_u32_e64 s[0:1], s17, v0
	s_and_b64 s[12:13], exec, s[0:1]
	s_or_b64 s[10:11], s[12:13], s[10:11]
	s_andn2_b64 exec, exec, s[10:11]
	s_cbranch_execz .LBB206_188
.LBB206_183:                            ; =>This Loop Header: Depth=1
                                        ;     Child Loop BB206_186 Depth 2
	s_or_b64 s[0:1], s[0:1], exec
	s_cmp_eq_u32 s18, 0
	s_cbranch_scc1 .LBB206_187
; %bb.184:                              ;   in Loop: Header=BB206_183 Depth=1
	s_add_i32 s18, s18, -1
	v_lshl_or_b32 v0, s18, 8, v18
	v_lshlrev_b64 v[4:5], 2, v[0:1]
	v_add_co_u32_e64 v4, s[0:1], s56, v4
	v_addc_co_u32_e64 v5, s[0:1], v37, v5, s[0:1]
	global_load_dword v69, v[4:5], off glc
	s_waitcnt vmcnt(0)
	v_and_b32_e32 v0, -2.0, v69
	v_cmp_eq_u32_e64 s[0:1], 0, v0
	s_and_saveexec_b64 s[12:13], s[0:1]
	s_cbranch_execz .LBB206_182
; %bb.185:                              ;   in Loop: Header=BB206_183 Depth=1
	s_mov_b64 s[14:15], 0
.LBB206_186:                            ;   Parent Loop BB206_183 Depth=1
                                        ; =>  This Inner Loop Header: Depth=2
	global_load_dword v69, v[4:5], off glc
	s_waitcnt vmcnt(0)
	v_and_b32_e32 v0, -2.0, v69
	v_cmp_ne_u32_e64 s[0:1], 0, v0
	s_or_b64 s[14:15], s[0:1], s[14:15]
	s_andn2_b64 exec, exec, s[14:15]
	s_cbranch_execnz .LBB206_186
	s_branch .LBB206_181
.LBB206_187:                            ;   in Loop: Header=BB206_183 Depth=1
                                        ; implicit-def: $sgpr18
	s_and_b64 s[12:13], exec, s[0:1]
	s_or_b64 s[10:11], s[12:13], s[10:11]
	s_andn2_b64 exec, exec, s[10:11]
	s_cbranch_execnz .LBB206_183
.LBB206_188:
	s_or_b64 exec, exec, s[10:11]
	v_add_u32_e32 v0, v58, v55
	v_or_b32_e32 v0, 0x80000000, v0
	global_store_dword v[2:3], v0, off
	global_load_dword v0, v70, s[48:49]
	v_sub_u32_e32 v1, v58, v52
	s_waitcnt vmcnt(0)
	v_add_u32_e32 v0, v1, v0
	ds_write_b32 v70, v0
.LBB206_189:
	s_or_b64 exec, exec, s[4:5]
	v_add_u32_e32 v58, v74, v6
	s_movk_i32 s4, 0x400
	v_add_u32_e32 v37, 0x400, v70
	v_add3_u32 v61, v71, v61, v16
	v_add3_u32 v64, v68, v64, v66
	;; [unrolled: 1-line block ×15, first 2 shown]
	s_mov_b32 s5, 0
	s_mov_b32 s10, 3
	s_movk_i32 s11, 0x200
	s_movk_i32 s12, 0x600
	v_mov_b32_e32 v17, 0
	v_mov_b32_e32 v38, s43
	s_mov_b32 s13, 0
                                        ; implicit-def: $vgpr0
.LBB206_190:                            ; =>This Inner Loop Header: Depth=1
	v_add_u32_e32 v16, s5, v58
	v_add_u32_e32 v39, s5, v69
	v_add_u32_e32 v40, s5, v68
	v_add_u32_e32 v41, s5, v67
	v_add_u32_e32 v42, s5, v66
	v_add_u32_e32 v43, s5, v65
	v_add_u32_e32 v44, s5, v62
	v_add_u32_e32 v45, s5, v59
	v_add_u32_e32 v46, s5, v56
	v_add_u32_e32 v47, s5, v53
	v_add_u32_e32 v48, s5, v54
	v_add_u32_e32 v49, s5, v57
	v_add_u32_e32 v50, s5, v60
	v_add_u32_e32 v51, s5, v63
	v_add_u32_e32 v71, s5, v64
	v_add_u32_e32 v72, s5, v61
	v_min_u32_e32 v16, 0x800, v16
	v_min_u32_e32 v39, 0x800, v39
	;; [unrolled: 1-line block ×16, first 2 shown]
	v_lshlrev_b32_e32 v16, 2, v16
	v_lshlrev_b32_e32 v39, 2, v39
	;; [unrolled: 1-line block ×16, first 2 shown]
	ds_write_b32 v16, v21 offset:1024
	ds_write_b32 v39, v22 offset:1024
	;; [unrolled: 1-line block ×16, first 2 shown]
	s_waitcnt lgkmcnt(0)
	s_barrier
	ds_read_b32 v39, v70 offset:1024
	v_add_u32_e32 v73, s13, v18
	s_add_i32 s14, s10, -3
	s_add_i32 s15, s10, -2
	;; [unrolled: 1-line block ×3, first 2 shown]
	s_waitcnt lgkmcnt(0)
	v_lshrrev_b32_e32 v16, s52, v39
	v_and_b32_e32 v42, s16, v16
	v_lshlrev_b32_e32 v16, 2, v42
	ds_read_b32 v16, v16
	s_addk_i32 s13, 0x800
	s_addk_i32 s5, 0xf800
	s_waitcnt lgkmcnt(0)
	v_add_u32_e32 v16, v73, v16
	v_lshlrev_b64 v[40:41], 2, v[16:17]
	v_add_co_u32_e64 v40, s[0:1], s42, v40
	v_addc_co_u32_e64 v41, s[0:1], v38, v41, s[0:1]
	global_store_dword v[40:41], v39, off
	s_set_gpr_idx_on s14, gpr_idx(DST)
	v_mov_b32_e32 v0, v42
	s_set_gpr_idx_off
	ds_read_b32 v39, v37 offset:2048
	s_waitcnt lgkmcnt(0)
	v_lshrrev_b32_e32 v16, s52, v39
	v_and_b32_e32 v42, s16, v16
	v_lshlrev_b32_e32 v16, 2, v42
	ds_read_b32 v16, v16
	s_waitcnt lgkmcnt(0)
	v_add3_u32 v16, v73, v16, s11
	v_lshlrev_b64 v[40:41], 2, v[16:17]
	v_add_co_u32_e64 v40, s[0:1], s42, v40
	v_addc_co_u32_e64 v41, s[0:1], v38, v41, s[0:1]
	global_store_dword v[40:41], v39, off
	s_set_gpr_idx_on s15, gpr_idx(DST)
	v_mov_b32_e32 v0, v42
	s_set_gpr_idx_off
	ds_read_b32 v39, v37 offset:4096
	s_waitcnt lgkmcnt(0)
	v_lshrrev_b32_e32 v16, s52, v39
	v_and_b32_e32 v42, s16, v16
	v_lshlrev_b32_e32 v16, 2, v42
	ds_read_b32 v16, v16
	s_waitcnt lgkmcnt(0)
	v_add3_u32 v16, v73, v16, s4
	v_lshlrev_b64 v[40:41], 2, v[16:17]
	v_add_co_u32_e64 v40, s[0:1], s42, v40
	v_addc_co_u32_e64 v41, s[0:1], v38, v41, s[0:1]
	global_store_dword v[40:41], v39, off
	s_set_gpr_idx_on s17, gpr_idx(DST)
	v_mov_b32_e32 v0, v42
	s_set_gpr_idx_off
	ds_read_b32 v39, v37 offset:6144
	s_waitcnt lgkmcnt(0)
	v_lshrrev_b32_e32 v16, s52, v39
	v_and_b32_e32 v42, s16, v16
	v_lshlrev_b32_e32 v16, 2, v42
	ds_read_b32 v16, v16
	s_waitcnt lgkmcnt(0)
	v_add3_u32 v16, v73, v16, s12
	v_lshlrev_b64 v[40:41], 2, v[16:17]
	v_add_co_u32_e64 v40, s[0:1], s42, v40
	v_addc_co_u32_e64 v41, s[0:1], v38, v41, s[0:1]
	global_store_dword v[40:41], v39, off
	s_set_gpr_idx_on s10, gpr_idx(DST)
	v_mov_b32_e32 v0, v42
	s_set_gpr_idx_off
	s_add_i32 s10, s10, 4
	s_cmpk_lg_i32 s5, 0xe000
	s_barrier
	s_cbranch_scc1 .LBB206_190
; %bb.191:
	s_lshl_b64 s[0:1], s[8:9], 3
	s_add_u32 s0, s44, s0
	s_addc_u32 s1, s45, s1
	v_lshlrev_b32_e32 v16, 3, v20
	v_mov_b32_e32 v17, s1
	v_add_co_u32_e64 v16, s[0:1], s0, v16
	v_addc_co_u32_e64 v17, s[0:1], 0, v17, s[0:1]
	v_lshlrev_b32_e32 v19, 3, v19
	v_add_co_u32_e64 v34, s[0:1], v16, v19
	v_addc_co_u32_e64 v35, s[0:1], 0, v17, s[0:1]
	s_movk_i32 s0, 0x1000
	v_add_co_u32_e64 v50, s[0:1], s0, v34
	v_addc_co_u32_e64 v51, s[0:1], 0, v35, s[0:1]
	global_load_dwordx2 v[16:17], v[34:35], off
	global_load_dwordx2 v[20:21], v[34:35], off offset:512
	global_load_dwordx2 v[22:23], v[34:35], off offset:1024
	;; [unrolled: 1-line block ×7, first 2 shown]
	s_nop 0
	global_load_dwordx2 v[34:35], v[50:51], off
	global_load_dwordx2 v[36:37], v[50:51], off offset:512
	global_load_dwordx2 v[38:39], v[50:51], off offset:1024
	;; [unrolled: 1-line block ×7, first 2 shown]
	v_lshlrev_b32_e32 v19, 3, v18
	s_mov_b32 s4, 0
	v_add_u32_e32 v70, 0x400, v19
	s_mov_b32 s5, 1
	s_movk_i32 s8, 0x200
	v_mov_b32_e32 v51, 0
	v_mov_b32_e32 v71, v18
	s_waitcnt vmcnt(0)
.LBB206_192:                            ; =>This Inner Loop Header: Depth=1
	v_add_u32_e32 v50, s4, v58
	v_add_u32_e32 v72, s4, v69
	;; [unrolled: 1-line block ×16, first 2 shown]
	v_min_u32_e32 v50, 0x400, v50
	s_add_i32 s0, s5, -1
	v_min_u32_e32 v72, 0x400, v72
	v_min_u32_e32 v73, 0x400, v73
	;; [unrolled: 1-line block ×15, first 2 shown]
	v_lshlrev_b32_e32 v50, 3, v50
	v_lshlrev_b32_e32 v72, 3, v72
	;; [unrolled: 1-line block ×16, first 2 shown]
	ds_write_b64 v50, v[16:17] offset:1024
	ds_write_b64 v72, v[20:21] offset:1024
	ds_write_b64 v73, v[22:23] offset:1024
	ds_write_b64 v74, v[24:25] offset:1024
	ds_write_b64 v75, v[26:27] offset:1024
	ds_write_b64 v76, v[28:29] offset:1024
	ds_write_b64 v77, v[30:31] offset:1024
	ds_write_b64 v78, v[32:33] offset:1024
	ds_write_b64 v79, v[34:35] offset:1024
	ds_write_b64 v80, v[36:37] offset:1024
	ds_write_b64 v81, v[38:39] offset:1024
	ds_write_b64 v82, v[40:41] offset:1024
	ds_write_b64 v83, v[42:43] offset:1024
	ds_write_b64 v84, v[44:45] offset:1024
	ds_write_b64 v85, v[46:47] offset:1024
	ds_write_b64 v86, v[48:49] offset:1024
	s_waitcnt lgkmcnt(0)
	s_barrier
	s_set_gpr_idx_on s0, gpr_idx(SRC0)
	v_mov_b32_e32 v50, v0
	s_set_gpr_idx_off
	v_lshlrev_b32_e32 v50, 2, v50
	ds_read_b32 v50, v50
	ds_read_b64 v[72:73], v19 offset:1024
	v_mov_b32_e32 v87, s47
	s_addk_i32 s4, 0xfc00
	s_waitcnt lgkmcnt(1)
	v_add_u32_e32 v50, v71, v50
	v_lshlrev_b64 v[74:75], 3, v[50:51]
	v_add_co_u32_e64 v74, s[0:1], s46, v74
	v_addc_co_u32_e64 v75, s[0:1], v87, v75, s[0:1]
	s_waitcnt lgkmcnt(0)
	global_store_dwordx2 v[74:75], v[72:73], off
	s_set_gpr_idx_on s5, gpr_idx(SRC0)
	v_mov_b32_e32 v50, v0
	s_set_gpr_idx_off
	v_lshlrev_b32_e32 v50, 2, v50
	ds_read_b32 v50, v50
	ds_read_b64 v[72:73], v70 offset:4096
	s_add_i32 s5, s5, 2
	s_cmpk_lg_i32 s4, 0xe000
	s_waitcnt lgkmcnt(1)
	v_add3_u32 v50, v71, v50, s8
	v_lshlrev_b64 v[74:75], 3, v[50:51]
	v_add_co_u32_e64 v74, s[0:1], s46, v74
	v_add_u32_e32 v71, 0x400, v71
	v_addc_co_u32_e64 v75, s[0:1], v87, v75, s[0:1]
	s_waitcnt lgkmcnt(0)
	global_store_dwordx2 v[74:75], v[72:73], off
	s_barrier
	s_cbranch_scc1 .LBB206_192
; %bb.193:
	s_add_i32 s7, s7, -1
	s_cmp_eq_u32 s7, s6
	s_cselect_b64 s[0:1], -1, 0
	s_and_b64 s[4:5], vcc, s[0:1]
                                        ; implicit-def: $vgpr2
	s_and_saveexec_b64 s[0:1], s[4:5]
; %bb.194:
	v_add_u32_e32 v2, v52, v55
	s_or_b64 s[2:3], s[2:3], exec
; %bb.195:
	s_or_b64 exec, exec, s[0:1]
.LBB206_196:
	s_and_saveexec_b64 s[0:1], s[2:3]
	s_cbranch_execnz .LBB206_198
; %bb.197:
	s_endpgm
.LBB206_198:
	v_lshlrev_b32_e32 v3, 2, v18
	ds_read_b32 v3, v3
	v_mov_b32_e32 v19, 0
	v_lshlrev_b64 v[0:1], 2, v[18:19]
	v_mov_b32_e32 v4, s51
	v_add_co_u32_e32 v0, vcc, s50, v0
	v_addc_co_u32_e32 v1, vcc, v4, v1, vcc
	s_waitcnt lgkmcnt(0)
	v_add_u32_e32 v2, v3, v2
	global_store_dword v[0:1], v2, off
	s_endpgm
	.section	.rodata,"a",@progbits
	.p2align	6, 0x0
	.amdhsa_kernel _ZN7rocprim17ROCPRIM_400000_NS6detail17trampoline_kernelINS0_14default_configENS1_35radix_sort_onesweep_config_selectorIjN6thrust23THRUST_200600_302600_NS5tupleIffNS6_9null_typeES8_S8_S8_S8_S8_S8_S8_EEEEZZNS1_29radix_sort_onesweep_iterationIS3_Lb0ENS6_6detail15normal_iteratorINS6_10device_ptrIjEEEESG_NSD_INSE_IS9_EEEESI_jNS0_19identity_decomposerENS1_16block_id_wrapperIjLb0EEEEE10hipError_tT1_PNSt15iterator_traitsISN_E10value_typeET2_T3_PNSO_IST_E10value_typeET4_T5_PSY_SZ_PNS1_23onesweep_lookback_stateEbbT6_jjT7_P12ihipStream_tbENKUlT_T0_SN_SS_E_clISG_SG_SI_SI_EEDaS16_S17_SN_SS_EUlS16_E_NS1_11comp_targetILNS1_3genE4ELNS1_11target_archE910ELNS1_3gpuE8ELNS1_3repE0EEENS1_47radix_sort_onesweep_sort_config_static_selectorELNS0_4arch9wavefront6targetE1EEEvSN_
		.amdhsa_group_segment_fixed_size 10280
		.amdhsa_private_segment_fixed_size 0
		.amdhsa_kernarg_size 344
		.amdhsa_user_sgpr_count 6
		.amdhsa_user_sgpr_private_segment_buffer 1
		.amdhsa_user_sgpr_dispatch_ptr 0
		.amdhsa_user_sgpr_queue_ptr 0
		.amdhsa_user_sgpr_kernarg_segment_ptr 1
		.amdhsa_user_sgpr_dispatch_id 0
		.amdhsa_user_sgpr_flat_scratch_init 0
		.amdhsa_user_sgpr_kernarg_preload_length 0
		.amdhsa_user_sgpr_kernarg_preload_offset 0
		.amdhsa_user_sgpr_private_segment_size 0
		.amdhsa_uses_dynamic_stack 0
		.amdhsa_system_sgpr_private_segment_wavefront_offset 0
		.amdhsa_system_sgpr_workgroup_id_x 1
		.amdhsa_system_sgpr_workgroup_id_y 0
		.amdhsa_system_sgpr_workgroup_id_z 0
		.amdhsa_system_sgpr_workgroup_info 0
		.amdhsa_system_vgpr_workitem_id 2
		.amdhsa_next_free_vgpr 88
		.amdhsa_next_free_sgpr 69
		.amdhsa_accum_offset 88
		.amdhsa_reserve_vcc 1
		.amdhsa_reserve_flat_scratch 0
		.amdhsa_float_round_mode_32 0
		.amdhsa_float_round_mode_16_64 0
		.amdhsa_float_denorm_mode_32 3
		.amdhsa_float_denorm_mode_16_64 3
		.amdhsa_dx10_clamp 1
		.amdhsa_ieee_mode 1
		.amdhsa_fp16_overflow 0
		.amdhsa_tg_split 0
		.amdhsa_exception_fp_ieee_invalid_op 0
		.amdhsa_exception_fp_denorm_src 0
		.amdhsa_exception_fp_ieee_div_zero 0
		.amdhsa_exception_fp_ieee_overflow 0
		.amdhsa_exception_fp_ieee_underflow 0
		.amdhsa_exception_fp_ieee_inexact 0
		.amdhsa_exception_int_div_zero 0
	.end_amdhsa_kernel
	.section	.text._ZN7rocprim17ROCPRIM_400000_NS6detail17trampoline_kernelINS0_14default_configENS1_35radix_sort_onesweep_config_selectorIjN6thrust23THRUST_200600_302600_NS5tupleIffNS6_9null_typeES8_S8_S8_S8_S8_S8_S8_EEEEZZNS1_29radix_sort_onesweep_iterationIS3_Lb0ENS6_6detail15normal_iteratorINS6_10device_ptrIjEEEESG_NSD_INSE_IS9_EEEESI_jNS0_19identity_decomposerENS1_16block_id_wrapperIjLb0EEEEE10hipError_tT1_PNSt15iterator_traitsISN_E10value_typeET2_T3_PNSO_IST_E10value_typeET4_T5_PSY_SZ_PNS1_23onesweep_lookback_stateEbbT6_jjT7_P12ihipStream_tbENKUlT_T0_SN_SS_E_clISG_SG_SI_SI_EEDaS16_S17_SN_SS_EUlS16_E_NS1_11comp_targetILNS1_3genE4ELNS1_11target_archE910ELNS1_3gpuE8ELNS1_3repE0EEENS1_47radix_sort_onesweep_sort_config_static_selectorELNS0_4arch9wavefront6targetE1EEEvSN_,"axG",@progbits,_ZN7rocprim17ROCPRIM_400000_NS6detail17trampoline_kernelINS0_14default_configENS1_35radix_sort_onesweep_config_selectorIjN6thrust23THRUST_200600_302600_NS5tupleIffNS6_9null_typeES8_S8_S8_S8_S8_S8_S8_EEEEZZNS1_29radix_sort_onesweep_iterationIS3_Lb0ENS6_6detail15normal_iteratorINS6_10device_ptrIjEEEESG_NSD_INSE_IS9_EEEESI_jNS0_19identity_decomposerENS1_16block_id_wrapperIjLb0EEEEE10hipError_tT1_PNSt15iterator_traitsISN_E10value_typeET2_T3_PNSO_IST_E10value_typeET4_T5_PSY_SZ_PNS1_23onesweep_lookback_stateEbbT6_jjT7_P12ihipStream_tbENKUlT_T0_SN_SS_E_clISG_SG_SI_SI_EEDaS16_S17_SN_SS_EUlS16_E_NS1_11comp_targetILNS1_3genE4ELNS1_11target_archE910ELNS1_3gpuE8ELNS1_3repE0EEENS1_47radix_sort_onesweep_sort_config_static_selectorELNS0_4arch9wavefront6targetE1EEEvSN_,comdat
.Lfunc_end206:
	.size	_ZN7rocprim17ROCPRIM_400000_NS6detail17trampoline_kernelINS0_14default_configENS1_35radix_sort_onesweep_config_selectorIjN6thrust23THRUST_200600_302600_NS5tupleIffNS6_9null_typeES8_S8_S8_S8_S8_S8_S8_EEEEZZNS1_29radix_sort_onesweep_iterationIS3_Lb0ENS6_6detail15normal_iteratorINS6_10device_ptrIjEEEESG_NSD_INSE_IS9_EEEESI_jNS0_19identity_decomposerENS1_16block_id_wrapperIjLb0EEEEE10hipError_tT1_PNSt15iterator_traitsISN_E10value_typeET2_T3_PNSO_IST_E10value_typeET4_T5_PSY_SZ_PNS1_23onesweep_lookback_stateEbbT6_jjT7_P12ihipStream_tbENKUlT_T0_SN_SS_E_clISG_SG_SI_SI_EEDaS16_S17_SN_SS_EUlS16_E_NS1_11comp_targetILNS1_3genE4ELNS1_11target_archE910ELNS1_3gpuE8ELNS1_3repE0EEENS1_47radix_sort_onesweep_sort_config_static_selectorELNS0_4arch9wavefront6targetE1EEEvSN_, .Lfunc_end206-_ZN7rocprim17ROCPRIM_400000_NS6detail17trampoline_kernelINS0_14default_configENS1_35radix_sort_onesweep_config_selectorIjN6thrust23THRUST_200600_302600_NS5tupleIffNS6_9null_typeES8_S8_S8_S8_S8_S8_S8_EEEEZZNS1_29radix_sort_onesweep_iterationIS3_Lb0ENS6_6detail15normal_iteratorINS6_10device_ptrIjEEEESG_NSD_INSE_IS9_EEEESI_jNS0_19identity_decomposerENS1_16block_id_wrapperIjLb0EEEEE10hipError_tT1_PNSt15iterator_traitsISN_E10value_typeET2_T3_PNSO_IST_E10value_typeET4_T5_PSY_SZ_PNS1_23onesweep_lookback_stateEbbT6_jjT7_P12ihipStream_tbENKUlT_T0_SN_SS_E_clISG_SG_SI_SI_EEDaS16_S17_SN_SS_EUlS16_E_NS1_11comp_targetILNS1_3genE4ELNS1_11target_archE910ELNS1_3gpuE8ELNS1_3repE0EEENS1_47radix_sort_onesweep_sort_config_static_selectorELNS0_4arch9wavefront6targetE1EEEvSN_
                                        ; -- End function
	.section	.AMDGPU.csdata,"",@progbits
; Kernel info:
; codeLenInByte = 20304
; NumSgprs: 73
; NumVgprs: 88
; NumAgprs: 0
; TotalNumVgprs: 88
; ScratchSize: 0
; MemoryBound: 0
; FloatMode: 240
; IeeeMode: 1
; LDSByteSize: 10280 bytes/workgroup (compile time only)
; SGPRBlocks: 9
; VGPRBlocks: 10
; NumSGPRsForWavesPerEU: 73
; NumVGPRsForWavesPerEU: 88
; AccumOffset: 88
; Occupancy: 5
; WaveLimiterHint : 1
; COMPUTE_PGM_RSRC2:SCRATCH_EN: 0
; COMPUTE_PGM_RSRC2:USER_SGPR: 6
; COMPUTE_PGM_RSRC2:TRAP_HANDLER: 0
; COMPUTE_PGM_RSRC2:TGID_X_EN: 1
; COMPUTE_PGM_RSRC2:TGID_Y_EN: 0
; COMPUTE_PGM_RSRC2:TGID_Z_EN: 0
; COMPUTE_PGM_RSRC2:TIDIG_COMP_CNT: 2
; COMPUTE_PGM_RSRC3_GFX90A:ACCUM_OFFSET: 21
; COMPUTE_PGM_RSRC3_GFX90A:TG_SPLIT: 0
	.section	.text._ZN7rocprim17ROCPRIM_400000_NS6detail17trampoline_kernelINS0_14default_configENS1_35radix_sort_onesweep_config_selectorIjN6thrust23THRUST_200600_302600_NS5tupleIffNS6_9null_typeES8_S8_S8_S8_S8_S8_S8_EEEEZZNS1_29radix_sort_onesweep_iterationIS3_Lb0ENS6_6detail15normal_iteratorINS6_10device_ptrIjEEEESG_NSD_INSE_IS9_EEEESI_jNS0_19identity_decomposerENS1_16block_id_wrapperIjLb0EEEEE10hipError_tT1_PNSt15iterator_traitsISN_E10value_typeET2_T3_PNSO_IST_E10value_typeET4_T5_PSY_SZ_PNS1_23onesweep_lookback_stateEbbT6_jjT7_P12ihipStream_tbENKUlT_T0_SN_SS_E_clISG_SG_SI_SI_EEDaS16_S17_SN_SS_EUlS16_E_NS1_11comp_targetILNS1_3genE3ELNS1_11target_archE908ELNS1_3gpuE7ELNS1_3repE0EEENS1_47radix_sort_onesweep_sort_config_static_selectorELNS0_4arch9wavefront6targetE1EEEvSN_,"axG",@progbits,_ZN7rocprim17ROCPRIM_400000_NS6detail17trampoline_kernelINS0_14default_configENS1_35radix_sort_onesweep_config_selectorIjN6thrust23THRUST_200600_302600_NS5tupleIffNS6_9null_typeES8_S8_S8_S8_S8_S8_S8_EEEEZZNS1_29radix_sort_onesweep_iterationIS3_Lb0ENS6_6detail15normal_iteratorINS6_10device_ptrIjEEEESG_NSD_INSE_IS9_EEEESI_jNS0_19identity_decomposerENS1_16block_id_wrapperIjLb0EEEEE10hipError_tT1_PNSt15iterator_traitsISN_E10value_typeET2_T3_PNSO_IST_E10value_typeET4_T5_PSY_SZ_PNS1_23onesweep_lookback_stateEbbT6_jjT7_P12ihipStream_tbENKUlT_T0_SN_SS_E_clISG_SG_SI_SI_EEDaS16_S17_SN_SS_EUlS16_E_NS1_11comp_targetILNS1_3genE3ELNS1_11target_archE908ELNS1_3gpuE7ELNS1_3repE0EEENS1_47radix_sort_onesweep_sort_config_static_selectorELNS0_4arch9wavefront6targetE1EEEvSN_,comdat
	.protected	_ZN7rocprim17ROCPRIM_400000_NS6detail17trampoline_kernelINS0_14default_configENS1_35radix_sort_onesweep_config_selectorIjN6thrust23THRUST_200600_302600_NS5tupleIffNS6_9null_typeES8_S8_S8_S8_S8_S8_S8_EEEEZZNS1_29radix_sort_onesweep_iterationIS3_Lb0ENS6_6detail15normal_iteratorINS6_10device_ptrIjEEEESG_NSD_INSE_IS9_EEEESI_jNS0_19identity_decomposerENS1_16block_id_wrapperIjLb0EEEEE10hipError_tT1_PNSt15iterator_traitsISN_E10value_typeET2_T3_PNSO_IST_E10value_typeET4_T5_PSY_SZ_PNS1_23onesweep_lookback_stateEbbT6_jjT7_P12ihipStream_tbENKUlT_T0_SN_SS_E_clISG_SG_SI_SI_EEDaS16_S17_SN_SS_EUlS16_E_NS1_11comp_targetILNS1_3genE3ELNS1_11target_archE908ELNS1_3gpuE7ELNS1_3repE0EEENS1_47radix_sort_onesweep_sort_config_static_selectorELNS0_4arch9wavefront6targetE1EEEvSN_ ; -- Begin function _ZN7rocprim17ROCPRIM_400000_NS6detail17trampoline_kernelINS0_14default_configENS1_35radix_sort_onesweep_config_selectorIjN6thrust23THRUST_200600_302600_NS5tupleIffNS6_9null_typeES8_S8_S8_S8_S8_S8_S8_EEEEZZNS1_29radix_sort_onesweep_iterationIS3_Lb0ENS6_6detail15normal_iteratorINS6_10device_ptrIjEEEESG_NSD_INSE_IS9_EEEESI_jNS0_19identity_decomposerENS1_16block_id_wrapperIjLb0EEEEE10hipError_tT1_PNSt15iterator_traitsISN_E10value_typeET2_T3_PNSO_IST_E10value_typeET4_T5_PSY_SZ_PNS1_23onesweep_lookback_stateEbbT6_jjT7_P12ihipStream_tbENKUlT_T0_SN_SS_E_clISG_SG_SI_SI_EEDaS16_S17_SN_SS_EUlS16_E_NS1_11comp_targetILNS1_3genE3ELNS1_11target_archE908ELNS1_3gpuE7ELNS1_3repE0EEENS1_47radix_sort_onesweep_sort_config_static_selectorELNS0_4arch9wavefront6targetE1EEEvSN_
	.globl	_ZN7rocprim17ROCPRIM_400000_NS6detail17trampoline_kernelINS0_14default_configENS1_35radix_sort_onesweep_config_selectorIjN6thrust23THRUST_200600_302600_NS5tupleIffNS6_9null_typeES8_S8_S8_S8_S8_S8_S8_EEEEZZNS1_29radix_sort_onesweep_iterationIS3_Lb0ENS6_6detail15normal_iteratorINS6_10device_ptrIjEEEESG_NSD_INSE_IS9_EEEESI_jNS0_19identity_decomposerENS1_16block_id_wrapperIjLb0EEEEE10hipError_tT1_PNSt15iterator_traitsISN_E10value_typeET2_T3_PNSO_IST_E10value_typeET4_T5_PSY_SZ_PNS1_23onesweep_lookback_stateEbbT6_jjT7_P12ihipStream_tbENKUlT_T0_SN_SS_E_clISG_SG_SI_SI_EEDaS16_S17_SN_SS_EUlS16_E_NS1_11comp_targetILNS1_3genE3ELNS1_11target_archE908ELNS1_3gpuE7ELNS1_3repE0EEENS1_47radix_sort_onesweep_sort_config_static_selectorELNS0_4arch9wavefront6targetE1EEEvSN_
	.p2align	8
	.type	_ZN7rocprim17ROCPRIM_400000_NS6detail17trampoline_kernelINS0_14default_configENS1_35radix_sort_onesweep_config_selectorIjN6thrust23THRUST_200600_302600_NS5tupleIffNS6_9null_typeES8_S8_S8_S8_S8_S8_S8_EEEEZZNS1_29radix_sort_onesweep_iterationIS3_Lb0ENS6_6detail15normal_iteratorINS6_10device_ptrIjEEEESG_NSD_INSE_IS9_EEEESI_jNS0_19identity_decomposerENS1_16block_id_wrapperIjLb0EEEEE10hipError_tT1_PNSt15iterator_traitsISN_E10value_typeET2_T3_PNSO_IST_E10value_typeET4_T5_PSY_SZ_PNS1_23onesweep_lookback_stateEbbT6_jjT7_P12ihipStream_tbENKUlT_T0_SN_SS_E_clISG_SG_SI_SI_EEDaS16_S17_SN_SS_EUlS16_E_NS1_11comp_targetILNS1_3genE3ELNS1_11target_archE908ELNS1_3gpuE7ELNS1_3repE0EEENS1_47radix_sort_onesweep_sort_config_static_selectorELNS0_4arch9wavefront6targetE1EEEvSN_,@function
_ZN7rocprim17ROCPRIM_400000_NS6detail17trampoline_kernelINS0_14default_configENS1_35radix_sort_onesweep_config_selectorIjN6thrust23THRUST_200600_302600_NS5tupleIffNS6_9null_typeES8_S8_S8_S8_S8_S8_S8_EEEEZZNS1_29radix_sort_onesweep_iterationIS3_Lb0ENS6_6detail15normal_iteratorINS6_10device_ptrIjEEEESG_NSD_INSE_IS9_EEEESI_jNS0_19identity_decomposerENS1_16block_id_wrapperIjLb0EEEEE10hipError_tT1_PNSt15iterator_traitsISN_E10value_typeET2_T3_PNSO_IST_E10value_typeET4_T5_PSY_SZ_PNS1_23onesweep_lookback_stateEbbT6_jjT7_P12ihipStream_tbENKUlT_T0_SN_SS_E_clISG_SG_SI_SI_EEDaS16_S17_SN_SS_EUlS16_E_NS1_11comp_targetILNS1_3genE3ELNS1_11target_archE908ELNS1_3gpuE7ELNS1_3repE0EEENS1_47radix_sort_onesweep_sort_config_static_selectorELNS0_4arch9wavefront6targetE1EEEvSN_: ; @_ZN7rocprim17ROCPRIM_400000_NS6detail17trampoline_kernelINS0_14default_configENS1_35radix_sort_onesweep_config_selectorIjN6thrust23THRUST_200600_302600_NS5tupleIffNS6_9null_typeES8_S8_S8_S8_S8_S8_S8_EEEEZZNS1_29radix_sort_onesweep_iterationIS3_Lb0ENS6_6detail15normal_iteratorINS6_10device_ptrIjEEEESG_NSD_INSE_IS9_EEEESI_jNS0_19identity_decomposerENS1_16block_id_wrapperIjLb0EEEEE10hipError_tT1_PNSt15iterator_traitsISN_E10value_typeET2_T3_PNSO_IST_E10value_typeET4_T5_PSY_SZ_PNS1_23onesweep_lookback_stateEbbT6_jjT7_P12ihipStream_tbENKUlT_T0_SN_SS_E_clISG_SG_SI_SI_EEDaS16_S17_SN_SS_EUlS16_E_NS1_11comp_targetILNS1_3genE3ELNS1_11target_archE908ELNS1_3gpuE7ELNS1_3repE0EEENS1_47radix_sort_onesweep_sort_config_static_selectorELNS0_4arch9wavefront6targetE1EEEvSN_
; %bb.0:
	.section	.rodata,"a",@progbits
	.p2align	6, 0x0
	.amdhsa_kernel _ZN7rocprim17ROCPRIM_400000_NS6detail17trampoline_kernelINS0_14default_configENS1_35radix_sort_onesweep_config_selectorIjN6thrust23THRUST_200600_302600_NS5tupleIffNS6_9null_typeES8_S8_S8_S8_S8_S8_S8_EEEEZZNS1_29radix_sort_onesweep_iterationIS3_Lb0ENS6_6detail15normal_iteratorINS6_10device_ptrIjEEEESG_NSD_INSE_IS9_EEEESI_jNS0_19identity_decomposerENS1_16block_id_wrapperIjLb0EEEEE10hipError_tT1_PNSt15iterator_traitsISN_E10value_typeET2_T3_PNSO_IST_E10value_typeET4_T5_PSY_SZ_PNS1_23onesweep_lookback_stateEbbT6_jjT7_P12ihipStream_tbENKUlT_T0_SN_SS_E_clISG_SG_SI_SI_EEDaS16_S17_SN_SS_EUlS16_E_NS1_11comp_targetILNS1_3genE3ELNS1_11target_archE908ELNS1_3gpuE7ELNS1_3repE0EEENS1_47radix_sort_onesweep_sort_config_static_selectorELNS0_4arch9wavefront6targetE1EEEvSN_
		.amdhsa_group_segment_fixed_size 0
		.amdhsa_private_segment_fixed_size 0
		.amdhsa_kernarg_size 88
		.amdhsa_user_sgpr_count 6
		.amdhsa_user_sgpr_private_segment_buffer 1
		.amdhsa_user_sgpr_dispatch_ptr 0
		.amdhsa_user_sgpr_queue_ptr 0
		.amdhsa_user_sgpr_kernarg_segment_ptr 1
		.amdhsa_user_sgpr_dispatch_id 0
		.amdhsa_user_sgpr_flat_scratch_init 0
		.amdhsa_user_sgpr_kernarg_preload_length 0
		.amdhsa_user_sgpr_kernarg_preload_offset 0
		.amdhsa_user_sgpr_private_segment_size 0
		.amdhsa_uses_dynamic_stack 0
		.amdhsa_system_sgpr_private_segment_wavefront_offset 0
		.amdhsa_system_sgpr_workgroup_id_x 1
		.amdhsa_system_sgpr_workgroup_id_y 0
		.amdhsa_system_sgpr_workgroup_id_z 0
		.amdhsa_system_sgpr_workgroup_info 0
		.amdhsa_system_vgpr_workitem_id 0
		.amdhsa_next_free_vgpr 1
		.amdhsa_next_free_sgpr 0
		.amdhsa_accum_offset 4
		.amdhsa_reserve_vcc 0
		.amdhsa_reserve_flat_scratch 0
		.amdhsa_float_round_mode_32 0
		.amdhsa_float_round_mode_16_64 0
		.amdhsa_float_denorm_mode_32 3
		.amdhsa_float_denorm_mode_16_64 3
		.amdhsa_dx10_clamp 1
		.amdhsa_ieee_mode 1
		.amdhsa_fp16_overflow 0
		.amdhsa_tg_split 0
		.amdhsa_exception_fp_ieee_invalid_op 0
		.amdhsa_exception_fp_denorm_src 0
		.amdhsa_exception_fp_ieee_div_zero 0
		.amdhsa_exception_fp_ieee_overflow 0
		.amdhsa_exception_fp_ieee_underflow 0
		.amdhsa_exception_fp_ieee_inexact 0
		.amdhsa_exception_int_div_zero 0
	.end_amdhsa_kernel
	.section	.text._ZN7rocprim17ROCPRIM_400000_NS6detail17trampoline_kernelINS0_14default_configENS1_35radix_sort_onesweep_config_selectorIjN6thrust23THRUST_200600_302600_NS5tupleIffNS6_9null_typeES8_S8_S8_S8_S8_S8_S8_EEEEZZNS1_29radix_sort_onesweep_iterationIS3_Lb0ENS6_6detail15normal_iteratorINS6_10device_ptrIjEEEESG_NSD_INSE_IS9_EEEESI_jNS0_19identity_decomposerENS1_16block_id_wrapperIjLb0EEEEE10hipError_tT1_PNSt15iterator_traitsISN_E10value_typeET2_T3_PNSO_IST_E10value_typeET4_T5_PSY_SZ_PNS1_23onesweep_lookback_stateEbbT6_jjT7_P12ihipStream_tbENKUlT_T0_SN_SS_E_clISG_SG_SI_SI_EEDaS16_S17_SN_SS_EUlS16_E_NS1_11comp_targetILNS1_3genE3ELNS1_11target_archE908ELNS1_3gpuE7ELNS1_3repE0EEENS1_47radix_sort_onesweep_sort_config_static_selectorELNS0_4arch9wavefront6targetE1EEEvSN_,"axG",@progbits,_ZN7rocprim17ROCPRIM_400000_NS6detail17trampoline_kernelINS0_14default_configENS1_35radix_sort_onesweep_config_selectorIjN6thrust23THRUST_200600_302600_NS5tupleIffNS6_9null_typeES8_S8_S8_S8_S8_S8_S8_EEEEZZNS1_29radix_sort_onesweep_iterationIS3_Lb0ENS6_6detail15normal_iteratorINS6_10device_ptrIjEEEESG_NSD_INSE_IS9_EEEESI_jNS0_19identity_decomposerENS1_16block_id_wrapperIjLb0EEEEE10hipError_tT1_PNSt15iterator_traitsISN_E10value_typeET2_T3_PNSO_IST_E10value_typeET4_T5_PSY_SZ_PNS1_23onesweep_lookback_stateEbbT6_jjT7_P12ihipStream_tbENKUlT_T0_SN_SS_E_clISG_SG_SI_SI_EEDaS16_S17_SN_SS_EUlS16_E_NS1_11comp_targetILNS1_3genE3ELNS1_11target_archE908ELNS1_3gpuE7ELNS1_3repE0EEENS1_47radix_sort_onesweep_sort_config_static_selectorELNS0_4arch9wavefront6targetE1EEEvSN_,comdat
.Lfunc_end207:
	.size	_ZN7rocprim17ROCPRIM_400000_NS6detail17trampoline_kernelINS0_14default_configENS1_35radix_sort_onesweep_config_selectorIjN6thrust23THRUST_200600_302600_NS5tupleIffNS6_9null_typeES8_S8_S8_S8_S8_S8_S8_EEEEZZNS1_29radix_sort_onesweep_iterationIS3_Lb0ENS6_6detail15normal_iteratorINS6_10device_ptrIjEEEESG_NSD_INSE_IS9_EEEESI_jNS0_19identity_decomposerENS1_16block_id_wrapperIjLb0EEEEE10hipError_tT1_PNSt15iterator_traitsISN_E10value_typeET2_T3_PNSO_IST_E10value_typeET4_T5_PSY_SZ_PNS1_23onesweep_lookback_stateEbbT6_jjT7_P12ihipStream_tbENKUlT_T0_SN_SS_E_clISG_SG_SI_SI_EEDaS16_S17_SN_SS_EUlS16_E_NS1_11comp_targetILNS1_3genE3ELNS1_11target_archE908ELNS1_3gpuE7ELNS1_3repE0EEENS1_47radix_sort_onesweep_sort_config_static_selectorELNS0_4arch9wavefront6targetE1EEEvSN_, .Lfunc_end207-_ZN7rocprim17ROCPRIM_400000_NS6detail17trampoline_kernelINS0_14default_configENS1_35radix_sort_onesweep_config_selectorIjN6thrust23THRUST_200600_302600_NS5tupleIffNS6_9null_typeES8_S8_S8_S8_S8_S8_S8_EEEEZZNS1_29radix_sort_onesweep_iterationIS3_Lb0ENS6_6detail15normal_iteratorINS6_10device_ptrIjEEEESG_NSD_INSE_IS9_EEEESI_jNS0_19identity_decomposerENS1_16block_id_wrapperIjLb0EEEEE10hipError_tT1_PNSt15iterator_traitsISN_E10value_typeET2_T3_PNSO_IST_E10value_typeET4_T5_PSY_SZ_PNS1_23onesweep_lookback_stateEbbT6_jjT7_P12ihipStream_tbENKUlT_T0_SN_SS_E_clISG_SG_SI_SI_EEDaS16_S17_SN_SS_EUlS16_E_NS1_11comp_targetILNS1_3genE3ELNS1_11target_archE908ELNS1_3gpuE7ELNS1_3repE0EEENS1_47radix_sort_onesweep_sort_config_static_selectorELNS0_4arch9wavefront6targetE1EEEvSN_
                                        ; -- End function
	.section	.AMDGPU.csdata,"",@progbits
; Kernel info:
; codeLenInByte = 0
; NumSgprs: 4
; NumVgprs: 0
; NumAgprs: 0
; TotalNumVgprs: 0
; ScratchSize: 0
; MemoryBound: 0
; FloatMode: 240
; IeeeMode: 1
; LDSByteSize: 0 bytes/workgroup (compile time only)
; SGPRBlocks: 0
; VGPRBlocks: 0
; NumSGPRsForWavesPerEU: 4
; NumVGPRsForWavesPerEU: 1
; AccumOffset: 4
; Occupancy: 8
; WaveLimiterHint : 0
; COMPUTE_PGM_RSRC2:SCRATCH_EN: 0
; COMPUTE_PGM_RSRC2:USER_SGPR: 6
; COMPUTE_PGM_RSRC2:TRAP_HANDLER: 0
; COMPUTE_PGM_RSRC2:TGID_X_EN: 1
; COMPUTE_PGM_RSRC2:TGID_Y_EN: 0
; COMPUTE_PGM_RSRC2:TGID_Z_EN: 0
; COMPUTE_PGM_RSRC2:TIDIG_COMP_CNT: 0
; COMPUTE_PGM_RSRC3_GFX90A:ACCUM_OFFSET: 0
; COMPUTE_PGM_RSRC3_GFX90A:TG_SPLIT: 0
	.section	.text._ZN7rocprim17ROCPRIM_400000_NS6detail17trampoline_kernelINS0_14default_configENS1_35radix_sort_onesweep_config_selectorIjN6thrust23THRUST_200600_302600_NS5tupleIffNS6_9null_typeES8_S8_S8_S8_S8_S8_S8_EEEEZZNS1_29radix_sort_onesweep_iterationIS3_Lb0ENS6_6detail15normal_iteratorINS6_10device_ptrIjEEEESG_NSD_INSE_IS9_EEEESI_jNS0_19identity_decomposerENS1_16block_id_wrapperIjLb0EEEEE10hipError_tT1_PNSt15iterator_traitsISN_E10value_typeET2_T3_PNSO_IST_E10value_typeET4_T5_PSY_SZ_PNS1_23onesweep_lookback_stateEbbT6_jjT7_P12ihipStream_tbENKUlT_T0_SN_SS_E_clISG_SG_SI_SI_EEDaS16_S17_SN_SS_EUlS16_E_NS1_11comp_targetILNS1_3genE10ELNS1_11target_archE1201ELNS1_3gpuE5ELNS1_3repE0EEENS1_47radix_sort_onesweep_sort_config_static_selectorELNS0_4arch9wavefront6targetE1EEEvSN_,"axG",@progbits,_ZN7rocprim17ROCPRIM_400000_NS6detail17trampoline_kernelINS0_14default_configENS1_35radix_sort_onesweep_config_selectorIjN6thrust23THRUST_200600_302600_NS5tupleIffNS6_9null_typeES8_S8_S8_S8_S8_S8_S8_EEEEZZNS1_29radix_sort_onesweep_iterationIS3_Lb0ENS6_6detail15normal_iteratorINS6_10device_ptrIjEEEESG_NSD_INSE_IS9_EEEESI_jNS0_19identity_decomposerENS1_16block_id_wrapperIjLb0EEEEE10hipError_tT1_PNSt15iterator_traitsISN_E10value_typeET2_T3_PNSO_IST_E10value_typeET4_T5_PSY_SZ_PNS1_23onesweep_lookback_stateEbbT6_jjT7_P12ihipStream_tbENKUlT_T0_SN_SS_E_clISG_SG_SI_SI_EEDaS16_S17_SN_SS_EUlS16_E_NS1_11comp_targetILNS1_3genE10ELNS1_11target_archE1201ELNS1_3gpuE5ELNS1_3repE0EEENS1_47radix_sort_onesweep_sort_config_static_selectorELNS0_4arch9wavefront6targetE1EEEvSN_,comdat
	.protected	_ZN7rocprim17ROCPRIM_400000_NS6detail17trampoline_kernelINS0_14default_configENS1_35radix_sort_onesweep_config_selectorIjN6thrust23THRUST_200600_302600_NS5tupleIffNS6_9null_typeES8_S8_S8_S8_S8_S8_S8_EEEEZZNS1_29radix_sort_onesweep_iterationIS3_Lb0ENS6_6detail15normal_iteratorINS6_10device_ptrIjEEEESG_NSD_INSE_IS9_EEEESI_jNS0_19identity_decomposerENS1_16block_id_wrapperIjLb0EEEEE10hipError_tT1_PNSt15iterator_traitsISN_E10value_typeET2_T3_PNSO_IST_E10value_typeET4_T5_PSY_SZ_PNS1_23onesweep_lookback_stateEbbT6_jjT7_P12ihipStream_tbENKUlT_T0_SN_SS_E_clISG_SG_SI_SI_EEDaS16_S17_SN_SS_EUlS16_E_NS1_11comp_targetILNS1_3genE10ELNS1_11target_archE1201ELNS1_3gpuE5ELNS1_3repE0EEENS1_47radix_sort_onesweep_sort_config_static_selectorELNS0_4arch9wavefront6targetE1EEEvSN_ ; -- Begin function _ZN7rocprim17ROCPRIM_400000_NS6detail17trampoline_kernelINS0_14default_configENS1_35radix_sort_onesweep_config_selectorIjN6thrust23THRUST_200600_302600_NS5tupleIffNS6_9null_typeES8_S8_S8_S8_S8_S8_S8_EEEEZZNS1_29radix_sort_onesweep_iterationIS3_Lb0ENS6_6detail15normal_iteratorINS6_10device_ptrIjEEEESG_NSD_INSE_IS9_EEEESI_jNS0_19identity_decomposerENS1_16block_id_wrapperIjLb0EEEEE10hipError_tT1_PNSt15iterator_traitsISN_E10value_typeET2_T3_PNSO_IST_E10value_typeET4_T5_PSY_SZ_PNS1_23onesweep_lookback_stateEbbT6_jjT7_P12ihipStream_tbENKUlT_T0_SN_SS_E_clISG_SG_SI_SI_EEDaS16_S17_SN_SS_EUlS16_E_NS1_11comp_targetILNS1_3genE10ELNS1_11target_archE1201ELNS1_3gpuE5ELNS1_3repE0EEENS1_47radix_sort_onesweep_sort_config_static_selectorELNS0_4arch9wavefront6targetE1EEEvSN_
	.globl	_ZN7rocprim17ROCPRIM_400000_NS6detail17trampoline_kernelINS0_14default_configENS1_35radix_sort_onesweep_config_selectorIjN6thrust23THRUST_200600_302600_NS5tupleIffNS6_9null_typeES8_S8_S8_S8_S8_S8_S8_EEEEZZNS1_29radix_sort_onesweep_iterationIS3_Lb0ENS6_6detail15normal_iteratorINS6_10device_ptrIjEEEESG_NSD_INSE_IS9_EEEESI_jNS0_19identity_decomposerENS1_16block_id_wrapperIjLb0EEEEE10hipError_tT1_PNSt15iterator_traitsISN_E10value_typeET2_T3_PNSO_IST_E10value_typeET4_T5_PSY_SZ_PNS1_23onesweep_lookback_stateEbbT6_jjT7_P12ihipStream_tbENKUlT_T0_SN_SS_E_clISG_SG_SI_SI_EEDaS16_S17_SN_SS_EUlS16_E_NS1_11comp_targetILNS1_3genE10ELNS1_11target_archE1201ELNS1_3gpuE5ELNS1_3repE0EEENS1_47radix_sort_onesweep_sort_config_static_selectorELNS0_4arch9wavefront6targetE1EEEvSN_
	.p2align	8
	.type	_ZN7rocprim17ROCPRIM_400000_NS6detail17trampoline_kernelINS0_14default_configENS1_35radix_sort_onesweep_config_selectorIjN6thrust23THRUST_200600_302600_NS5tupleIffNS6_9null_typeES8_S8_S8_S8_S8_S8_S8_EEEEZZNS1_29radix_sort_onesweep_iterationIS3_Lb0ENS6_6detail15normal_iteratorINS6_10device_ptrIjEEEESG_NSD_INSE_IS9_EEEESI_jNS0_19identity_decomposerENS1_16block_id_wrapperIjLb0EEEEE10hipError_tT1_PNSt15iterator_traitsISN_E10value_typeET2_T3_PNSO_IST_E10value_typeET4_T5_PSY_SZ_PNS1_23onesweep_lookback_stateEbbT6_jjT7_P12ihipStream_tbENKUlT_T0_SN_SS_E_clISG_SG_SI_SI_EEDaS16_S17_SN_SS_EUlS16_E_NS1_11comp_targetILNS1_3genE10ELNS1_11target_archE1201ELNS1_3gpuE5ELNS1_3repE0EEENS1_47radix_sort_onesweep_sort_config_static_selectorELNS0_4arch9wavefront6targetE1EEEvSN_,@function
_ZN7rocprim17ROCPRIM_400000_NS6detail17trampoline_kernelINS0_14default_configENS1_35radix_sort_onesweep_config_selectorIjN6thrust23THRUST_200600_302600_NS5tupleIffNS6_9null_typeES8_S8_S8_S8_S8_S8_S8_EEEEZZNS1_29radix_sort_onesweep_iterationIS3_Lb0ENS6_6detail15normal_iteratorINS6_10device_ptrIjEEEESG_NSD_INSE_IS9_EEEESI_jNS0_19identity_decomposerENS1_16block_id_wrapperIjLb0EEEEE10hipError_tT1_PNSt15iterator_traitsISN_E10value_typeET2_T3_PNSO_IST_E10value_typeET4_T5_PSY_SZ_PNS1_23onesweep_lookback_stateEbbT6_jjT7_P12ihipStream_tbENKUlT_T0_SN_SS_E_clISG_SG_SI_SI_EEDaS16_S17_SN_SS_EUlS16_E_NS1_11comp_targetILNS1_3genE10ELNS1_11target_archE1201ELNS1_3gpuE5ELNS1_3repE0EEENS1_47radix_sort_onesweep_sort_config_static_selectorELNS0_4arch9wavefront6targetE1EEEvSN_: ; @_ZN7rocprim17ROCPRIM_400000_NS6detail17trampoline_kernelINS0_14default_configENS1_35radix_sort_onesweep_config_selectorIjN6thrust23THRUST_200600_302600_NS5tupleIffNS6_9null_typeES8_S8_S8_S8_S8_S8_S8_EEEEZZNS1_29radix_sort_onesweep_iterationIS3_Lb0ENS6_6detail15normal_iteratorINS6_10device_ptrIjEEEESG_NSD_INSE_IS9_EEEESI_jNS0_19identity_decomposerENS1_16block_id_wrapperIjLb0EEEEE10hipError_tT1_PNSt15iterator_traitsISN_E10value_typeET2_T3_PNSO_IST_E10value_typeET4_T5_PSY_SZ_PNS1_23onesweep_lookback_stateEbbT6_jjT7_P12ihipStream_tbENKUlT_T0_SN_SS_E_clISG_SG_SI_SI_EEDaS16_S17_SN_SS_EUlS16_E_NS1_11comp_targetILNS1_3genE10ELNS1_11target_archE1201ELNS1_3gpuE5ELNS1_3repE0EEENS1_47radix_sort_onesweep_sort_config_static_selectorELNS0_4arch9wavefront6targetE1EEEvSN_
; %bb.0:
	.section	.rodata,"a",@progbits
	.p2align	6, 0x0
	.amdhsa_kernel _ZN7rocprim17ROCPRIM_400000_NS6detail17trampoline_kernelINS0_14default_configENS1_35radix_sort_onesweep_config_selectorIjN6thrust23THRUST_200600_302600_NS5tupleIffNS6_9null_typeES8_S8_S8_S8_S8_S8_S8_EEEEZZNS1_29radix_sort_onesweep_iterationIS3_Lb0ENS6_6detail15normal_iteratorINS6_10device_ptrIjEEEESG_NSD_INSE_IS9_EEEESI_jNS0_19identity_decomposerENS1_16block_id_wrapperIjLb0EEEEE10hipError_tT1_PNSt15iterator_traitsISN_E10value_typeET2_T3_PNSO_IST_E10value_typeET4_T5_PSY_SZ_PNS1_23onesweep_lookback_stateEbbT6_jjT7_P12ihipStream_tbENKUlT_T0_SN_SS_E_clISG_SG_SI_SI_EEDaS16_S17_SN_SS_EUlS16_E_NS1_11comp_targetILNS1_3genE10ELNS1_11target_archE1201ELNS1_3gpuE5ELNS1_3repE0EEENS1_47radix_sort_onesweep_sort_config_static_selectorELNS0_4arch9wavefront6targetE1EEEvSN_
		.amdhsa_group_segment_fixed_size 0
		.amdhsa_private_segment_fixed_size 0
		.amdhsa_kernarg_size 88
		.amdhsa_user_sgpr_count 6
		.amdhsa_user_sgpr_private_segment_buffer 1
		.amdhsa_user_sgpr_dispatch_ptr 0
		.amdhsa_user_sgpr_queue_ptr 0
		.amdhsa_user_sgpr_kernarg_segment_ptr 1
		.amdhsa_user_sgpr_dispatch_id 0
		.amdhsa_user_sgpr_flat_scratch_init 0
		.amdhsa_user_sgpr_kernarg_preload_length 0
		.amdhsa_user_sgpr_kernarg_preload_offset 0
		.amdhsa_user_sgpr_private_segment_size 0
		.amdhsa_uses_dynamic_stack 0
		.amdhsa_system_sgpr_private_segment_wavefront_offset 0
		.amdhsa_system_sgpr_workgroup_id_x 1
		.amdhsa_system_sgpr_workgroup_id_y 0
		.amdhsa_system_sgpr_workgroup_id_z 0
		.amdhsa_system_sgpr_workgroup_info 0
		.amdhsa_system_vgpr_workitem_id 0
		.amdhsa_next_free_vgpr 1
		.amdhsa_next_free_sgpr 0
		.amdhsa_accum_offset 4
		.amdhsa_reserve_vcc 0
		.amdhsa_reserve_flat_scratch 0
		.amdhsa_float_round_mode_32 0
		.amdhsa_float_round_mode_16_64 0
		.amdhsa_float_denorm_mode_32 3
		.amdhsa_float_denorm_mode_16_64 3
		.amdhsa_dx10_clamp 1
		.amdhsa_ieee_mode 1
		.amdhsa_fp16_overflow 0
		.amdhsa_tg_split 0
		.amdhsa_exception_fp_ieee_invalid_op 0
		.amdhsa_exception_fp_denorm_src 0
		.amdhsa_exception_fp_ieee_div_zero 0
		.amdhsa_exception_fp_ieee_overflow 0
		.amdhsa_exception_fp_ieee_underflow 0
		.amdhsa_exception_fp_ieee_inexact 0
		.amdhsa_exception_int_div_zero 0
	.end_amdhsa_kernel
	.section	.text._ZN7rocprim17ROCPRIM_400000_NS6detail17trampoline_kernelINS0_14default_configENS1_35radix_sort_onesweep_config_selectorIjN6thrust23THRUST_200600_302600_NS5tupleIffNS6_9null_typeES8_S8_S8_S8_S8_S8_S8_EEEEZZNS1_29radix_sort_onesweep_iterationIS3_Lb0ENS6_6detail15normal_iteratorINS6_10device_ptrIjEEEESG_NSD_INSE_IS9_EEEESI_jNS0_19identity_decomposerENS1_16block_id_wrapperIjLb0EEEEE10hipError_tT1_PNSt15iterator_traitsISN_E10value_typeET2_T3_PNSO_IST_E10value_typeET4_T5_PSY_SZ_PNS1_23onesweep_lookback_stateEbbT6_jjT7_P12ihipStream_tbENKUlT_T0_SN_SS_E_clISG_SG_SI_SI_EEDaS16_S17_SN_SS_EUlS16_E_NS1_11comp_targetILNS1_3genE10ELNS1_11target_archE1201ELNS1_3gpuE5ELNS1_3repE0EEENS1_47radix_sort_onesweep_sort_config_static_selectorELNS0_4arch9wavefront6targetE1EEEvSN_,"axG",@progbits,_ZN7rocprim17ROCPRIM_400000_NS6detail17trampoline_kernelINS0_14default_configENS1_35radix_sort_onesweep_config_selectorIjN6thrust23THRUST_200600_302600_NS5tupleIffNS6_9null_typeES8_S8_S8_S8_S8_S8_S8_EEEEZZNS1_29radix_sort_onesweep_iterationIS3_Lb0ENS6_6detail15normal_iteratorINS6_10device_ptrIjEEEESG_NSD_INSE_IS9_EEEESI_jNS0_19identity_decomposerENS1_16block_id_wrapperIjLb0EEEEE10hipError_tT1_PNSt15iterator_traitsISN_E10value_typeET2_T3_PNSO_IST_E10value_typeET4_T5_PSY_SZ_PNS1_23onesweep_lookback_stateEbbT6_jjT7_P12ihipStream_tbENKUlT_T0_SN_SS_E_clISG_SG_SI_SI_EEDaS16_S17_SN_SS_EUlS16_E_NS1_11comp_targetILNS1_3genE10ELNS1_11target_archE1201ELNS1_3gpuE5ELNS1_3repE0EEENS1_47radix_sort_onesweep_sort_config_static_selectorELNS0_4arch9wavefront6targetE1EEEvSN_,comdat
.Lfunc_end208:
	.size	_ZN7rocprim17ROCPRIM_400000_NS6detail17trampoline_kernelINS0_14default_configENS1_35radix_sort_onesweep_config_selectorIjN6thrust23THRUST_200600_302600_NS5tupleIffNS6_9null_typeES8_S8_S8_S8_S8_S8_S8_EEEEZZNS1_29radix_sort_onesweep_iterationIS3_Lb0ENS6_6detail15normal_iteratorINS6_10device_ptrIjEEEESG_NSD_INSE_IS9_EEEESI_jNS0_19identity_decomposerENS1_16block_id_wrapperIjLb0EEEEE10hipError_tT1_PNSt15iterator_traitsISN_E10value_typeET2_T3_PNSO_IST_E10value_typeET4_T5_PSY_SZ_PNS1_23onesweep_lookback_stateEbbT6_jjT7_P12ihipStream_tbENKUlT_T0_SN_SS_E_clISG_SG_SI_SI_EEDaS16_S17_SN_SS_EUlS16_E_NS1_11comp_targetILNS1_3genE10ELNS1_11target_archE1201ELNS1_3gpuE5ELNS1_3repE0EEENS1_47radix_sort_onesweep_sort_config_static_selectorELNS0_4arch9wavefront6targetE1EEEvSN_, .Lfunc_end208-_ZN7rocprim17ROCPRIM_400000_NS6detail17trampoline_kernelINS0_14default_configENS1_35radix_sort_onesweep_config_selectorIjN6thrust23THRUST_200600_302600_NS5tupleIffNS6_9null_typeES8_S8_S8_S8_S8_S8_S8_EEEEZZNS1_29radix_sort_onesweep_iterationIS3_Lb0ENS6_6detail15normal_iteratorINS6_10device_ptrIjEEEESG_NSD_INSE_IS9_EEEESI_jNS0_19identity_decomposerENS1_16block_id_wrapperIjLb0EEEEE10hipError_tT1_PNSt15iterator_traitsISN_E10value_typeET2_T3_PNSO_IST_E10value_typeET4_T5_PSY_SZ_PNS1_23onesweep_lookback_stateEbbT6_jjT7_P12ihipStream_tbENKUlT_T0_SN_SS_E_clISG_SG_SI_SI_EEDaS16_S17_SN_SS_EUlS16_E_NS1_11comp_targetILNS1_3genE10ELNS1_11target_archE1201ELNS1_3gpuE5ELNS1_3repE0EEENS1_47radix_sort_onesweep_sort_config_static_selectorELNS0_4arch9wavefront6targetE1EEEvSN_
                                        ; -- End function
	.section	.AMDGPU.csdata,"",@progbits
; Kernel info:
; codeLenInByte = 0
; NumSgprs: 4
; NumVgprs: 0
; NumAgprs: 0
; TotalNumVgprs: 0
; ScratchSize: 0
; MemoryBound: 0
; FloatMode: 240
; IeeeMode: 1
; LDSByteSize: 0 bytes/workgroup (compile time only)
; SGPRBlocks: 0
; VGPRBlocks: 0
; NumSGPRsForWavesPerEU: 4
; NumVGPRsForWavesPerEU: 1
; AccumOffset: 4
; Occupancy: 8
; WaveLimiterHint : 0
; COMPUTE_PGM_RSRC2:SCRATCH_EN: 0
; COMPUTE_PGM_RSRC2:USER_SGPR: 6
; COMPUTE_PGM_RSRC2:TRAP_HANDLER: 0
; COMPUTE_PGM_RSRC2:TGID_X_EN: 1
; COMPUTE_PGM_RSRC2:TGID_Y_EN: 0
; COMPUTE_PGM_RSRC2:TGID_Z_EN: 0
; COMPUTE_PGM_RSRC2:TIDIG_COMP_CNT: 0
; COMPUTE_PGM_RSRC3_GFX90A:ACCUM_OFFSET: 0
; COMPUTE_PGM_RSRC3_GFX90A:TG_SPLIT: 0
	.section	.text._ZN7rocprim17ROCPRIM_400000_NS6detail17trampoline_kernelINS0_14default_configENS1_35radix_sort_onesweep_config_selectorIjN6thrust23THRUST_200600_302600_NS5tupleIffNS6_9null_typeES8_S8_S8_S8_S8_S8_S8_EEEEZZNS1_29radix_sort_onesweep_iterationIS3_Lb0ENS6_6detail15normal_iteratorINS6_10device_ptrIjEEEESG_NSD_INSE_IS9_EEEESI_jNS0_19identity_decomposerENS1_16block_id_wrapperIjLb0EEEEE10hipError_tT1_PNSt15iterator_traitsISN_E10value_typeET2_T3_PNSO_IST_E10value_typeET4_T5_PSY_SZ_PNS1_23onesweep_lookback_stateEbbT6_jjT7_P12ihipStream_tbENKUlT_T0_SN_SS_E_clISG_SG_SI_SI_EEDaS16_S17_SN_SS_EUlS16_E_NS1_11comp_targetILNS1_3genE9ELNS1_11target_archE1100ELNS1_3gpuE3ELNS1_3repE0EEENS1_47radix_sort_onesweep_sort_config_static_selectorELNS0_4arch9wavefront6targetE1EEEvSN_,"axG",@progbits,_ZN7rocprim17ROCPRIM_400000_NS6detail17trampoline_kernelINS0_14default_configENS1_35radix_sort_onesweep_config_selectorIjN6thrust23THRUST_200600_302600_NS5tupleIffNS6_9null_typeES8_S8_S8_S8_S8_S8_S8_EEEEZZNS1_29radix_sort_onesweep_iterationIS3_Lb0ENS6_6detail15normal_iteratorINS6_10device_ptrIjEEEESG_NSD_INSE_IS9_EEEESI_jNS0_19identity_decomposerENS1_16block_id_wrapperIjLb0EEEEE10hipError_tT1_PNSt15iterator_traitsISN_E10value_typeET2_T3_PNSO_IST_E10value_typeET4_T5_PSY_SZ_PNS1_23onesweep_lookback_stateEbbT6_jjT7_P12ihipStream_tbENKUlT_T0_SN_SS_E_clISG_SG_SI_SI_EEDaS16_S17_SN_SS_EUlS16_E_NS1_11comp_targetILNS1_3genE9ELNS1_11target_archE1100ELNS1_3gpuE3ELNS1_3repE0EEENS1_47radix_sort_onesweep_sort_config_static_selectorELNS0_4arch9wavefront6targetE1EEEvSN_,comdat
	.protected	_ZN7rocprim17ROCPRIM_400000_NS6detail17trampoline_kernelINS0_14default_configENS1_35radix_sort_onesweep_config_selectorIjN6thrust23THRUST_200600_302600_NS5tupleIffNS6_9null_typeES8_S8_S8_S8_S8_S8_S8_EEEEZZNS1_29radix_sort_onesweep_iterationIS3_Lb0ENS6_6detail15normal_iteratorINS6_10device_ptrIjEEEESG_NSD_INSE_IS9_EEEESI_jNS0_19identity_decomposerENS1_16block_id_wrapperIjLb0EEEEE10hipError_tT1_PNSt15iterator_traitsISN_E10value_typeET2_T3_PNSO_IST_E10value_typeET4_T5_PSY_SZ_PNS1_23onesweep_lookback_stateEbbT6_jjT7_P12ihipStream_tbENKUlT_T0_SN_SS_E_clISG_SG_SI_SI_EEDaS16_S17_SN_SS_EUlS16_E_NS1_11comp_targetILNS1_3genE9ELNS1_11target_archE1100ELNS1_3gpuE3ELNS1_3repE0EEENS1_47radix_sort_onesweep_sort_config_static_selectorELNS0_4arch9wavefront6targetE1EEEvSN_ ; -- Begin function _ZN7rocprim17ROCPRIM_400000_NS6detail17trampoline_kernelINS0_14default_configENS1_35radix_sort_onesweep_config_selectorIjN6thrust23THRUST_200600_302600_NS5tupleIffNS6_9null_typeES8_S8_S8_S8_S8_S8_S8_EEEEZZNS1_29radix_sort_onesweep_iterationIS3_Lb0ENS6_6detail15normal_iteratorINS6_10device_ptrIjEEEESG_NSD_INSE_IS9_EEEESI_jNS0_19identity_decomposerENS1_16block_id_wrapperIjLb0EEEEE10hipError_tT1_PNSt15iterator_traitsISN_E10value_typeET2_T3_PNSO_IST_E10value_typeET4_T5_PSY_SZ_PNS1_23onesweep_lookback_stateEbbT6_jjT7_P12ihipStream_tbENKUlT_T0_SN_SS_E_clISG_SG_SI_SI_EEDaS16_S17_SN_SS_EUlS16_E_NS1_11comp_targetILNS1_3genE9ELNS1_11target_archE1100ELNS1_3gpuE3ELNS1_3repE0EEENS1_47radix_sort_onesweep_sort_config_static_selectorELNS0_4arch9wavefront6targetE1EEEvSN_
	.globl	_ZN7rocprim17ROCPRIM_400000_NS6detail17trampoline_kernelINS0_14default_configENS1_35radix_sort_onesweep_config_selectorIjN6thrust23THRUST_200600_302600_NS5tupleIffNS6_9null_typeES8_S8_S8_S8_S8_S8_S8_EEEEZZNS1_29radix_sort_onesweep_iterationIS3_Lb0ENS6_6detail15normal_iteratorINS6_10device_ptrIjEEEESG_NSD_INSE_IS9_EEEESI_jNS0_19identity_decomposerENS1_16block_id_wrapperIjLb0EEEEE10hipError_tT1_PNSt15iterator_traitsISN_E10value_typeET2_T3_PNSO_IST_E10value_typeET4_T5_PSY_SZ_PNS1_23onesweep_lookback_stateEbbT6_jjT7_P12ihipStream_tbENKUlT_T0_SN_SS_E_clISG_SG_SI_SI_EEDaS16_S17_SN_SS_EUlS16_E_NS1_11comp_targetILNS1_3genE9ELNS1_11target_archE1100ELNS1_3gpuE3ELNS1_3repE0EEENS1_47radix_sort_onesweep_sort_config_static_selectorELNS0_4arch9wavefront6targetE1EEEvSN_
	.p2align	8
	.type	_ZN7rocprim17ROCPRIM_400000_NS6detail17trampoline_kernelINS0_14default_configENS1_35radix_sort_onesweep_config_selectorIjN6thrust23THRUST_200600_302600_NS5tupleIffNS6_9null_typeES8_S8_S8_S8_S8_S8_S8_EEEEZZNS1_29radix_sort_onesweep_iterationIS3_Lb0ENS6_6detail15normal_iteratorINS6_10device_ptrIjEEEESG_NSD_INSE_IS9_EEEESI_jNS0_19identity_decomposerENS1_16block_id_wrapperIjLb0EEEEE10hipError_tT1_PNSt15iterator_traitsISN_E10value_typeET2_T3_PNSO_IST_E10value_typeET4_T5_PSY_SZ_PNS1_23onesweep_lookback_stateEbbT6_jjT7_P12ihipStream_tbENKUlT_T0_SN_SS_E_clISG_SG_SI_SI_EEDaS16_S17_SN_SS_EUlS16_E_NS1_11comp_targetILNS1_3genE9ELNS1_11target_archE1100ELNS1_3gpuE3ELNS1_3repE0EEENS1_47radix_sort_onesweep_sort_config_static_selectorELNS0_4arch9wavefront6targetE1EEEvSN_,@function
_ZN7rocprim17ROCPRIM_400000_NS6detail17trampoline_kernelINS0_14default_configENS1_35radix_sort_onesweep_config_selectorIjN6thrust23THRUST_200600_302600_NS5tupleIffNS6_9null_typeES8_S8_S8_S8_S8_S8_S8_EEEEZZNS1_29radix_sort_onesweep_iterationIS3_Lb0ENS6_6detail15normal_iteratorINS6_10device_ptrIjEEEESG_NSD_INSE_IS9_EEEESI_jNS0_19identity_decomposerENS1_16block_id_wrapperIjLb0EEEEE10hipError_tT1_PNSt15iterator_traitsISN_E10value_typeET2_T3_PNSO_IST_E10value_typeET4_T5_PSY_SZ_PNS1_23onesweep_lookback_stateEbbT6_jjT7_P12ihipStream_tbENKUlT_T0_SN_SS_E_clISG_SG_SI_SI_EEDaS16_S17_SN_SS_EUlS16_E_NS1_11comp_targetILNS1_3genE9ELNS1_11target_archE1100ELNS1_3gpuE3ELNS1_3repE0EEENS1_47radix_sort_onesweep_sort_config_static_selectorELNS0_4arch9wavefront6targetE1EEEvSN_: ; @_ZN7rocprim17ROCPRIM_400000_NS6detail17trampoline_kernelINS0_14default_configENS1_35radix_sort_onesweep_config_selectorIjN6thrust23THRUST_200600_302600_NS5tupleIffNS6_9null_typeES8_S8_S8_S8_S8_S8_S8_EEEEZZNS1_29radix_sort_onesweep_iterationIS3_Lb0ENS6_6detail15normal_iteratorINS6_10device_ptrIjEEEESG_NSD_INSE_IS9_EEEESI_jNS0_19identity_decomposerENS1_16block_id_wrapperIjLb0EEEEE10hipError_tT1_PNSt15iterator_traitsISN_E10value_typeET2_T3_PNSO_IST_E10value_typeET4_T5_PSY_SZ_PNS1_23onesweep_lookback_stateEbbT6_jjT7_P12ihipStream_tbENKUlT_T0_SN_SS_E_clISG_SG_SI_SI_EEDaS16_S17_SN_SS_EUlS16_E_NS1_11comp_targetILNS1_3genE9ELNS1_11target_archE1100ELNS1_3gpuE3ELNS1_3repE0EEENS1_47radix_sort_onesweep_sort_config_static_selectorELNS0_4arch9wavefront6targetE1EEEvSN_
; %bb.0:
	.section	.rodata,"a",@progbits
	.p2align	6, 0x0
	.amdhsa_kernel _ZN7rocprim17ROCPRIM_400000_NS6detail17trampoline_kernelINS0_14default_configENS1_35radix_sort_onesweep_config_selectorIjN6thrust23THRUST_200600_302600_NS5tupleIffNS6_9null_typeES8_S8_S8_S8_S8_S8_S8_EEEEZZNS1_29radix_sort_onesweep_iterationIS3_Lb0ENS6_6detail15normal_iteratorINS6_10device_ptrIjEEEESG_NSD_INSE_IS9_EEEESI_jNS0_19identity_decomposerENS1_16block_id_wrapperIjLb0EEEEE10hipError_tT1_PNSt15iterator_traitsISN_E10value_typeET2_T3_PNSO_IST_E10value_typeET4_T5_PSY_SZ_PNS1_23onesweep_lookback_stateEbbT6_jjT7_P12ihipStream_tbENKUlT_T0_SN_SS_E_clISG_SG_SI_SI_EEDaS16_S17_SN_SS_EUlS16_E_NS1_11comp_targetILNS1_3genE9ELNS1_11target_archE1100ELNS1_3gpuE3ELNS1_3repE0EEENS1_47radix_sort_onesweep_sort_config_static_selectorELNS0_4arch9wavefront6targetE1EEEvSN_
		.amdhsa_group_segment_fixed_size 0
		.amdhsa_private_segment_fixed_size 0
		.amdhsa_kernarg_size 88
		.amdhsa_user_sgpr_count 6
		.amdhsa_user_sgpr_private_segment_buffer 1
		.amdhsa_user_sgpr_dispatch_ptr 0
		.amdhsa_user_sgpr_queue_ptr 0
		.amdhsa_user_sgpr_kernarg_segment_ptr 1
		.amdhsa_user_sgpr_dispatch_id 0
		.amdhsa_user_sgpr_flat_scratch_init 0
		.amdhsa_user_sgpr_kernarg_preload_length 0
		.amdhsa_user_sgpr_kernarg_preload_offset 0
		.amdhsa_user_sgpr_private_segment_size 0
		.amdhsa_uses_dynamic_stack 0
		.amdhsa_system_sgpr_private_segment_wavefront_offset 0
		.amdhsa_system_sgpr_workgroup_id_x 1
		.amdhsa_system_sgpr_workgroup_id_y 0
		.amdhsa_system_sgpr_workgroup_id_z 0
		.amdhsa_system_sgpr_workgroup_info 0
		.amdhsa_system_vgpr_workitem_id 0
		.amdhsa_next_free_vgpr 1
		.amdhsa_next_free_sgpr 0
		.amdhsa_accum_offset 4
		.amdhsa_reserve_vcc 0
		.amdhsa_reserve_flat_scratch 0
		.amdhsa_float_round_mode_32 0
		.amdhsa_float_round_mode_16_64 0
		.amdhsa_float_denorm_mode_32 3
		.amdhsa_float_denorm_mode_16_64 3
		.amdhsa_dx10_clamp 1
		.amdhsa_ieee_mode 1
		.amdhsa_fp16_overflow 0
		.amdhsa_tg_split 0
		.amdhsa_exception_fp_ieee_invalid_op 0
		.amdhsa_exception_fp_denorm_src 0
		.amdhsa_exception_fp_ieee_div_zero 0
		.amdhsa_exception_fp_ieee_overflow 0
		.amdhsa_exception_fp_ieee_underflow 0
		.amdhsa_exception_fp_ieee_inexact 0
		.amdhsa_exception_int_div_zero 0
	.end_amdhsa_kernel
	.section	.text._ZN7rocprim17ROCPRIM_400000_NS6detail17trampoline_kernelINS0_14default_configENS1_35radix_sort_onesweep_config_selectorIjN6thrust23THRUST_200600_302600_NS5tupleIffNS6_9null_typeES8_S8_S8_S8_S8_S8_S8_EEEEZZNS1_29radix_sort_onesweep_iterationIS3_Lb0ENS6_6detail15normal_iteratorINS6_10device_ptrIjEEEESG_NSD_INSE_IS9_EEEESI_jNS0_19identity_decomposerENS1_16block_id_wrapperIjLb0EEEEE10hipError_tT1_PNSt15iterator_traitsISN_E10value_typeET2_T3_PNSO_IST_E10value_typeET4_T5_PSY_SZ_PNS1_23onesweep_lookback_stateEbbT6_jjT7_P12ihipStream_tbENKUlT_T0_SN_SS_E_clISG_SG_SI_SI_EEDaS16_S17_SN_SS_EUlS16_E_NS1_11comp_targetILNS1_3genE9ELNS1_11target_archE1100ELNS1_3gpuE3ELNS1_3repE0EEENS1_47radix_sort_onesweep_sort_config_static_selectorELNS0_4arch9wavefront6targetE1EEEvSN_,"axG",@progbits,_ZN7rocprim17ROCPRIM_400000_NS6detail17trampoline_kernelINS0_14default_configENS1_35radix_sort_onesweep_config_selectorIjN6thrust23THRUST_200600_302600_NS5tupleIffNS6_9null_typeES8_S8_S8_S8_S8_S8_S8_EEEEZZNS1_29radix_sort_onesweep_iterationIS3_Lb0ENS6_6detail15normal_iteratorINS6_10device_ptrIjEEEESG_NSD_INSE_IS9_EEEESI_jNS0_19identity_decomposerENS1_16block_id_wrapperIjLb0EEEEE10hipError_tT1_PNSt15iterator_traitsISN_E10value_typeET2_T3_PNSO_IST_E10value_typeET4_T5_PSY_SZ_PNS1_23onesweep_lookback_stateEbbT6_jjT7_P12ihipStream_tbENKUlT_T0_SN_SS_E_clISG_SG_SI_SI_EEDaS16_S17_SN_SS_EUlS16_E_NS1_11comp_targetILNS1_3genE9ELNS1_11target_archE1100ELNS1_3gpuE3ELNS1_3repE0EEENS1_47radix_sort_onesweep_sort_config_static_selectorELNS0_4arch9wavefront6targetE1EEEvSN_,comdat
.Lfunc_end209:
	.size	_ZN7rocprim17ROCPRIM_400000_NS6detail17trampoline_kernelINS0_14default_configENS1_35radix_sort_onesweep_config_selectorIjN6thrust23THRUST_200600_302600_NS5tupleIffNS6_9null_typeES8_S8_S8_S8_S8_S8_S8_EEEEZZNS1_29radix_sort_onesweep_iterationIS3_Lb0ENS6_6detail15normal_iteratorINS6_10device_ptrIjEEEESG_NSD_INSE_IS9_EEEESI_jNS0_19identity_decomposerENS1_16block_id_wrapperIjLb0EEEEE10hipError_tT1_PNSt15iterator_traitsISN_E10value_typeET2_T3_PNSO_IST_E10value_typeET4_T5_PSY_SZ_PNS1_23onesweep_lookback_stateEbbT6_jjT7_P12ihipStream_tbENKUlT_T0_SN_SS_E_clISG_SG_SI_SI_EEDaS16_S17_SN_SS_EUlS16_E_NS1_11comp_targetILNS1_3genE9ELNS1_11target_archE1100ELNS1_3gpuE3ELNS1_3repE0EEENS1_47radix_sort_onesweep_sort_config_static_selectorELNS0_4arch9wavefront6targetE1EEEvSN_, .Lfunc_end209-_ZN7rocprim17ROCPRIM_400000_NS6detail17trampoline_kernelINS0_14default_configENS1_35radix_sort_onesweep_config_selectorIjN6thrust23THRUST_200600_302600_NS5tupleIffNS6_9null_typeES8_S8_S8_S8_S8_S8_S8_EEEEZZNS1_29radix_sort_onesweep_iterationIS3_Lb0ENS6_6detail15normal_iteratorINS6_10device_ptrIjEEEESG_NSD_INSE_IS9_EEEESI_jNS0_19identity_decomposerENS1_16block_id_wrapperIjLb0EEEEE10hipError_tT1_PNSt15iterator_traitsISN_E10value_typeET2_T3_PNSO_IST_E10value_typeET4_T5_PSY_SZ_PNS1_23onesweep_lookback_stateEbbT6_jjT7_P12ihipStream_tbENKUlT_T0_SN_SS_E_clISG_SG_SI_SI_EEDaS16_S17_SN_SS_EUlS16_E_NS1_11comp_targetILNS1_3genE9ELNS1_11target_archE1100ELNS1_3gpuE3ELNS1_3repE0EEENS1_47radix_sort_onesweep_sort_config_static_selectorELNS0_4arch9wavefront6targetE1EEEvSN_
                                        ; -- End function
	.section	.AMDGPU.csdata,"",@progbits
; Kernel info:
; codeLenInByte = 0
; NumSgprs: 4
; NumVgprs: 0
; NumAgprs: 0
; TotalNumVgprs: 0
; ScratchSize: 0
; MemoryBound: 0
; FloatMode: 240
; IeeeMode: 1
; LDSByteSize: 0 bytes/workgroup (compile time only)
; SGPRBlocks: 0
; VGPRBlocks: 0
; NumSGPRsForWavesPerEU: 4
; NumVGPRsForWavesPerEU: 1
; AccumOffset: 4
; Occupancy: 8
; WaveLimiterHint : 0
; COMPUTE_PGM_RSRC2:SCRATCH_EN: 0
; COMPUTE_PGM_RSRC2:USER_SGPR: 6
; COMPUTE_PGM_RSRC2:TRAP_HANDLER: 0
; COMPUTE_PGM_RSRC2:TGID_X_EN: 1
; COMPUTE_PGM_RSRC2:TGID_Y_EN: 0
; COMPUTE_PGM_RSRC2:TGID_Z_EN: 0
; COMPUTE_PGM_RSRC2:TIDIG_COMP_CNT: 0
; COMPUTE_PGM_RSRC3_GFX90A:ACCUM_OFFSET: 0
; COMPUTE_PGM_RSRC3_GFX90A:TG_SPLIT: 0
	.section	.text._ZN7rocprim17ROCPRIM_400000_NS6detail17trampoline_kernelINS0_14default_configENS1_35radix_sort_onesweep_config_selectorIjN6thrust23THRUST_200600_302600_NS5tupleIffNS6_9null_typeES8_S8_S8_S8_S8_S8_S8_EEEEZZNS1_29radix_sort_onesweep_iterationIS3_Lb0ENS6_6detail15normal_iteratorINS6_10device_ptrIjEEEESG_NSD_INSE_IS9_EEEESI_jNS0_19identity_decomposerENS1_16block_id_wrapperIjLb0EEEEE10hipError_tT1_PNSt15iterator_traitsISN_E10value_typeET2_T3_PNSO_IST_E10value_typeET4_T5_PSY_SZ_PNS1_23onesweep_lookback_stateEbbT6_jjT7_P12ihipStream_tbENKUlT_T0_SN_SS_E_clISG_SG_SI_SI_EEDaS16_S17_SN_SS_EUlS16_E_NS1_11comp_targetILNS1_3genE8ELNS1_11target_archE1030ELNS1_3gpuE2ELNS1_3repE0EEENS1_47radix_sort_onesweep_sort_config_static_selectorELNS0_4arch9wavefront6targetE1EEEvSN_,"axG",@progbits,_ZN7rocprim17ROCPRIM_400000_NS6detail17trampoline_kernelINS0_14default_configENS1_35radix_sort_onesweep_config_selectorIjN6thrust23THRUST_200600_302600_NS5tupleIffNS6_9null_typeES8_S8_S8_S8_S8_S8_S8_EEEEZZNS1_29radix_sort_onesweep_iterationIS3_Lb0ENS6_6detail15normal_iteratorINS6_10device_ptrIjEEEESG_NSD_INSE_IS9_EEEESI_jNS0_19identity_decomposerENS1_16block_id_wrapperIjLb0EEEEE10hipError_tT1_PNSt15iterator_traitsISN_E10value_typeET2_T3_PNSO_IST_E10value_typeET4_T5_PSY_SZ_PNS1_23onesweep_lookback_stateEbbT6_jjT7_P12ihipStream_tbENKUlT_T0_SN_SS_E_clISG_SG_SI_SI_EEDaS16_S17_SN_SS_EUlS16_E_NS1_11comp_targetILNS1_3genE8ELNS1_11target_archE1030ELNS1_3gpuE2ELNS1_3repE0EEENS1_47radix_sort_onesweep_sort_config_static_selectorELNS0_4arch9wavefront6targetE1EEEvSN_,comdat
	.protected	_ZN7rocprim17ROCPRIM_400000_NS6detail17trampoline_kernelINS0_14default_configENS1_35radix_sort_onesweep_config_selectorIjN6thrust23THRUST_200600_302600_NS5tupleIffNS6_9null_typeES8_S8_S8_S8_S8_S8_S8_EEEEZZNS1_29radix_sort_onesweep_iterationIS3_Lb0ENS6_6detail15normal_iteratorINS6_10device_ptrIjEEEESG_NSD_INSE_IS9_EEEESI_jNS0_19identity_decomposerENS1_16block_id_wrapperIjLb0EEEEE10hipError_tT1_PNSt15iterator_traitsISN_E10value_typeET2_T3_PNSO_IST_E10value_typeET4_T5_PSY_SZ_PNS1_23onesweep_lookback_stateEbbT6_jjT7_P12ihipStream_tbENKUlT_T0_SN_SS_E_clISG_SG_SI_SI_EEDaS16_S17_SN_SS_EUlS16_E_NS1_11comp_targetILNS1_3genE8ELNS1_11target_archE1030ELNS1_3gpuE2ELNS1_3repE0EEENS1_47radix_sort_onesweep_sort_config_static_selectorELNS0_4arch9wavefront6targetE1EEEvSN_ ; -- Begin function _ZN7rocprim17ROCPRIM_400000_NS6detail17trampoline_kernelINS0_14default_configENS1_35radix_sort_onesweep_config_selectorIjN6thrust23THRUST_200600_302600_NS5tupleIffNS6_9null_typeES8_S8_S8_S8_S8_S8_S8_EEEEZZNS1_29radix_sort_onesweep_iterationIS3_Lb0ENS6_6detail15normal_iteratorINS6_10device_ptrIjEEEESG_NSD_INSE_IS9_EEEESI_jNS0_19identity_decomposerENS1_16block_id_wrapperIjLb0EEEEE10hipError_tT1_PNSt15iterator_traitsISN_E10value_typeET2_T3_PNSO_IST_E10value_typeET4_T5_PSY_SZ_PNS1_23onesweep_lookback_stateEbbT6_jjT7_P12ihipStream_tbENKUlT_T0_SN_SS_E_clISG_SG_SI_SI_EEDaS16_S17_SN_SS_EUlS16_E_NS1_11comp_targetILNS1_3genE8ELNS1_11target_archE1030ELNS1_3gpuE2ELNS1_3repE0EEENS1_47radix_sort_onesweep_sort_config_static_selectorELNS0_4arch9wavefront6targetE1EEEvSN_
	.globl	_ZN7rocprim17ROCPRIM_400000_NS6detail17trampoline_kernelINS0_14default_configENS1_35radix_sort_onesweep_config_selectorIjN6thrust23THRUST_200600_302600_NS5tupleIffNS6_9null_typeES8_S8_S8_S8_S8_S8_S8_EEEEZZNS1_29radix_sort_onesweep_iterationIS3_Lb0ENS6_6detail15normal_iteratorINS6_10device_ptrIjEEEESG_NSD_INSE_IS9_EEEESI_jNS0_19identity_decomposerENS1_16block_id_wrapperIjLb0EEEEE10hipError_tT1_PNSt15iterator_traitsISN_E10value_typeET2_T3_PNSO_IST_E10value_typeET4_T5_PSY_SZ_PNS1_23onesweep_lookback_stateEbbT6_jjT7_P12ihipStream_tbENKUlT_T0_SN_SS_E_clISG_SG_SI_SI_EEDaS16_S17_SN_SS_EUlS16_E_NS1_11comp_targetILNS1_3genE8ELNS1_11target_archE1030ELNS1_3gpuE2ELNS1_3repE0EEENS1_47radix_sort_onesweep_sort_config_static_selectorELNS0_4arch9wavefront6targetE1EEEvSN_
	.p2align	8
	.type	_ZN7rocprim17ROCPRIM_400000_NS6detail17trampoline_kernelINS0_14default_configENS1_35radix_sort_onesweep_config_selectorIjN6thrust23THRUST_200600_302600_NS5tupleIffNS6_9null_typeES8_S8_S8_S8_S8_S8_S8_EEEEZZNS1_29radix_sort_onesweep_iterationIS3_Lb0ENS6_6detail15normal_iteratorINS6_10device_ptrIjEEEESG_NSD_INSE_IS9_EEEESI_jNS0_19identity_decomposerENS1_16block_id_wrapperIjLb0EEEEE10hipError_tT1_PNSt15iterator_traitsISN_E10value_typeET2_T3_PNSO_IST_E10value_typeET4_T5_PSY_SZ_PNS1_23onesweep_lookback_stateEbbT6_jjT7_P12ihipStream_tbENKUlT_T0_SN_SS_E_clISG_SG_SI_SI_EEDaS16_S17_SN_SS_EUlS16_E_NS1_11comp_targetILNS1_3genE8ELNS1_11target_archE1030ELNS1_3gpuE2ELNS1_3repE0EEENS1_47radix_sort_onesweep_sort_config_static_selectorELNS0_4arch9wavefront6targetE1EEEvSN_,@function
_ZN7rocprim17ROCPRIM_400000_NS6detail17trampoline_kernelINS0_14default_configENS1_35radix_sort_onesweep_config_selectorIjN6thrust23THRUST_200600_302600_NS5tupleIffNS6_9null_typeES8_S8_S8_S8_S8_S8_S8_EEEEZZNS1_29radix_sort_onesweep_iterationIS3_Lb0ENS6_6detail15normal_iteratorINS6_10device_ptrIjEEEESG_NSD_INSE_IS9_EEEESI_jNS0_19identity_decomposerENS1_16block_id_wrapperIjLb0EEEEE10hipError_tT1_PNSt15iterator_traitsISN_E10value_typeET2_T3_PNSO_IST_E10value_typeET4_T5_PSY_SZ_PNS1_23onesweep_lookback_stateEbbT6_jjT7_P12ihipStream_tbENKUlT_T0_SN_SS_E_clISG_SG_SI_SI_EEDaS16_S17_SN_SS_EUlS16_E_NS1_11comp_targetILNS1_3genE8ELNS1_11target_archE1030ELNS1_3gpuE2ELNS1_3repE0EEENS1_47radix_sort_onesweep_sort_config_static_selectorELNS0_4arch9wavefront6targetE1EEEvSN_: ; @_ZN7rocprim17ROCPRIM_400000_NS6detail17trampoline_kernelINS0_14default_configENS1_35radix_sort_onesweep_config_selectorIjN6thrust23THRUST_200600_302600_NS5tupleIffNS6_9null_typeES8_S8_S8_S8_S8_S8_S8_EEEEZZNS1_29radix_sort_onesweep_iterationIS3_Lb0ENS6_6detail15normal_iteratorINS6_10device_ptrIjEEEESG_NSD_INSE_IS9_EEEESI_jNS0_19identity_decomposerENS1_16block_id_wrapperIjLb0EEEEE10hipError_tT1_PNSt15iterator_traitsISN_E10value_typeET2_T3_PNSO_IST_E10value_typeET4_T5_PSY_SZ_PNS1_23onesweep_lookback_stateEbbT6_jjT7_P12ihipStream_tbENKUlT_T0_SN_SS_E_clISG_SG_SI_SI_EEDaS16_S17_SN_SS_EUlS16_E_NS1_11comp_targetILNS1_3genE8ELNS1_11target_archE1030ELNS1_3gpuE2ELNS1_3repE0EEENS1_47radix_sort_onesweep_sort_config_static_selectorELNS0_4arch9wavefront6targetE1EEEvSN_
; %bb.0:
	.section	.rodata,"a",@progbits
	.p2align	6, 0x0
	.amdhsa_kernel _ZN7rocprim17ROCPRIM_400000_NS6detail17trampoline_kernelINS0_14default_configENS1_35radix_sort_onesweep_config_selectorIjN6thrust23THRUST_200600_302600_NS5tupleIffNS6_9null_typeES8_S8_S8_S8_S8_S8_S8_EEEEZZNS1_29radix_sort_onesweep_iterationIS3_Lb0ENS6_6detail15normal_iteratorINS6_10device_ptrIjEEEESG_NSD_INSE_IS9_EEEESI_jNS0_19identity_decomposerENS1_16block_id_wrapperIjLb0EEEEE10hipError_tT1_PNSt15iterator_traitsISN_E10value_typeET2_T3_PNSO_IST_E10value_typeET4_T5_PSY_SZ_PNS1_23onesweep_lookback_stateEbbT6_jjT7_P12ihipStream_tbENKUlT_T0_SN_SS_E_clISG_SG_SI_SI_EEDaS16_S17_SN_SS_EUlS16_E_NS1_11comp_targetILNS1_3genE8ELNS1_11target_archE1030ELNS1_3gpuE2ELNS1_3repE0EEENS1_47radix_sort_onesweep_sort_config_static_selectorELNS0_4arch9wavefront6targetE1EEEvSN_
		.amdhsa_group_segment_fixed_size 0
		.amdhsa_private_segment_fixed_size 0
		.amdhsa_kernarg_size 88
		.amdhsa_user_sgpr_count 6
		.amdhsa_user_sgpr_private_segment_buffer 1
		.amdhsa_user_sgpr_dispatch_ptr 0
		.amdhsa_user_sgpr_queue_ptr 0
		.amdhsa_user_sgpr_kernarg_segment_ptr 1
		.amdhsa_user_sgpr_dispatch_id 0
		.amdhsa_user_sgpr_flat_scratch_init 0
		.amdhsa_user_sgpr_kernarg_preload_length 0
		.amdhsa_user_sgpr_kernarg_preload_offset 0
		.amdhsa_user_sgpr_private_segment_size 0
		.amdhsa_uses_dynamic_stack 0
		.amdhsa_system_sgpr_private_segment_wavefront_offset 0
		.amdhsa_system_sgpr_workgroup_id_x 1
		.amdhsa_system_sgpr_workgroup_id_y 0
		.amdhsa_system_sgpr_workgroup_id_z 0
		.amdhsa_system_sgpr_workgroup_info 0
		.amdhsa_system_vgpr_workitem_id 0
		.amdhsa_next_free_vgpr 1
		.amdhsa_next_free_sgpr 0
		.amdhsa_accum_offset 4
		.amdhsa_reserve_vcc 0
		.amdhsa_reserve_flat_scratch 0
		.amdhsa_float_round_mode_32 0
		.amdhsa_float_round_mode_16_64 0
		.amdhsa_float_denorm_mode_32 3
		.amdhsa_float_denorm_mode_16_64 3
		.amdhsa_dx10_clamp 1
		.amdhsa_ieee_mode 1
		.amdhsa_fp16_overflow 0
		.amdhsa_tg_split 0
		.amdhsa_exception_fp_ieee_invalid_op 0
		.amdhsa_exception_fp_denorm_src 0
		.amdhsa_exception_fp_ieee_div_zero 0
		.amdhsa_exception_fp_ieee_overflow 0
		.amdhsa_exception_fp_ieee_underflow 0
		.amdhsa_exception_fp_ieee_inexact 0
		.amdhsa_exception_int_div_zero 0
	.end_amdhsa_kernel
	.section	.text._ZN7rocprim17ROCPRIM_400000_NS6detail17trampoline_kernelINS0_14default_configENS1_35radix_sort_onesweep_config_selectorIjN6thrust23THRUST_200600_302600_NS5tupleIffNS6_9null_typeES8_S8_S8_S8_S8_S8_S8_EEEEZZNS1_29radix_sort_onesweep_iterationIS3_Lb0ENS6_6detail15normal_iteratorINS6_10device_ptrIjEEEESG_NSD_INSE_IS9_EEEESI_jNS0_19identity_decomposerENS1_16block_id_wrapperIjLb0EEEEE10hipError_tT1_PNSt15iterator_traitsISN_E10value_typeET2_T3_PNSO_IST_E10value_typeET4_T5_PSY_SZ_PNS1_23onesweep_lookback_stateEbbT6_jjT7_P12ihipStream_tbENKUlT_T0_SN_SS_E_clISG_SG_SI_SI_EEDaS16_S17_SN_SS_EUlS16_E_NS1_11comp_targetILNS1_3genE8ELNS1_11target_archE1030ELNS1_3gpuE2ELNS1_3repE0EEENS1_47radix_sort_onesweep_sort_config_static_selectorELNS0_4arch9wavefront6targetE1EEEvSN_,"axG",@progbits,_ZN7rocprim17ROCPRIM_400000_NS6detail17trampoline_kernelINS0_14default_configENS1_35radix_sort_onesweep_config_selectorIjN6thrust23THRUST_200600_302600_NS5tupleIffNS6_9null_typeES8_S8_S8_S8_S8_S8_S8_EEEEZZNS1_29radix_sort_onesweep_iterationIS3_Lb0ENS6_6detail15normal_iteratorINS6_10device_ptrIjEEEESG_NSD_INSE_IS9_EEEESI_jNS0_19identity_decomposerENS1_16block_id_wrapperIjLb0EEEEE10hipError_tT1_PNSt15iterator_traitsISN_E10value_typeET2_T3_PNSO_IST_E10value_typeET4_T5_PSY_SZ_PNS1_23onesweep_lookback_stateEbbT6_jjT7_P12ihipStream_tbENKUlT_T0_SN_SS_E_clISG_SG_SI_SI_EEDaS16_S17_SN_SS_EUlS16_E_NS1_11comp_targetILNS1_3genE8ELNS1_11target_archE1030ELNS1_3gpuE2ELNS1_3repE0EEENS1_47radix_sort_onesweep_sort_config_static_selectorELNS0_4arch9wavefront6targetE1EEEvSN_,comdat
.Lfunc_end210:
	.size	_ZN7rocprim17ROCPRIM_400000_NS6detail17trampoline_kernelINS0_14default_configENS1_35radix_sort_onesweep_config_selectorIjN6thrust23THRUST_200600_302600_NS5tupleIffNS6_9null_typeES8_S8_S8_S8_S8_S8_S8_EEEEZZNS1_29radix_sort_onesweep_iterationIS3_Lb0ENS6_6detail15normal_iteratorINS6_10device_ptrIjEEEESG_NSD_INSE_IS9_EEEESI_jNS0_19identity_decomposerENS1_16block_id_wrapperIjLb0EEEEE10hipError_tT1_PNSt15iterator_traitsISN_E10value_typeET2_T3_PNSO_IST_E10value_typeET4_T5_PSY_SZ_PNS1_23onesweep_lookback_stateEbbT6_jjT7_P12ihipStream_tbENKUlT_T0_SN_SS_E_clISG_SG_SI_SI_EEDaS16_S17_SN_SS_EUlS16_E_NS1_11comp_targetILNS1_3genE8ELNS1_11target_archE1030ELNS1_3gpuE2ELNS1_3repE0EEENS1_47radix_sort_onesweep_sort_config_static_selectorELNS0_4arch9wavefront6targetE1EEEvSN_, .Lfunc_end210-_ZN7rocprim17ROCPRIM_400000_NS6detail17trampoline_kernelINS0_14default_configENS1_35radix_sort_onesweep_config_selectorIjN6thrust23THRUST_200600_302600_NS5tupleIffNS6_9null_typeES8_S8_S8_S8_S8_S8_S8_EEEEZZNS1_29radix_sort_onesweep_iterationIS3_Lb0ENS6_6detail15normal_iteratorINS6_10device_ptrIjEEEESG_NSD_INSE_IS9_EEEESI_jNS0_19identity_decomposerENS1_16block_id_wrapperIjLb0EEEEE10hipError_tT1_PNSt15iterator_traitsISN_E10value_typeET2_T3_PNSO_IST_E10value_typeET4_T5_PSY_SZ_PNS1_23onesweep_lookback_stateEbbT6_jjT7_P12ihipStream_tbENKUlT_T0_SN_SS_E_clISG_SG_SI_SI_EEDaS16_S17_SN_SS_EUlS16_E_NS1_11comp_targetILNS1_3genE8ELNS1_11target_archE1030ELNS1_3gpuE2ELNS1_3repE0EEENS1_47radix_sort_onesweep_sort_config_static_selectorELNS0_4arch9wavefront6targetE1EEEvSN_
                                        ; -- End function
	.section	.AMDGPU.csdata,"",@progbits
; Kernel info:
; codeLenInByte = 0
; NumSgprs: 4
; NumVgprs: 0
; NumAgprs: 0
; TotalNumVgprs: 0
; ScratchSize: 0
; MemoryBound: 0
; FloatMode: 240
; IeeeMode: 1
; LDSByteSize: 0 bytes/workgroup (compile time only)
; SGPRBlocks: 0
; VGPRBlocks: 0
; NumSGPRsForWavesPerEU: 4
; NumVGPRsForWavesPerEU: 1
; AccumOffset: 4
; Occupancy: 8
; WaveLimiterHint : 0
; COMPUTE_PGM_RSRC2:SCRATCH_EN: 0
; COMPUTE_PGM_RSRC2:USER_SGPR: 6
; COMPUTE_PGM_RSRC2:TRAP_HANDLER: 0
; COMPUTE_PGM_RSRC2:TGID_X_EN: 1
; COMPUTE_PGM_RSRC2:TGID_Y_EN: 0
; COMPUTE_PGM_RSRC2:TGID_Z_EN: 0
; COMPUTE_PGM_RSRC2:TIDIG_COMP_CNT: 0
; COMPUTE_PGM_RSRC3_GFX90A:ACCUM_OFFSET: 0
; COMPUTE_PGM_RSRC3_GFX90A:TG_SPLIT: 0
	.section	.text._ZN7rocprim17ROCPRIM_400000_NS6detail17trampoline_kernelINS0_14default_configENS1_35radix_sort_onesweep_config_selectorIjN6thrust23THRUST_200600_302600_NS5tupleIffNS6_9null_typeES8_S8_S8_S8_S8_S8_S8_EEEEZZNS1_29radix_sort_onesweep_iterationIS3_Lb0ENS6_6detail15normal_iteratorINS6_10device_ptrIjEEEESG_NSD_INSE_IS9_EEEESI_jNS0_19identity_decomposerENS1_16block_id_wrapperIjLb0EEEEE10hipError_tT1_PNSt15iterator_traitsISN_E10value_typeET2_T3_PNSO_IST_E10value_typeET4_T5_PSY_SZ_PNS1_23onesweep_lookback_stateEbbT6_jjT7_P12ihipStream_tbENKUlT_T0_SN_SS_E_clISG_PjSI_PS9_EEDaS16_S17_SN_SS_EUlS16_E_NS1_11comp_targetILNS1_3genE0ELNS1_11target_archE4294967295ELNS1_3gpuE0ELNS1_3repE0EEENS1_47radix_sort_onesweep_sort_config_static_selectorELNS0_4arch9wavefront6targetE1EEEvSN_,"axG",@progbits,_ZN7rocprim17ROCPRIM_400000_NS6detail17trampoline_kernelINS0_14default_configENS1_35radix_sort_onesweep_config_selectorIjN6thrust23THRUST_200600_302600_NS5tupleIffNS6_9null_typeES8_S8_S8_S8_S8_S8_S8_EEEEZZNS1_29radix_sort_onesweep_iterationIS3_Lb0ENS6_6detail15normal_iteratorINS6_10device_ptrIjEEEESG_NSD_INSE_IS9_EEEESI_jNS0_19identity_decomposerENS1_16block_id_wrapperIjLb0EEEEE10hipError_tT1_PNSt15iterator_traitsISN_E10value_typeET2_T3_PNSO_IST_E10value_typeET4_T5_PSY_SZ_PNS1_23onesweep_lookback_stateEbbT6_jjT7_P12ihipStream_tbENKUlT_T0_SN_SS_E_clISG_PjSI_PS9_EEDaS16_S17_SN_SS_EUlS16_E_NS1_11comp_targetILNS1_3genE0ELNS1_11target_archE4294967295ELNS1_3gpuE0ELNS1_3repE0EEENS1_47radix_sort_onesweep_sort_config_static_selectorELNS0_4arch9wavefront6targetE1EEEvSN_,comdat
	.protected	_ZN7rocprim17ROCPRIM_400000_NS6detail17trampoline_kernelINS0_14default_configENS1_35radix_sort_onesweep_config_selectorIjN6thrust23THRUST_200600_302600_NS5tupleIffNS6_9null_typeES8_S8_S8_S8_S8_S8_S8_EEEEZZNS1_29radix_sort_onesweep_iterationIS3_Lb0ENS6_6detail15normal_iteratorINS6_10device_ptrIjEEEESG_NSD_INSE_IS9_EEEESI_jNS0_19identity_decomposerENS1_16block_id_wrapperIjLb0EEEEE10hipError_tT1_PNSt15iterator_traitsISN_E10value_typeET2_T3_PNSO_IST_E10value_typeET4_T5_PSY_SZ_PNS1_23onesweep_lookback_stateEbbT6_jjT7_P12ihipStream_tbENKUlT_T0_SN_SS_E_clISG_PjSI_PS9_EEDaS16_S17_SN_SS_EUlS16_E_NS1_11comp_targetILNS1_3genE0ELNS1_11target_archE4294967295ELNS1_3gpuE0ELNS1_3repE0EEENS1_47radix_sort_onesweep_sort_config_static_selectorELNS0_4arch9wavefront6targetE1EEEvSN_ ; -- Begin function _ZN7rocprim17ROCPRIM_400000_NS6detail17trampoline_kernelINS0_14default_configENS1_35radix_sort_onesweep_config_selectorIjN6thrust23THRUST_200600_302600_NS5tupleIffNS6_9null_typeES8_S8_S8_S8_S8_S8_S8_EEEEZZNS1_29radix_sort_onesweep_iterationIS3_Lb0ENS6_6detail15normal_iteratorINS6_10device_ptrIjEEEESG_NSD_INSE_IS9_EEEESI_jNS0_19identity_decomposerENS1_16block_id_wrapperIjLb0EEEEE10hipError_tT1_PNSt15iterator_traitsISN_E10value_typeET2_T3_PNSO_IST_E10value_typeET4_T5_PSY_SZ_PNS1_23onesweep_lookback_stateEbbT6_jjT7_P12ihipStream_tbENKUlT_T0_SN_SS_E_clISG_PjSI_PS9_EEDaS16_S17_SN_SS_EUlS16_E_NS1_11comp_targetILNS1_3genE0ELNS1_11target_archE4294967295ELNS1_3gpuE0ELNS1_3repE0EEENS1_47radix_sort_onesweep_sort_config_static_selectorELNS0_4arch9wavefront6targetE1EEEvSN_
	.globl	_ZN7rocprim17ROCPRIM_400000_NS6detail17trampoline_kernelINS0_14default_configENS1_35radix_sort_onesweep_config_selectorIjN6thrust23THRUST_200600_302600_NS5tupleIffNS6_9null_typeES8_S8_S8_S8_S8_S8_S8_EEEEZZNS1_29radix_sort_onesweep_iterationIS3_Lb0ENS6_6detail15normal_iteratorINS6_10device_ptrIjEEEESG_NSD_INSE_IS9_EEEESI_jNS0_19identity_decomposerENS1_16block_id_wrapperIjLb0EEEEE10hipError_tT1_PNSt15iterator_traitsISN_E10value_typeET2_T3_PNSO_IST_E10value_typeET4_T5_PSY_SZ_PNS1_23onesweep_lookback_stateEbbT6_jjT7_P12ihipStream_tbENKUlT_T0_SN_SS_E_clISG_PjSI_PS9_EEDaS16_S17_SN_SS_EUlS16_E_NS1_11comp_targetILNS1_3genE0ELNS1_11target_archE4294967295ELNS1_3gpuE0ELNS1_3repE0EEENS1_47radix_sort_onesweep_sort_config_static_selectorELNS0_4arch9wavefront6targetE1EEEvSN_
	.p2align	8
	.type	_ZN7rocprim17ROCPRIM_400000_NS6detail17trampoline_kernelINS0_14default_configENS1_35radix_sort_onesweep_config_selectorIjN6thrust23THRUST_200600_302600_NS5tupleIffNS6_9null_typeES8_S8_S8_S8_S8_S8_S8_EEEEZZNS1_29radix_sort_onesweep_iterationIS3_Lb0ENS6_6detail15normal_iteratorINS6_10device_ptrIjEEEESG_NSD_INSE_IS9_EEEESI_jNS0_19identity_decomposerENS1_16block_id_wrapperIjLb0EEEEE10hipError_tT1_PNSt15iterator_traitsISN_E10value_typeET2_T3_PNSO_IST_E10value_typeET4_T5_PSY_SZ_PNS1_23onesweep_lookback_stateEbbT6_jjT7_P12ihipStream_tbENKUlT_T0_SN_SS_E_clISG_PjSI_PS9_EEDaS16_S17_SN_SS_EUlS16_E_NS1_11comp_targetILNS1_3genE0ELNS1_11target_archE4294967295ELNS1_3gpuE0ELNS1_3repE0EEENS1_47radix_sort_onesweep_sort_config_static_selectorELNS0_4arch9wavefront6targetE1EEEvSN_,@function
_ZN7rocprim17ROCPRIM_400000_NS6detail17trampoline_kernelINS0_14default_configENS1_35radix_sort_onesweep_config_selectorIjN6thrust23THRUST_200600_302600_NS5tupleIffNS6_9null_typeES8_S8_S8_S8_S8_S8_S8_EEEEZZNS1_29radix_sort_onesweep_iterationIS3_Lb0ENS6_6detail15normal_iteratorINS6_10device_ptrIjEEEESG_NSD_INSE_IS9_EEEESI_jNS0_19identity_decomposerENS1_16block_id_wrapperIjLb0EEEEE10hipError_tT1_PNSt15iterator_traitsISN_E10value_typeET2_T3_PNSO_IST_E10value_typeET4_T5_PSY_SZ_PNS1_23onesweep_lookback_stateEbbT6_jjT7_P12ihipStream_tbENKUlT_T0_SN_SS_E_clISG_PjSI_PS9_EEDaS16_S17_SN_SS_EUlS16_E_NS1_11comp_targetILNS1_3genE0ELNS1_11target_archE4294967295ELNS1_3gpuE0ELNS1_3repE0EEENS1_47radix_sort_onesweep_sort_config_static_selectorELNS0_4arch9wavefront6targetE1EEEvSN_: ; @_ZN7rocprim17ROCPRIM_400000_NS6detail17trampoline_kernelINS0_14default_configENS1_35radix_sort_onesweep_config_selectorIjN6thrust23THRUST_200600_302600_NS5tupleIffNS6_9null_typeES8_S8_S8_S8_S8_S8_S8_EEEEZZNS1_29radix_sort_onesweep_iterationIS3_Lb0ENS6_6detail15normal_iteratorINS6_10device_ptrIjEEEESG_NSD_INSE_IS9_EEEESI_jNS0_19identity_decomposerENS1_16block_id_wrapperIjLb0EEEEE10hipError_tT1_PNSt15iterator_traitsISN_E10value_typeET2_T3_PNSO_IST_E10value_typeET4_T5_PSY_SZ_PNS1_23onesweep_lookback_stateEbbT6_jjT7_P12ihipStream_tbENKUlT_T0_SN_SS_E_clISG_PjSI_PS9_EEDaS16_S17_SN_SS_EUlS16_E_NS1_11comp_targetILNS1_3genE0ELNS1_11target_archE4294967295ELNS1_3gpuE0ELNS1_3repE0EEENS1_47radix_sort_onesweep_sort_config_static_selectorELNS0_4arch9wavefront6targetE1EEEvSN_
; %bb.0:
	.section	.rodata,"a",@progbits
	.p2align	6, 0x0
	.amdhsa_kernel _ZN7rocprim17ROCPRIM_400000_NS6detail17trampoline_kernelINS0_14default_configENS1_35radix_sort_onesweep_config_selectorIjN6thrust23THRUST_200600_302600_NS5tupleIffNS6_9null_typeES8_S8_S8_S8_S8_S8_S8_EEEEZZNS1_29radix_sort_onesweep_iterationIS3_Lb0ENS6_6detail15normal_iteratorINS6_10device_ptrIjEEEESG_NSD_INSE_IS9_EEEESI_jNS0_19identity_decomposerENS1_16block_id_wrapperIjLb0EEEEE10hipError_tT1_PNSt15iterator_traitsISN_E10value_typeET2_T3_PNSO_IST_E10value_typeET4_T5_PSY_SZ_PNS1_23onesweep_lookback_stateEbbT6_jjT7_P12ihipStream_tbENKUlT_T0_SN_SS_E_clISG_PjSI_PS9_EEDaS16_S17_SN_SS_EUlS16_E_NS1_11comp_targetILNS1_3genE0ELNS1_11target_archE4294967295ELNS1_3gpuE0ELNS1_3repE0EEENS1_47radix_sort_onesweep_sort_config_static_selectorELNS0_4arch9wavefront6targetE1EEEvSN_
		.amdhsa_group_segment_fixed_size 0
		.amdhsa_private_segment_fixed_size 0
		.amdhsa_kernarg_size 88
		.amdhsa_user_sgpr_count 6
		.amdhsa_user_sgpr_private_segment_buffer 1
		.amdhsa_user_sgpr_dispatch_ptr 0
		.amdhsa_user_sgpr_queue_ptr 0
		.amdhsa_user_sgpr_kernarg_segment_ptr 1
		.amdhsa_user_sgpr_dispatch_id 0
		.amdhsa_user_sgpr_flat_scratch_init 0
		.amdhsa_user_sgpr_kernarg_preload_length 0
		.amdhsa_user_sgpr_kernarg_preload_offset 0
		.amdhsa_user_sgpr_private_segment_size 0
		.amdhsa_uses_dynamic_stack 0
		.amdhsa_system_sgpr_private_segment_wavefront_offset 0
		.amdhsa_system_sgpr_workgroup_id_x 1
		.amdhsa_system_sgpr_workgroup_id_y 0
		.amdhsa_system_sgpr_workgroup_id_z 0
		.amdhsa_system_sgpr_workgroup_info 0
		.amdhsa_system_vgpr_workitem_id 0
		.amdhsa_next_free_vgpr 1
		.amdhsa_next_free_sgpr 0
		.amdhsa_accum_offset 4
		.amdhsa_reserve_vcc 0
		.amdhsa_reserve_flat_scratch 0
		.amdhsa_float_round_mode_32 0
		.amdhsa_float_round_mode_16_64 0
		.amdhsa_float_denorm_mode_32 3
		.amdhsa_float_denorm_mode_16_64 3
		.amdhsa_dx10_clamp 1
		.amdhsa_ieee_mode 1
		.amdhsa_fp16_overflow 0
		.amdhsa_tg_split 0
		.amdhsa_exception_fp_ieee_invalid_op 0
		.amdhsa_exception_fp_denorm_src 0
		.amdhsa_exception_fp_ieee_div_zero 0
		.amdhsa_exception_fp_ieee_overflow 0
		.amdhsa_exception_fp_ieee_underflow 0
		.amdhsa_exception_fp_ieee_inexact 0
		.amdhsa_exception_int_div_zero 0
	.end_amdhsa_kernel
	.section	.text._ZN7rocprim17ROCPRIM_400000_NS6detail17trampoline_kernelINS0_14default_configENS1_35radix_sort_onesweep_config_selectorIjN6thrust23THRUST_200600_302600_NS5tupleIffNS6_9null_typeES8_S8_S8_S8_S8_S8_S8_EEEEZZNS1_29radix_sort_onesweep_iterationIS3_Lb0ENS6_6detail15normal_iteratorINS6_10device_ptrIjEEEESG_NSD_INSE_IS9_EEEESI_jNS0_19identity_decomposerENS1_16block_id_wrapperIjLb0EEEEE10hipError_tT1_PNSt15iterator_traitsISN_E10value_typeET2_T3_PNSO_IST_E10value_typeET4_T5_PSY_SZ_PNS1_23onesweep_lookback_stateEbbT6_jjT7_P12ihipStream_tbENKUlT_T0_SN_SS_E_clISG_PjSI_PS9_EEDaS16_S17_SN_SS_EUlS16_E_NS1_11comp_targetILNS1_3genE0ELNS1_11target_archE4294967295ELNS1_3gpuE0ELNS1_3repE0EEENS1_47radix_sort_onesweep_sort_config_static_selectorELNS0_4arch9wavefront6targetE1EEEvSN_,"axG",@progbits,_ZN7rocprim17ROCPRIM_400000_NS6detail17trampoline_kernelINS0_14default_configENS1_35radix_sort_onesweep_config_selectorIjN6thrust23THRUST_200600_302600_NS5tupleIffNS6_9null_typeES8_S8_S8_S8_S8_S8_S8_EEEEZZNS1_29radix_sort_onesweep_iterationIS3_Lb0ENS6_6detail15normal_iteratorINS6_10device_ptrIjEEEESG_NSD_INSE_IS9_EEEESI_jNS0_19identity_decomposerENS1_16block_id_wrapperIjLb0EEEEE10hipError_tT1_PNSt15iterator_traitsISN_E10value_typeET2_T3_PNSO_IST_E10value_typeET4_T5_PSY_SZ_PNS1_23onesweep_lookback_stateEbbT6_jjT7_P12ihipStream_tbENKUlT_T0_SN_SS_E_clISG_PjSI_PS9_EEDaS16_S17_SN_SS_EUlS16_E_NS1_11comp_targetILNS1_3genE0ELNS1_11target_archE4294967295ELNS1_3gpuE0ELNS1_3repE0EEENS1_47radix_sort_onesweep_sort_config_static_selectorELNS0_4arch9wavefront6targetE1EEEvSN_,comdat
.Lfunc_end211:
	.size	_ZN7rocprim17ROCPRIM_400000_NS6detail17trampoline_kernelINS0_14default_configENS1_35radix_sort_onesweep_config_selectorIjN6thrust23THRUST_200600_302600_NS5tupleIffNS6_9null_typeES8_S8_S8_S8_S8_S8_S8_EEEEZZNS1_29radix_sort_onesweep_iterationIS3_Lb0ENS6_6detail15normal_iteratorINS6_10device_ptrIjEEEESG_NSD_INSE_IS9_EEEESI_jNS0_19identity_decomposerENS1_16block_id_wrapperIjLb0EEEEE10hipError_tT1_PNSt15iterator_traitsISN_E10value_typeET2_T3_PNSO_IST_E10value_typeET4_T5_PSY_SZ_PNS1_23onesweep_lookback_stateEbbT6_jjT7_P12ihipStream_tbENKUlT_T0_SN_SS_E_clISG_PjSI_PS9_EEDaS16_S17_SN_SS_EUlS16_E_NS1_11comp_targetILNS1_3genE0ELNS1_11target_archE4294967295ELNS1_3gpuE0ELNS1_3repE0EEENS1_47radix_sort_onesweep_sort_config_static_selectorELNS0_4arch9wavefront6targetE1EEEvSN_, .Lfunc_end211-_ZN7rocprim17ROCPRIM_400000_NS6detail17trampoline_kernelINS0_14default_configENS1_35radix_sort_onesweep_config_selectorIjN6thrust23THRUST_200600_302600_NS5tupleIffNS6_9null_typeES8_S8_S8_S8_S8_S8_S8_EEEEZZNS1_29radix_sort_onesweep_iterationIS3_Lb0ENS6_6detail15normal_iteratorINS6_10device_ptrIjEEEESG_NSD_INSE_IS9_EEEESI_jNS0_19identity_decomposerENS1_16block_id_wrapperIjLb0EEEEE10hipError_tT1_PNSt15iterator_traitsISN_E10value_typeET2_T3_PNSO_IST_E10value_typeET4_T5_PSY_SZ_PNS1_23onesweep_lookback_stateEbbT6_jjT7_P12ihipStream_tbENKUlT_T0_SN_SS_E_clISG_PjSI_PS9_EEDaS16_S17_SN_SS_EUlS16_E_NS1_11comp_targetILNS1_3genE0ELNS1_11target_archE4294967295ELNS1_3gpuE0ELNS1_3repE0EEENS1_47radix_sort_onesweep_sort_config_static_selectorELNS0_4arch9wavefront6targetE1EEEvSN_
                                        ; -- End function
	.section	.AMDGPU.csdata,"",@progbits
; Kernel info:
; codeLenInByte = 0
; NumSgprs: 4
; NumVgprs: 0
; NumAgprs: 0
; TotalNumVgprs: 0
; ScratchSize: 0
; MemoryBound: 0
; FloatMode: 240
; IeeeMode: 1
; LDSByteSize: 0 bytes/workgroup (compile time only)
; SGPRBlocks: 0
; VGPRBlocks: 0
; NumSGPRsForWavesPerEU: 4
; NumVGPRsForWavesPerEU: 1
; AccumOffset: 4
; Occupancy: 8
; WaveLimiterHint : 0
; COMPUTE_PGM_RSRC2:SCRATCH_EN: 0
; COMPUTE_PGM_RSRC2:USER_SGPR: 6
; COMPUTE_PGM_RSRC2:TRAP_HANDLER: 0
; COMPUTE_PGM_RSRC2:TGID_X_EN: 1
; COMPUTE_PGM_RSRC2:TGID_Y_EN: 0
; COMPUTE_PGM_RSRC2:TGID_Z_EN: 0
; COMPUTE_PGM_RSRC2:TIDIG_COMP_CNT: 0
; COMPUTE_PGM_RSRC3_GFX90A:ACCUM_OFFSET: 0
; COMPUTE_PGM_RSRC3_GFX90A:TG_SPLIT: 0
	.section	.text._ZN7rocprim17ROCPRIM_400000_NS6detail17trampoline_kernelINS0_14default_configENS1_35radix_sort_onesweep_config_selectorIjN6thrust23THRUST_200600_302600_NS5tupleIffNS6_9null_typeES8_S8_S8_S8_S8_S8_S8_EEEEZZNS1_29radix_sort_onesweep_iterationIS3_Lb0ENS6_6detail15normal_iteratorINS6_10device_ptrIjEEEESG_NSD_INSE_IS9_EEEESI_jNS0_19identity_decomposerENS1_16block_id_wrapperIjLb0EEEEE10hipError_tT1_PNSt15iterator_traitsISN_E10value_typeET2_T3_PNSO_IST_E10value_typeET4_T5_PSY_SZ_PNS1_23onesweep_lookback_stateEbbT6_jjT7_P12ihipStream_tbENKUlT_T0_SN_SS_E_clISG_PjSI_PS9_EEDaS16_S17_SN_SS_EUlS16_E_NS1_11comp_targetILNS1_3genE6ELNS1_11target_archE950ELNS1_3gpuE13ELNS1_3repE0EEENS1_47radix_sort_onesweep_sort_config_static_selectorELNS0_4arch9wavefront6targetE1EEEvSN_,"axG",@progbits,_ZN7rocprim17ROCPRIM_400000_NS6detail17trampoline_kernelINS0_14default_configENS1_35radix_sort_onesweep_config_selectorIjN6thrust23THRUST_200600_302600_NS5tupleIffNS6_9null_typeES8_S8_S8_S8_S8_S8_S8_EEEEZZNS1_29radix_sort_onesweep_iterationIS3_Lb0ENS6_6detail15normal_iteratorINS6_10device_ptrIjEEEESG_NSD_INSE_IS9_EEEESI_jNS0_19identity_decomposerENS1_16block_id_wrapperIjLb0EEEEE10hipError_tT1_PNSt15iterator_traitsISN_E10value_typeET2_T3_PNSO_IST_E10value_typeET4_T5_PSY_SZ_PNS1_23onesweep_lookback_stateEbbT6_jjT7_P12ihipStream_tbENKUlT_T0_SN_SS_E_clISG_PjSI_PS9_EEDaS16_S17_SN_SS_EUlS16_E_NS1_11comp_targetILNS1_3genE6ELNS1_11target_archE950ELNS1_3gpuE13ELNS1_3repE0EEENS1_47radix_sort_onesweep_sort_config_static_selectorELNS0_4arch9wavefront6targetE1EEEvSN_,comdat
	.protected	_ZN7rocprim17ROCPRIM_400000_NS6detail17trampoline_kernelINS0_14default_configENS1_35radix_sort_onesweep_config_selectorIjN6thrust23THRUST_200600_302600_NS5tupleIffNS6_9null_typeES8_S8_S8_S8_S8_S8_S8_EEEEZZNS1_29radix_sort_onesweep_iterationIS3_Lb0ENS6_6detail15normal_iteratorINS6_10device_ptrIjEEEESG_NSD_INSE_IS9_EEEESI_jNS0_19identity_decomposerENS1_16block_id_wrapperIjLb0EEEEE10hipError_tT1_PNSt15iterator_traitsISN_E10value_typeET2_T3_PNSO_IST_E10value_typeET4_T5_PSY_SZ_PNS1_23onesweep_lookback_stateEbbT6_jjT7_P12ihipStream_tbENKUlT_T0_SN_SS_E_clISG_PjSI_PS9_EEDaS16_S17_SN_SS_EUlS16_E_NS1_11comp_targetILNS1_3genE6ELNS1_11target_archE950ELNS1_3gpuE13ELNS1_3repE0EEENS1_47radix_sort_onesweep_sort_config_static_selectorELNS0_4arch9wavefront6targetE1EEEvSN_ ; -- Begin function _ZN7rocprim17ROCPRIM_400000_NS6detail17trampoline_kernelINS0_14default_configENS1_35radix_sort_onesweep_config_selectorIjN6thrust23THRUST_200600_302600_NS5tupleIffNS6_9null_typeES8_S8_S8_S8_S8_S8_S8_EEEEZZNS1_29radix_sort_onesweep_iterationIS3_Lb0ENS6_6detail15normal_iteratorINS6_10device_ptrIjEEEESG_NSD_INSE_IS9_EEEESI_jNS0_19identity_decomposerENS1_16block_id_wrapperIjLb0EEEEE10hipError_tT1_PNSt15iterator_traitsISN_E10value_typeET2_T3_PNSO_IST_E10value_typeET4_T5_PSY_SZ_PNS1_23onesweep_lookback_stateEbbT6_jjT7_P12ihipStream_tbENKUlT_T0_SN_SS_E_clISG_PjSI_PS9_EEDaS16_S17_SN_SS_EUlS16_E_NS1_11comp_targetILNS1_3genE6ELNS1_11target_archE950ELNS1_3gpuE13ELNS1_3repE0EEENS1_47radix_sort_onesweep_sort_config_static_selectorELNS0_4arch9wavefront6targetE1EEEvSN_
	.globl	_ZN7rocprim17ROCPRIM_400000_NS6detail17trampoline_kernelINS0_14default_configENS1_35radix_sort_onesweep_config_selectorIjN6thrust23THRUST_200600_302600_NS5tupleIffNS6_9null_typeES8_S8_S8_S8_S8_S8_S8_EEEEZZNS1_29radix_sort_onesweep_iterationIS3_Lb0ENS6_6detail15normal_iteratorINS6_10device_ptrIjEEEESG_NSD_INSE_IS9_EEEESI_jNS0_19identity_decomposerENS1_16block_id_wrapperIjLb0EEEEE10hipError_tT1_PNSt15iterator_traitsISN_E10value_typeET2_T3_PNSO_IST_E10value_typeET4_T5_PSY_SZ_PNS1_23onesweep_lookback_stateEbbT6_jjT7_P12ihipStream_tbENKUlT_T0_SN_SS_E_clISG_PjSI_PS9_EEDaS16_S17_SN_SS_EUlS16_E_NS1_11comp_targetILNS1_3genE6ELNS1_11target_archE950ELNS1_3gpuE13ELNS1_3repE0EEENS1_47radix_sort_onesweep_sort_config_static_selectorELNS0_4arch9wavefront6targetE1EEEvSN_
	.p2align	8
	.type	_ZN7rocprim17ROCPRIM_400000_NS6detail17trampoline_kernelINS0_14default_configENS1_35radix_sort_onesweep_config_selectorIjN6thrust23THRUST_200600_302600_NS5tupleIffNS6_9null_typeES8_S8_S8_S8_S8_S8_S8_EEEEZZNS1_29radix_sort_onesweep_iterationIS3_Lb0ENS6_6detail15normal_iteratorINS6_10device_ptrIjEEEESG_NSD_INSE_IS9_EEEESI_jNS0_19identity_decomposerENS1_16block_id_wrapperIjLb0EEEEE10hipError_tT1_PNSt15iterator_traitsISN_E10value_typeET2_T3_PNSO_IST_E10value_typeET4_T5_PSY_SZ_PNS1_23onesweep_lookback_stateEbbT6_jjT7_P12ihipStream_tbENKUlT_T0_SN_SS_E_clISG_PjSI_PS9_EEDaS16_S17_SN_SS_EUlS16_E_NS1_11comp_targetILNS1_3genE6ELNS1_11target_archE950ELNS1_3gpuE13ELNS1_3repE0EEENS1_47radix_sort_onesweep_sort_config_static_selectorELNS0_4arch9wavefront6targetE1EEEvSN_,@function
_ZN7rocprim17ROCPRIM_400000_NS6detail17trampoline_kernelINS0_14default_configENS1_35radix_sort_onesweep_config_selectorIjN6thrust23THRUST_200600_302600_NS5tupleIffNS6_9null_typeES8_S8_S8_S8_S8_S8_S8_EEEEZZNS1_29radix_sort_onesweep_iterationIS3_Lb0ENS6_6detail15normal_iteratorINS6_10device_ptrIjEEEESG_NSD_INSE_IS9_EEEESI_jNS0_19identity_decomposerENS1_16block_id_wrapperIjLb0EEEEE10hipError_tT1_PNSt15iterator_traitsISN_E10value_typeET2_T3_PNSO_IST_E10value_typeET4_T5_PSY_SZ_PNS1_23onesweep_lookback_stateEbbT6_jjT7_P12ihipStream_tbENKUlT_T0_SN_SS_E_clISG_PjSI_PS9_EEDaS16_S17_SN_SS_EUlS16_E_NS1_11comp_targetILNS1_3genE6ELNS1_11target_archE950ELNS1_3gpuE13ELNS1_3repE0EEENS1_47radix_sort_onesweep_sort_config_static_selectorELNS0_4arch9wavefront6targetE1EEEvSN_: ; @_ZN7rocprim17ROCPRIM_400000_NS6detail17trampoline_kernelINS0_14default_configENS1_35radix_sort_onesweep_config_selectorIjN6thrust23THRUST_200600_302600_NS5tupleIffNS6_9null_typeES8_S8_S8_S8_S8_S8_S8_EEEEZZNS1_29radix_sort_onesweep_iterationIS3_Lb0ENS6_6detail15normal_iteratorINS6_10device_ptrIjEEEESG_NSD_INSE_IS9_EEEESI_jNS0_19identity_decomposerENS1_16block_id_wrapperIjLb0EEEEE10hipError_tT1_PNSt15iterator_traitsISN_E10value_typeET2_T3_PNSO_IST_E10value_typeET4_T5_PSY_SZ_PNS1_23onesweep_lookback_stateEbbT6_jjT7_P12ihipStream_tbENKUlT_T0_SN_SS_E_clISG_PjSI_PS9_EEDaS16_S17_SN_SS_EUlS16_E_NS1_11comp_targetILNS1_3genE6ELNS1_11target_archE950ELNS1_3gpuE13ELNS1_3repE0EEENS1_47radix_sort_onesweep_sort_config_static_selectorELNS0_4arch9wavefront6targetE1EEEvSN_
; %bb.0:
	.section	.rodata,"a",@progbits
	.p2align	6, 0x0
	.amdhsa_kernel _ZN7rocprim17ROCPRIM_400000_NS6detail17trampoline_kernelINS0_14default_configENS1_35radix_sort_onesweep_config_selectorIjN6thrust23THRUST_200600_302600_NS5tupleIffNS6_9null_typeES8_S8_S8_S8_S8_S8_S8_EEEEZZNS1_29radix_sort_onesweep_iterationIS3_Lb0ENS6_6detail15normal_iteratorINS6_10device_ptrIjEEEESG_NSD_INSE_IS9_EEEESI_jNS0_19identity_decomposerENS1_16block_id_wrapperIjLb0EEEEE10hipError_tT1_PNSt15iterator_traitsISN_E10value_typeET2_T3_PNSO_IST_E10value_typeET4_T5_PSY_SZ_PNS1_23onesweep_lookback_stateEbbT6_jjT7_P12ihipStream_tbENKUlT_T0_SN_SS_E_clISG_PjSI_PS9_EEDaS16_S17_SN_SS_EUlS16_E_NS1_11comp_targetILNS1_3genE6ELNS1_11target_archE950ELNS1_3gpuE13ELNS1_3repE0EEENS1_47radix_sort_onesweep_sort_config_static_selectorELNS0_4arch9wavefront6targetE1EEEvSN_
		.amdhsa_group_segment_fixed_size 0
		.amdhsa_private_segment_fixed_size 0
		.amdhsa_kernarg_size 88
		.amdhsa_user_sgpr_count 6
		.amdhsa_user_sgpr_private_segment_buffer 1
		.amdhsa_user_sgpr_dispatch_ptr 0
		.amdhsa_user_sgpr_queue_ptr 0
		.amdhsa_user_sgpr_kernarg_segment_ptr 1
		.amdhsa_user_sgpr_dispatch_id 0
		.amdhsa_user_sgpr_flat_scratch_init 0
		.amdhsa_user_sgpr_kernarg_preload_length 0
		.amdhsa_user_sgpr_kernarg_preload_offset 0
		.amdhsa_user_sgpr_private_segment_size 0
		.amdhsa_uses_dynamic_stack 0
		.amdhsa_system_sgpr_private_segment_wavefront_offset 0
		.amdhsa_system_sgpr_workgroup_id_x 1
		.amdhsa_system_sgpr_workgroup_id_y 0
		.amdhsa_system_sgpr_workgroup_id_z 0
		.amdhsa_system_sgpr_workgroup_info 0
		.amdhsa_system_vgpr_workitem_id 0
		.amdhsa_next_free_vgpr 1
		.amdhsa_next_free_sgpr 0
		.amdhsa_accum_offset 4
		.amdhsa_reserve_vcc 0
		.amdhsa_reserve_flat_scratch 0
		.amdhsa_float_round_mode_32 0
		.amdhsa_float_round_mode_16_64 0
		.amdhsa_float_denorm_mode_32 3
		.amdhsa_float_denorm_mode_16_64 3
		.amdhsa_dx10_clamp 1
		.amdhsa_ieee_mode 1
		.amdhsa_fp16_overflow 0
		.amdhsa_tg_split 0
		.amdhsa_exception_fp_ieee_invalid_op 0
		.amdhsa_exception_fp_denorm_src 0
		.amdhsa_exception_fp_ieee_div_zero 0
		.amdhsa_exception_fp_ieee_overflow 0
		.amdhsa_exception_fp_ieee_underflow 0
		.amdhsa_exception_fp_ieee_inexact 0
		.amdhsa_exception_int_div_zero 0
	.end_amdhsa_kernel
	.section	.text._ZN7rocprim17ROCPRIM_400000_NS6detail17trampoline_kernelINS0_14default_configENS1_35radix_sort_onesweep_config_selectorIjN6thrust23THRUST_200600_302600_NS5tupleIffNS6_9null_typeES8_S8_S8_S8_S8_S8_S8_EEEEZZNS1_29radix_sort_onesweep_iterationIS3_Lb0ENS6_6detail15normal_iteratorINS6_10device_ptrIjEEEESG_NSD_INSE_IS9_EEEESI_jNS0_19identity_decomposerENS1_16block_id_wrapperIjLb0EEEEE10hipError_tT1_PNSt15iterator_traitsISN_E10value_typeET2_T3_PNSO_IST_E10value_typeET4_T5_PSY_SZ_PNS1_23onesweep_lookback_stateEbbT6_jjT7_P12ihipStream_tbENKUlT_T0_SN_SS_E_clISG_PjSI_PS9_EEDaS16_S17_SN_SS_EUlS16_E_NS1_11comp_targetILNS1_3genE6ELNS1_11target_archE950ELNS1_3gpuE13ELNS1_3repE0EEENS1_47radix_sort_onesweep_sort_config_static_selectorELNS0_4arch9wavefront6targetE1EEEvSN_,"axG",@progbits,_ZN7rocprim17ROCPRIM_400000_NS6detail17trampoline_kernelINS0_14default_configENS1_35radix_sort_onesweep_config_selectorIjN6thrust23THRUST_200600_302600_NS5tupleIffNS6_9null_typeES8_S8_S8_S8_S8_S8_S8_EEEEZZNS1_29radix_sort_onesweep_iterationIS3_Lb0ENS6_6detail15normal_iteratorINS6_10device_ptrIjEEEESG_NSD_INSE_IS9_EEEESI_jNS0_19identity_decomposerENS1_16block_id_wrapperIjLb0EEEEE10hipError_tT1_PNSt15iterator_traitsISN_E10value_typeET2_T3_PNSO_IST_E10value_typeET4_T5_PSY_SZ_PNS1_23onesweep_lookback_stateEbbT6_jjT7_P12ihipStream_tbENKUlT_T0_SN_SS_E_clISG_PjSI_PS9_EEDaS16_S17_SN_SS_EUlS16_E_NS1_11comp_targetILNS1_3genE6ELNS1_11target_archE950ELNS1_3gpuE13ELNS1_3repE0EEENS1_47radix_sort_onesweep_sort_config_static_selectorELNS0_4arch9wavefront6targetE1EEEvSN_,comdat
.Lfunc_end212:
	.size	_ZN7rocprim17ROCPRIM_400000_NS6detail17trampoline_kernelINS0_14default_configENS1_35radix_sort_onesweep_config_selectorIjN6thrust23THRUST_200600_302600_NS5tupleIffNS6_9null_typeES8_S8_S8_S8_S8_S8_S8_EEEEZZNS1_29radix_sort_onesweep_iterationIS3_Lb0ENS6_6detail15normal_iteratorINS6_10device_ptrIjEEEESG_NSD_INSE_IS9_EEEESI_jNS0_19identity_decomposerENS1_16block_id_wrapperIjLb0EEEEE10hipError_tT1_PNSt15iterator_traitsISN_E10value_typeET2_T3_PNSO_IST_E10value_typeET4_T5_PSY_SZ_PNS1_23onesweep_lookback_stateEbbT6_jjT7_P12ihipStream_tbENKUlT_T0_SN_SS_E_clISG_PjSI_PS9_EEDaS16_S17_SN_SS_EUlS16_E_NS1_11comp_targetILNS1_3genE6ELNS1_11target_archE950ELNS1_3gpuE13ELNS1_3repE0EEENS1_47radix_sort_onesweep_sort_config_static_selectorELNS0_4arch9wavefront6targetE1EEEvSN_, .Lfunc_end212-_ZN7rocprim17ROCPRIM_400000_NS6detail17trampoline_kernelINS0_14default_configENS1_35radix_sort_onesweep_config_selectorIjN6thrust23THRUST_200600_302600_NS5tupleIffNS6_9null_typeES8_S8_S8_S8_S8_S8_S8_EEEEZZNS1_29radix_sort_onesweep_iterationIS3_Lb0ENS6_6detail15normal_iteratorINS6_10device_ptrIjEEEESG_NSD_INSE_IS9_EEEESI_jNS0_19identity_decomposerENS1_16block_id_wrapperIjLb0EEEEE10hipError_tT1_PNSt15iterator_traitsISN_E10value_typeET2_T3_PNSO_IST_E10value_typeET4_T5_PSY_SZ_PNS1_23onesweep_lookback_stateEbbT6_jjT7_P12ihipStream_tbENKUlT_T0_SN_SS_E_clISG_PjSI_PS9_EEDaS16_S17_SN_SS_EUlS16_E_NS1_11comp_targetILNS1_3genE6ELNS1_11target_archE950ELNS1_3gpuE13ELNS1_3repE0EEENS1_47radix_sort_onesweep_sort_config_static_selectorELNS0_4arch9wavefront6targetE1EEEvSN_
                                        ; -- End function
	.section	.AMDGPU.csdata,"",@progbits
; Kernel info:
; codeLenInByte = 0
; NumSgprs: 4
; NumVgprs: 0
; NumAgprs: 0
; TotalNumVgprs: 0
; ScratchSize: 0
; MemoryBound: 0
; FloatMode: 240
; IeeeMode: 1
; LDSByteSize: 0 bytes/workgroup (compile time only)
; SGPRBlocks: 0
; VGPRBlocks: 0
; NumSGPRsForWavesPerEU: 4
; NumVGPRsForWavesPerEU: 1
; AccumOffset: 4
; Occupancy: 8
; WaveLimiterHint : 0
; COMPUTE_PGM_RSRC2:SCRATCH_EN: 0
; COMPUTE_PGM_RSRC2:USER_SGPR: 6
; COMPUTE_PGM_RSRC2:TRAP_HANDLER: 0
; COMPUTE_PGM_RSRC2:TGID_X_EN: 1
; COMPUTE_PGM_RSRC2:TGID_Y_EN: 0
; COMPUTE_PGM_RSRC2:TGID_Z_EN: 0
; COMPUTE_PGM_RSRC2:TIDIG_COMP_CNT: 0
; COMPUTE_PGM_RSRC3_GFX90A:ACCUM_OFFSET: 0
; COMPUTE_PGM_RSRC3_GFX90A:TG_SPLIT: 0
	.section	.text._ZN7rocprim17ROCPRIM_400000_NS6detail17trampoline_kernelINS0_14default_configENS1_35radix_sort_onesweep_config_selectorIjN6thrust23THRUST_200600_302600_NS5tupleIffNS6_9null_typeES8_S8_S8_S8_S8_S8_S8_EEEEZZNS1_29radix_sort_onesweep_iterationIS3_Lb0ENS6_6detail15normal_iteratorINS6_10device_ptrIjEEEESG_NSD_INSE_IS9_EEEESI_jNS0_19identity_decomposerENS1_16block_id_wrapperIjLb0EEEEE10hipError_tT1_PNSt15iterator_traitsISN_E10value_typeET2_T3_PNSO_IST_E10value_typeET4_T5_PSY_SZ_PNS1_23onesweep_lookback_stateEbbT6_jjT7_P12ihipStream_tbENKUlT_T0_SN_SS_E_clISG_PjSI_PS9_EEDaS16_S17_SN_SS_EUlS16_E_NS1_11comp_targetILNS1_3genE5ELNS1_11target_archE942ELNS1_3gpuE9ELNS1_3repE0EEENS1_47radix_sort_onesweep_sort_config_static_selectorELNS0_4arch9wavefront6targetE1EEEvSN_,"axG",@progbits,_ZN7rocprim17ROCPRIM_400000_NS6detail17trampoline_kernelINS0_14default_configENS1_35radix_sort_onesweep_config_selectorIjN6thrust23THRUST_200600_302600_NS5tupleIffNS6_9null_typeES8_S8_S8_S8_S8_S8_S8_EEEEZZNS1_29radix_sort_onesweep_iterationIS3_Lb0ENS6_6detail15normal_iteratorINS6_10device_ptrIjEEEESG_NSD_INSE_IS9_EEEESI_jNS0_19identity_decomposerENS1_16block_id_wrapperIjLb0EEEEE10hipError_tT1_PNSt15iterator_traitsISN_E10value_typeET2_T3_PNSO_IST_E10value_typeET4_T5_PSY_SZ_PNS1_23onesweep_lookback_stateEbbT6_jjT7_P12ihipStream_tbENKUlT_T0_SN_SS_E_clISG_PjSI_PS9_EEDaS16_S17_SN_SS_EUlS16_E_NS1_11comp_targetILNS1_3genE5ELNS1_11target_archE942ELNS1_3gpuE9ELNS1_3repE0EEENS1_47radix_sort_onesweep_sort_config_static_selectorELNS0_4arch9wavefront6targetE1EEEvSN_,comdat
	.protected	_ZN7rocprim17ROCPRIM_400000_NS6detail17trampoline_kernelINS0_14default_configENS1_35radix_sort_onesweep_config_selectorIjN6thrust23THRUST_200600_302600_NS5tupleIffNS6_9null_typeES8_S8_S8_S8_S8_S8_S8_EEEEZZNS1_29radix_sort_onesweep_iterationIS3_Lb0ENS6_6detail15normal_iteratorINS6_10device_ptrIjEEEESG_NSD_INSE_IS9_EEEESI_jNS0_19identity_decomposerENS1_16block_id_wrapperIjLb0EEEEE10hipError_tT1_PNSt15iterator_traitsISN_E10value_typeET2_T3_PNSO_IST_E10value_typeET4_T5_PSY_SZ_PNS1_23onesweep_lookback_stateEbbT6_jjT7_P12ihipStream_tbENKUlT_T0_SN_SS_E_clISG_PjSI_PS9_EEDaS16_S17_SN_SS_EUlS16_E_NS1_11comp_targetILNS1_3genE5ELNS1_11target_archE942ELNS1_3gpuE9ELNS1_3repE0EEENS1_47radix_sort_onesweep_sort_config_static_selectorELNS0_4arch9wavefront6targetE1EEEvSN_ ; -- Begin function _ZN7rocprim17ROCPRIM_400000_NS6detail17trampoline_kernelINS0_14default_configENS1_35radix_sort_onesweep_config_selectorIjN6thrust23THRUST_200600_302600_NS5tupleIffNS6_9null_typeES8_S8_S8_S8_S8_S8_S8_EEEEZZNS1_29radix_sort_onesweep_iterationIS3_Lb0ENS6_6detail15normal_iteratorINS6_10device_ptrIjEEEESG_NSD_INSE_IS9_EEEESI_jNS0_19identity_decomposerENS1_16block_id_wrapperIjLb0EEEEE10hipError_tT1_PNSt15iterator_traitsISN_E10value_typeET2_T3_PNSO_IST_E10value_typeET4_T5_PSY_SZ_PNS1_23onesweep_lookback_stateEbbT6_jjT7_P12ihipStream_tbENKUlT_T0_SN_SS_E_clISG_PjSI_PS9_EEDaS16_S17_SN_SS_EUlS16_E_NS1_11comp_targetILNS1_3genE5ELNS1_11target_archE942ELNS1_3gpuE9ELNS1_3repE0EEENS1_47radix_sort_onesweep_sort_config_static_selectorELNS0_4arch9wavefront6targetE1EEEvSN_
	.globl	_ZN7rocprim17ROCPRIM_400000_NS6detail17trampoline_kernelINS0_14default_configENS1_35radix_sort_onesweep_config_selectorIjN6thrust23THRUST_200600_302600_NS5tupleIffNS6_9null_typeES8_S8_S8_S8_S8_S8_S8_EEEEZZNS1_29radix_sort_onesweep_iterationIS3_Lb0ENS6_6detail15normal_iteratorINS6_10device_ptrIjEEEESG_NSD_INSE_IS9_EEEESI_jNS0_19identity_decomposerENS1_16block_id_wrapperIjLb0EEEEE10hipError_tT1_PNSt15iterator_traitsISN_E10value_typeET2_T3_PNSO_IST_E10value_typeET4_T5_PSY_SZ_PNS1_23onesweep_lookback_stateEbbT6_jjT7_P12ihipStream_tbENKUlT_T0_SN_SS_E_clISG_PjSI_PS9_EEDaS16_S17_SN_SS_EUlS16_E_NS1_11comp_targetILNS1_3genE5ELNS1_11target_archE942ELNS1_3gpuE9ELNS1_3repE0EEENS1_47radix_sort_onesweep_sort_config_static_selectorELNS0_4arch9wavefront6targetE1EEEvSN_
	.p2align	8
	.type	_ZN7rocprim17ROCPRIM_400000_NS6detail17trampoline_kernelINS0_14default_configENS1_35radix_sort_onesweep_config_selectorIjN6thrust23THRUST_200600_302600_NS5tupleIffNS6_9null_typeES8_S8_S8_S8_S8_S8_S8_EEEEZZNS1_29radix_sort_onesweep_iterationIS3_Lb0ENS6_6detail15normal_iteratorINS6_10device_ptrIjEEEESG_NSD_INSE_IS9_EEEESI_jNS0_19identity_decomposerENS1_16block_id_wrapperIjLb0EEEEE10hipError_tT1_PNSt15iterator_traitsISN_E10value_typeET2_T3_PNSO_IST_E10value_typeET4_T5_PSY_SZ_PNS1_23onesweep_lookback_stateEbbT6_jjT7_P12ihipStream_tbENKUlT_T0_SN_SS_E_clISG_PjSI_PS9_EEDaS16_S17_SN_SS_EUlS16_E_NS1_11comp_targetILNS1_3genE5ELNS1_11target_archE942ELNS1_3gpuE9ELNS1_3repE0EEENS1_47radix_sort_onesweep_sort_config_static_selectorELNS0_4arch9wavefront6targetE1EEEvSN_,@function
_ZN7rocprim17ROCPRIM_400000_NS6detail17trampoline_kernelINS0_14default_configENS1_35radix_sort_onesweep_config_selectorIjN6thrust23THRUST_200600_302600_NS5tupleIffNS6_9null_typeES8_S8_S8_S8_S8_S8_S8_EEEEZZNS1_29radix_sort_onesweep_iterationIS3_Lb0ENS6_6detail15normal_iteratorINS6_10device_ptrIjEEEESG_NSD_INSE_IS9_EEEESI_jNS0_19identity_decomposerENS1_16block_id_wrapperIjLb0EEEEE10hipError_tT1_PNSt15iterator_traitsISN_E10value_typeET2_T3_PNSO_IST_E10value_typeET4_T5_PSY_SZ_PNS1_23onesweep_lookback_stateEbbT6_jjT7_P12ihipStream_tbENKUlT_T0_SN_SS_E_clISG_PjSI_PS9_EEDaS16_S17_SN_SS_EUlS16_E_NS1_11comp_targetILNS1_3genE5ELNS1_11target_archE942ELNS1_3gpuE9ELNS1_3repE0EEENS1_47radix_sort_onesweep_sort_config_static_selectorELNS0_4arch9wavefront6targetE1EEEvSN_: ; @_ZN7rocprim17ROCPRIM_400000_NS6detail17trampoline_kernelINS0_14default_configENS1_35radix_sort_onesweep_config_selectorIjN6thrust23THRUST_200600_302600_NS5tupleIffNS6_9null_typeES8_S8_S8_S8_S8_S8_S8_EEEEZZNS1_29radix_sort_onesweep_iterationIS3_Lb0ENS6_6detail15normal_iteratorINS6_10device_ptrIjEEEESG_NSD_INSE_IS9_EEEESI_jNS0_19identity_decomposerENS1_16block_id_wrapperIjLb0EEEEE10hipError_tT1_PNSt15iterator_traitsISN_E10value_typeET2_T3_PNSO_IST_E10value_typeET4_T5_PSY_SZ_PNS1_23onesweep_lookback_stateEbbT6_jjT7_P12ihipStream_tbENKUlT_T0_SN_SS_E_clISG_PjSI_PS9_EEDaS16_S17_SN_SS_EUlS16_E_NS1_11comp_targetILNS1_3genE5ELNS1_11target_archE942ELNS1_3gpuE9ELNS1_3repE0EEENS1_47radix_sort_onesweep_sort_config_static_selectorELNS0_4arch9wavefront6targetE1EEEvSN_
; %bb.0:
	.section	.rodata,"a",@progbits
	.p2align	6, 0x0
	.amdhsa_kernel _ZN7rocprim17ROCPRIM_400000_NS6detail17trampoline_kernelINS0_14default_configENS1_35radix_sort_onesweep_config_selectorIjN6thrust23THRUST_200600_302600_NS5tupleIffNS6_9null_typeES8_S8_S8_S8_S8_S8_S8_EEEEZZNS1_29radix_sort_onesweep_iterationIS3_Lb0ENS6_6detail15normal_iteratorINS6_10device_ptrIjEEEESG_NSD_INSE_IS9_EEEESI_jNS0_19identity_decomposerENS1_16block_id_wrapperIjLb0EEEEE10hipError_tT1_PNSt15iterator_traitsISN_E10value_typeET2_T3_PNSO_IST_E10value_typeET4_T5_PSY_SZ_PNS1_23onesweep_lookback_stateEbbT6_jjT7_P12ihipStream_tbENKUlT_T0_SN_SS_E_clISG_PjSI_PS9_EEDaS16_S17_SN_SS_EUlS16_E_NS1_11comp_targetILNS1_3genE5ELNS1_11target_archE942ELNS1_3gpuE9ELNS1_3repE0EEENS1_47radix_sort_onesweep_sort_config_static_selectorELNS0_4arch9wavefront6targetE1EEEvSN_
		.amdhsa_group_segment_fixed_size 0
		.amdhsa_private_segment_fixed_size 0
		.amdhsa_kernarg_size 88
		.amdhsa_user_sgpr_count 6
		.amdhsa_user_sgpr_private_segment_buffer 1
		.amdhsa_user_sgpr_dispatch_ptr 0
		.amdhsa_user_sgpr_queue_ptr 0
		.amdhsa_user_sgpr_kernarg_segment_ptr 1
		.amdhsa_user_sgpr_dispatch_id 0
		.amdhsa_user_sgpr_flat_scratch_init 0
		.amdhsa_user_sgpr_kernarg_preload_length 0
		.amdhsa_user_sgpr_kernarg_preload_offset 0
		.amdhsa_user_sgpr_private_segment_size 0
		.amdhsa_uses_dynamic_stack 0
		.amdhsa_system_sgpr_private_segment_wavefront_offset 0
		.amdhsa_system_sgpr_workgroup_id_x 1
		.amdhsa_system_sgpr_workgroup_id_y 0
		.amdhsa_system_sgpr_workgroup_id_z 0
		.amdhsa_system_sgpr_workgroup_info 0
		.amdhsa_system_vgpr_workitem_id 0
		.amdhsa_next_free_vgpr 1
		.amdhsa_next_free_sgpr 0
		.amdhsa_accum_offset 4
		.amdhsa_reserve_vcc 0
		.amdhsa_reserve_flat_scratch 0
		.amdhsa_float_round_mode_32 0
		.amdhsa_float_round_mode_16_64 0
		.amdhsa_float_denorm_mode_32 3
		.amdhsa_float_denorm_mode_16_64 3
		.amdhsa_dx10_clamp 1
		.amdhsa_ieee_mode 1
		.amdhsa_fp16_overflow 0
		.amdhsa_tg_split 0
		.amdhsa_exception_fp_ieee_invalid_op 0
		.amdhsa_exception_fp_denorm_src 0
		.amdhsa_exception_fp_ieee_div_zero 0
		.amdhsa_exception_fp_ieee_overflow 0
		.amdhsa_exception_fp_ieee_underflow 0
		.amdhsa_exception_fp_ieee_inexact 0
		.amdhsa_exception_int_div_zero 0
	.end_amdhsa_kernel
	.section	.text._ZN7rocprim17ROCPRIM_400000_NS6detail17trampoline_kernelINS0_14default_configENS1_35radix_sort_onesweep_config_selectorIjN6thrust23THRUST_200600_302600_NS5tupleIffNS6_9null_typeES8_S8_S8_S8_S8_S8_S8_EEEEZZNS1_29radix_sort_onesweep_iterationIS3_Lb0ENS6_6detail15normal_iteratorINS6_10device_ptrIjEEEESG_NSD_INSE_IS9_EEEESI_jNS0_19identity_decomposerENS1_16block_id_wrapperIjLb0EEEEE10hipError_tT1_PNSt15iterator_traitsISN_E10value_typeET2_T3_PNSO_IST_E10value_typeET4_T5_PSY_SZ_PNS1_23onesweep_lookback_stateEbbT6_jjT7_P12ihipStream_tbENKUlT_T0_SN_SS_E_clISG_PjSI_PS9_EEDaS16_S17_SN_SS_EUlS16_E_NS1_11comp_targetILNS1_3genE5ELNS1_11target_archE942ELNS1_3gpuE9ELNS1_3repE0EEENS1_47radix_sort_onesweep_sort_config_static_selectorELNS0_4arch9wavefront6targetE1EEEvSN_,"axG",@progbits,_ZN7rocprim17ROCPRIM_400000_NS6detail17trampoline_kernelINS0_14default_configENS1_35radix_sort_onesweep_config_selectorIjN6thrust23THRUST_200600_302600_NS5tupleIffNS6_9null_typeES8_S8_S8_S8_S8_S8_S8_EEEEZZNS1_29radix_sort_onesweep_iterationIS3_Lb0ENS6_6detail15normal_iteratorINS6_10device_ptrIjEEEESG_NSD_INSE_IS9_EEEESI_jNS0_19identity_decomposerENS1_16block_id_wrapperIjLb0EEEEE10hipError_tT1_PNSt15iterator_traitsISN_E10value_typeET2_T3_PNSO_IST_E10value_typeET4_T5_PSY_SZ_PNS1_23onesweep_lookback_stateEbbT6_jjT7_P12ihipStream_tbENKUlT_T0_SN_SS_E_clISG_PjSI_PS9_EEDaS16_S17_SN_SS_EUlS16_E_NS1_11comp_targetILNS1_3genE5ELNS1_11target_archE942ELNS1_3gpuE9ELNS1_3repE0EEENS1_47radix_sort_onesweep_sort_config_static_selectorELNS0_4arch9wavefront6targetE1EEEvSN_,comdat
.Lfunc_end213:
	.size	_ZN7rocprim17ROCPRIM_400000_NS6detail17trampoline_kernelINS0_14default_configENS1_35radix_sort_onesweep_config_selectorIjN6thrust23THRUST_200600_302600_NS5tupleIffNS6_9null_typeES8_S8_S8_S8_S8_S8_S8_EEEEZZNS1_29radix_sort_onesweep_iterationIS3_Lb0ENS6_6detail15normal_iteratorINS6_10device_ptrIjEEEESG_NSD_INSE_IS9_EEEESI_jNS0_19identity_decomposerENS1_16block_id_wrapperIjLb0EEEEE10hipError_tT1_PNSt15iterator_traitsISN_E10value_typeET2_T3_PNSO_IST_E10value_typeET4_T5_PSY_SZ_PNS1_23onesweep_lookback_stateEbbT6_jjT7_P12ihipStream_tbENKUlT_T0_SN_SS_E_clISG_PjSI_PS9_EEDaS16_S17_SN_SS_EUlS16_E_NS1_11comp_targetILNS1_3genE5ELNS1_11target_archE942ELNS1_3gpuE9ELNS1_3repE0EEENS1_47radix_sort_onesweep_sort_config_static_selectorELNS0_4arch9wavefront6targetE1EEEvSN_, .Lfunc_end213-_ZN7rocprim17ROCPRIM_400000_NS6detail17trampoline_kernelINS0_14default_configENS1_35radix_sort_onesweep_config_selectorIjN6thrust23THRUST_200600_302600_NS5tupleIffNS6_9null_typeES8_S8_S8_S8_S8_S8_S8_EEEEZZNS1_29radix_sort_onesweep_iterationIS3_Lb0ENS6_6detail15normal_iteratorINS6_10device_ptrIjEEEESG_NSD_INSE_IS9_EEEESI_jNS0_19identity_decomposerENS1_16block_id_wrapperIjLb0EEEEE10hipError_tT1_PNSt15iterator_traitsISN_E10value_typeET2_T3_PNSO_IST_E10value_typeET4_T5_PSY_SZ_PNS1_23onesweep_lookback_stateEbbT6_jjT7_P12ihipStream_tbENKUlT_T0_SN_SS_E_clISG_PjSI_PS9_EEDaS16_S17_SN_SS_EUlS16_E_NS1_11comp_targetILNS1_3genE5ELNS1_11target_archE942ELNS1_3gpuE9ELNS1_3repE0EEENS1_47radix_sort_onesweep_sort_config_static_selectorELNS0_4arch9wavefront6targetE1EEEvSN_
                                        ; -- End function
	.section	.AMDGPU.csdata,"",@progbits
; Kernel info:
; codeLenInByte = 0
; NumSgprs: 4
; NumVgprs: 0
; NumAgprs: 0
; TotalNumVgprs: 0
; ScratchSize: 0
; MemoryBound: 0
; FloatMode: 240
; IeeeMode: 1
; LDSByteSize: 0 bytes/workgroup (compile time only)
; SGPRBlocks: 0
; VGPRBlocks: 0
; NumSGPRsForWavesPerEU: 4
; NumVGPRsForWavesPerEU: 1
; AccumOffset: 4
; Occupancy: 8
; WaveLimiterHint : 0
; COMPUTE_PGM_RSRC2:SCRATCH_EN: 0
; COMPUTE_PGM_RSRC2:USER_SGPR: 6
; COMPUTE_PGM_RSRC2:TRAP_HANDLER: 0
; COMPUTE_PGM_RSRC2:TGID_X_EN: 1
; COMPUTE_PGM_RSRC2:TGID_Y_EN: 0
; COMPUTE_PGM_RSRC2:TGID_Z_EN: 0
; COMPUTE_PGM_RSRC2:TIDIG_COMP_CNT: 0
; COMPUTE_PGM_RSRC3_GFX90A:ACCUM_OFFSET: 0
; COMPUTE_PGM_RSRC3_GFX90A:TG_SPLIT: 0
	.section	.text._ZN7rocprim17ROCPRIM_400000_NS6detail17trampoline_kernelINS0_14default_configENS1_35radix_sort_onesweep_config_selectorIjN6thrust23THRUST_200600_302600_NS5tupleIffNS6_9null_typeES8_S8_S8_S8_S8_S8_S8_EEEEZZNS1_29radix_sort_onesweep_iterationIS3_Lb0ENS6_6detail15normal_iteratorINS6_10device_ptrIjEEEESG_NSD_INSE_IS9_EEEESI_jNS0_19identity_decomposerENS1_16block_id_wrapperIjLb0EEEEE10hipError_tT1_PNSt15iterator_traitsISN_E10value_typeET2_T3_PNSO_IST_E10value_typeET4_T5_PSY_SZ_PNS1_23onesweep_lookback_stateEbbT6_jjT7_P12ihipStream_tbENKUlT_T0_SN_SS_E_clISG_PjSI_PS9_EEDaS16_S17_SN_SS_EUlS16_E_NS1_11comp_targetILNS1_3genE2ELNS1_11target_archE906ELNS1_3gpuE6ELNS1_3repE0EEENS1_47radix_sort_onesweep_sort_config_static_selectorELNS0_4arch9wavefront6targetE1EEEvSN_,"axG",@progbits,_ZN7rocprim17ROCPRIM_400000_NS6detail17trampoline_kernelINS0_14default_configENS1_35radix_sort_onesweep_config_selectorIjN6thrust23THRUST_200600_302600_NS5tupleIffNS6_9null_typeES8_S8_S8_S8_S8_S8_S8_EEEEZZNS1_29radix_sort_onesweep_iterationIS3_Lb0ENS6_6detail15normal_iteratorINS6_10device_ptrIjEEEESG_NSD_INSE_IS9_EEEESI_jNS0_19identity_decomposerENS1_16block_id_wrapperIjLb0EEEEE10hipError_tT1_PNSt15iterator_traitsISN_E10value_typeET2_T3_PNSO_IST_E10value_typeET4_T5_PSY_SZ_PNS1_23onesweep_lookback_stateEbbT6_jjT7_P12ihipStream_tbENKUlT_T0_SN_SS_E_clISG_PjSI_PS9_EEDaS16_S17_SN_SS_EUlS16_E_NS1_11comp_targetILNS1_3genE2ELNS1_11target_archE906ELNS1_3gpuE6ELNS1_3repE0EEENS1_47radix_sort_onesweep_sort_config_static_selectorELNS0_4arch9wavefront6targetE1EEEvSN_,comdat
	.protected	_ZN7rocprim17ROCPRIM_400000_NS6detail17trampoline_kernelINS0_14default_configENS1_35radix_sort_onesweep_config_selectorIjN6thrust23THRUST_200600_302600_NS5tupleIffNS6_9null_typeES8_S8_S8_S8_S8_S8_S8_EEEEZZNS1_29radix_sort_onesweep_iterationIS3_Lb0ENS6_6detail15normal_iteratorINS6_10device_ptrIjEEEESG_NSD_INSE_IS9_EEEESI_jNS0_19identity_decomposerENS1_16block_id_wrapperIjLb0EEEEE10hipError_tT1_PNSt15iterator_traitsISN_E10value_typeET2_T3_PNSO_IST_E10value_typeET4_T5_PSY_SZ_PNS1_23onesweep_lookback_stateEbbT6_jjT7_P12ihipStream_tbENKUlT_T0_SN_SS_E_clISG_PjSI_PS9_EEDaS16_S17_SN_SS_EUlS16_E_NS1_11comp_targetILNS1_3genE2ELNS1_11target_archE906ELNS1_3gpuE6ELNS1_3repE0EEENS1_47radix_sort_onesweep_sort_config_static_selectorELNS0_4arch9wavefront6targetE1EEEvSN_ ; -- Begin function _ZN7rocprim17ROCPRIM_400000_NS6detail17trampoline_kernelINS0_14default_configENS1_35radix_sort_onesweep_config_selectorIjN6thrust23THRUST_200600_302600_NS5tupleIffNS6_9null_typeES8_S8_S8_S8_S8_S8_S8_EEEEZZNS1_29radix_sort_onesweep_iterationIS3_Lb0ENS6_6detail15normal_iteratorINS6_10device_ptrIjEEEESG_NSD_INSE_IS9_EEEESI_jNS0_19identity_decomposerENS1_16block_id_wrapperIjLb0EEEEE10hipError_tT1_PNSt15iterator_traitsISN_E10value_typeET2_T3_PNSO_IST_E10value_typeET4_T5_PSY_SZ_PNS1_23onesweep_lookback_stateEbbT6_jjT7_P12ihipStream_tbENKUlT_T0_SN_SS_E_clISG_PjSI_PS9_EEDaS16_S17_SN_SS_EUlS16_E_NS1_11comp_targetILNS1_3genE2ELNS1_11target_archE906ELNS1_3gpuE6ELNS1_3repE0EEENS1_47radix_sort_onesweep_sort_config_static_selectorELNS0_4arch9wavefront6targetE1EEEvSN_
	.globl	_ZN7rocprim17ROCPRIM_400000_NS6detail17trampoline_kernelINS0_14default_configENS1_35radix_sort_onesweep_config_selectorIjN6thrust23THRUST_200600_302600_NS5tupleIffNS6_9null_typeES8_S8_S8_S8_S8_S8_S8_EEEEZZNS1_29radix_sort_onesweep_iterationIS3_Lb0ENS6_6detail15normal_iteratorINS6_10device_ptrIjEEEESG_NSD_INSE_IS9_EEEESI_jNS0_19identity_decomposerENS1_16block_id_wrapperIjLb0EEEEE10hipError_tT1_PNSt15iterator_traitsISN_E10value_typeET2_T3_PNSO_IST_E10value_typeET4_T5_PSY_SZ_PNS1_23onesweep_lookback_stateEbbT6_jjT7_P12ihipStream_tbENKUlT_T0_SN_SS_E_clISG_PjSI_PS9_EEDaS16_S17_SN_SS_EUlS16_E_NS1_11comp_targetILNS1_3genE2ELNS1_11target_archE906ELNS1_3gpuE6ELNS1_3repE0EEENS1_47radix_sort_onesweep_sort_config_static_selectorELNS0_4arch9wavefront6targetE1EEEvSN_
	.p2align	8
	.type	_ZN7rocprim17ROCPRIM_400000_NS6detail17trampoline_kernelINS0_14default_configENS1_35radix_sort_onesweep_config_selectorIjN6thrust23THRUST_200600_302600_NS5tupleIffNS6_9null_typeES8_S8_S8_S8_S8_S8_S8_EEEEZZNS1_29radix_sort_onesweep_iterationIS3_Lb0ENS6_6detail15normal_iteratorINS6_10device_ptrIjEEEESG_NSD_INSE_IS9_EEEESI_jNS0_19identity_decomposerENS1_16block_id_wrapperIjLb0EEEEE10hipError_tT1_PNSt15iterator_traitsISN_E10value_typeET2_T3_PNSO_IST_E10value_typeET4_T5_PSY_SZ_PNS1_23onesweep_lookback_stateEbbT6_jjT7_P12ihipStream_tbENKUlT_T0_SN_SS_E_clISG_PjSI_PS9_EEDaS16_S17_SN_SS_EUlS16_E_NS1_11comp_targetILNS1_3genE2ELNS1_11target_archE906ELNS1_3gpuE6ELNS1_3repE0EEENS1_47radix_sort_onesweep_sort_config_static_selectorELNS0_4arch9wavefront6targetE1EEEvSN_,@function
_ZN7rocprim17ROCPRIM_400000_NS6detail17trampoline_kernelINS0_14default_configENS1_35radix_sort_onesweep_config_selectorIjN6thrust23THRUST_200600_302600_NS5tupleIffNS6_9null_typeES8_S8_S8_S8_S8_S8_S8_EEEEZZNS1_29radix_sort_onesweep_iterationIS3_Lb0ENS6_6detail15normal_iteratorINS6_10device_ptrIjEEEESG_NSD_INSE_IS9_EEEESI_jNS0_19identity_decomposerENS1_16block_id_wrapperIjLb0EEEEE10hipError_tT1_PNSt15iterator_traitsISN_E10value_typeET2_T3_PNSO_IST_E10value_typeET4_T5_PSY_SZ_PNS1_23onesweep_lookback_stateEbbT6_jjT7_P12ihipStream_tbENKUlT_T0_SN_SS_E_clISG_PjSI_PS9_EEDaS16_S17_SN_SS_EUlS16_E_NS1_11comp_targetILNS1_3genE2ELNS1_11target_archE906ELNS1_3gpuE6ELNS1_3repE0EEENS1_47radix_sort_onesweep_sort_config_static_selectorELNS0_4arch9wavefront6targetE1EEEvSN_: ; @_ZN7rocprim17ROCPRIM_400000_NS6detail17trampoline_kernelINS0_14default_configENS1_35radix_sort_onesweep_config_selectorIjN6thrust23THRUST_200600_302600_NS5tupleIffNS6_9null_typeES8_S8_S8_S8_S8_S8_S8_EEEEZZNS1_29radix_sort_onesweep_iterationIS3_Lb0ENS6_6detail15normal_iteratorINS6_10device_ptrIjEEEESG_NSD_INSE_IS9_EEEESI_jNS0_19identity_decomposerENS1_16block_id_wrapperIjLb0EEEEE10hipError_tT1_PNSt15iterator_traitsISN_E10value_typeET2_T3_PNSO_IST_E10value_typeET4_T5_PSY_SZ_PNS1_23onesweep_lookback_stateEbbT6_jjT7_P12ihipStream_tbENKUlT_T0_SN_SS_E_clISG_PjSI_PS9_EEDaS16_S17_SN_SS_EUlS16_E_NS1_11comp_targetILNS1_3genE2ELNS1_11target_archE906ELNS1_3gpuE6ELNS1_3repE0EEENS1_47radix_sort_onesweep_sort_config_static_selectorELNS0_4arch9wavefront6targetE1EEEvSN_
; %bb.0:
	.section	.rodata,"a",@progbits
	.p2align	6, 0x0
	.amdhsa_kernel _ZN7rocprim17ROCPRIM_400000_NS6detail17trampoline_kernelINS0_14default_configENS1_35radix_sort_onesweep_config_selectorIjN6thrust23THRUST_200600_302600_NS5tupleIffNS6_9null_typeES8_S8_S8_S8_S8_S8_S8_EEEEZZNS1_29radix_sort_onesweep_iterationIS3_Lb0ENS6_6detail15normal_iteratorINS6_10device_ptrIjEEEESG_NSD_INSE_IS9_EEEESI_jNS0_19identity_decomposerENS1_16block_id_wrapperIjLb0EEEEE10hipError_tT1_PNSt15iterator_traitsISN_E10value_typeET2_T3_PNSO_IST_E10value_typeET4_T5_PSY_SZ_PNS1_23onesweep_lookback_stateEbbT6_jjT7_P12ihipStream_tbENKUlT_T0_SN_SS_E_clISG_PjSI_PS9_EEDaS16_S17_SN_SS_EUlS16_E_NS1_11comp_targetILNS1_3genE2ELNS1_11target_archE906ELNS1_3gpuE6ELNS1_3repE0EEENS1_47radix_sort_onesweep_sort_config_static_selectorELNS0_4arch9wavefront6targetE1EEEvSN_
		.amdhsa_group_segment_fixed_size 0
		.amdhsa_private_segment_fixed_size 0
		.amdhsa_kernarg_size 88
		.amdhsa_user_sgpr_count 6
		.amdhsa_user_sgpr_private_segment_buffer 1
		.amdhsa_user_sgpr_dispatch_ptr 0
		.amdhsa_user_sgpr_queue_ptr 0
		.amdhsa_user_sgpr_kernarg_segment_ptr 1
		.amdhsa_user_sgpr_dispatch_id 0
		.amdhsa_user_sgpr_flat_scratch_init 0
		.amdhsa_user_sgpr_kernarg_preload_length 0
		.amdhsa_user_sgpr_kernarg_preload_offset 0
		.amdhsa_user_sgpr_private_segment_size 0
		.amdhsa_uses_dynamic_stack 0
		.amdhsa_system_sgpr_private_segment_wavefront_offset 0
		.amdhsa_system_sgpr_workgroup_id_x 1
		.amdhsa_system_sgpr_workgroup_id_y 0
		.amdhsa_system_sgpr_workgroup_id_z 0
		.amdhsa_system_sgpr_workgroup_info 0
		.amdhsa_system_vgpr_workitem_id 0
		.amdhsa_next_free_vgpr 1
		.amdhsa_next_free_sgpr 0
		.amdhsa_accum_offset 4
		.amdhsa_reserve_vcc 0
		.amdhsa_reserve_flat_scratch 0
		.amdhsa_float_round_mode_32 0
		.amdhsa_float_round_mode_16_64 0
		.amdhsa_float_denorm_mode_32 3
		.amdhsa_float_denorm_mode_16_64 3
		.amdhsa_dx10_clamp 1
		.amdhsa_ieee_mode 1
		.amdhsa_fp16_overflow 0
		.amdhsa_tg_split 0
		.amdhsa_exception_fp_ieee_invalid_op 0
		.amdhsa_exception_fp_denorm_src 0
		.amdhsa_exception_fp_ieee_div_zero 0
		.amdhsa_exception_fp_ieee_overflow 0
		.amdhsa_exception_fp_ieee_underflow 0
		.amdhsa_exception_fp_ieee_inexact 0
		.amdhsa_exception_int_div_zero 0
	.end_amdhsa_kernel
	.section	.text._ZN7rocprim17ROCPRIM_400000_NS6detail17trampoline_kernelINS0_14default_configENS1_35radix_sort_onesweep_config_selectorIjN6thrust23THRUST_200600_302600_NS5tupleIffNS6_9null_typeES8_S8_S8_S8_S8_S8_S8_EEEEZZNS1_29radix_sort_onesweep_iterationIS3_Lb0ENS6_6detail15normal_iteratorINS6_10device_ptrIjEEEESG_NSD_INSE_IS9_EEEESI_jNS0_19identity_decomposerENS1_16block_id_wrapperIjLb0EEEEE10hipError_tT1_PNSt15iterator_traitsISN_E10value_typeET2_T3_PNSO_IST_E10value_typeET4_T5_PSY_SZ_PNS1_23onesweep_lookback_stateEbbT6_jjT7_P12ihipStream_tbENKUlT_T0_SN_SS_E_clISG_PjSI_PS9_EEDaS16_S17_SN_SS_EUlS16_E_NS1_11comp_targetILNS1_3genE2ELNS1_11target_archE906ELNS1_3gpuE6ELNS1_3repE0EEENS1_47radix_sort_onesweep_sort_config_static_selectorELNS0_4arch9wavefront6targetE1EEEvSN_,"axG",@progbits,_ZN7rocprim17ROCPRIM_400000_NS6detail17trampoline_kernelINS0_14default_configENS1_35radix_sort_onesweep_config_selectorIjN6thrust23THRUST_200600_302600_NS5tupleIffNS6_9null_typeES8_S8_S8_S8_S8_S8_S8_EEEEZZNS1_29radix_sort_onesweep_iterationIS3_Lb0ENS6_6detail15normal_iteratorINS6_10device_ptrIjEEEESG_NSD_INSE_IS9_EEEESI_jNS0_19identity_decomposerENS1_16block_id_wrapperIjLb0EEEEE10hipError_tT1_PNSt15iterator_traitsISN_E10value_typeET2_T3_PNSO_IST_E10value_typeET4_T5_PSY_SZ_PNS1_23onesweep_lookback_stateEbbT6_jjT7_P12ihipStream_tbENKUlT_T0_SN_SS_E_clISG_PjSI_PS9_EEDaS16_S17_SN_SS_EUlS16_E_NS1_11comp_targetILNS1_3genE2ELNS1_11target_archE906ELNS1_3gpuE6ELNS1_3repE0EEENS1_47radix_sort_onesweep_sort_config_static_selectorELNS0_4arch9wavefront6targetE1EEEvSN_,comdat
.Lfunc_end214:
	.size	_ZN7rocprim17ROCPRIM_400000_NS6detail17trampoline_kernelINS0_14default_configENS1_35radix_sort_onesweep_config_selectorIjN6thrust23THRUST_200600_302600_NS5tupleIffNS6_9null_typeES8_S8_S8_S8_S8_S8_S8_EEEEZZNS1_29radix_sort_onesweep_iterationIS3_Lb0ENS6_6detail15normal_iteratorINS6_10device_ptrIjEEEESG_NSD_INSE_IS9_EEEESI_jNS0_19identity_decomposerENS1_16block_id_wrapperIjLb0EEEEE10hipError_tT1_PNSt15iterator_traitsISN_E10value_typeET2_T3_PNSO_IST_E10value_typeET4_T5_PSY_SZ_PNS1_23onesweep_lookback_stateEbbT6_jjT7_P12ihipStream_tbENKUlT_T0_SN_SS_E_clISG_PjSI_PS9_EEDaS16_S17_SN_SS_EUlS16_E_NS1_11comp_targetILNS1_3genE2ELNS1_11target_archE906ELNS1_3gpuE6ELNS1_3repE0EEENS1_47radix_sort_onesweep_sort_config_static_selectorELNS0_4arch9wavefront6targetE1EEEvSN_, .Lfunc_end214-_ZN7rocprim17ROCPRIM_400000_NS6detail17trampoline_kernelINS0_14default_configENS1_35radix_sort_onesweep_config_selectorIjN6thrust23THRUST_200600_302600_NS5tupleIffNS6_9null_typeES8_S8_S8_S8_S8_S8_S8_EEEEZZNS1_29radix_sort_onesweep_iterationIS3_Lb0ENS6_6detail15normal_iteratorINS6_10device_ptrIjEEEESG_NSD_INSE_IS9_EEEESI_jNS0_19identity_decomposerENS1_16block_id_wrapperIjLb0EEEEE10hipError_tT1_PNSt15iterator_traitsISN_E10value_typeET2_T3_PNSO_IST_E10value_typeET4_T5_PSY_SZ_PNS1_23onesweep_lookback_stateEbbT6_jjT7_P12ihipStream_tbENKUlT_T0_SN_SS_E_clISG_PjSI_PS9_EEDaS16_S17_SN_SS_EUlS16_E_NS1_11comp_targetILNS1_3genE2ELNS1_11target_archE906ELNS1_3gpuE6ELNS1_3repE0EEENS1_47radix_sort_onesweep_sort_config_static_selectorELNS0_4arch9wavefront6targetE1EEEvSN_
                                        ; -- End function
	.section	.AMDGPU.csdata,"",@progbits
; Kernel info:
; codeLenInByte = 0
; NumSgprs: 4
; NumVgprs: 0
; NumAgprs: 0
; TotalNumVgprs: 0
; ScratchSize: 0
; MemoryBound: 0
; FloatMode: 240
; IeeeMode: 1
; LDSByteSize: 0 bytes/workgroup (compile time only)
; SGPRBlocks: 0
; VGPRBlocks: 0
; NumSGPRsForWavesPerEU: 4
; NumVGPRsForWavesPerEU: 1
; AccumOffset: 4
; Occupancy: 8
; WaveLimiterHint : 0
; COMPUTE_PGM_RSRC2:SCRATCH_EN: 0
; COMPUTE_PGM_RSRC2:USER_SGPR: 6
; COMPUTE_PGM_RSRC2:TRAP_HANDLER: 0
; COMPUTE_PGM_RSRC2:TGID_X_EN: 1
; COMPUTE_PGM_RSRC2:TGID_Y_EN: 0
; COMPUTE_PGM_RSRC2:TGID_Z_EN: 0
; COMPUTE_PGM_RSRC2:TIDIG_COMP_CNT: 0
; COMPUTE_PGM_RSRC3_GFX90A:ACCUM_OFFSET: 0
; COMPUTE_PGM_RSRC3_GFX90A:TG_SPLIT: 0
	.section	.text._ZN7rocprim17ROCPRIM_400000_NS6detail17trampoline_kernelINS0_14default_configENS1_35radix_sort_onesweep_config_selectorIjN6thrust23THRUST_200600_302600_NS5tupleIffNS6_9null_typeES8_S8_S8_S8_S8_S8_S8_EEEEZZNS1_29radix_sort_onesweep_iterationIS3_Lb0ENS6_6detail15normal_iteratorINS6_10device_ptrIjEEEESG_NSD_INSE_IS9_EEEESI_jNS0_19identity_decomposerENS1_16block_id_wrapperIjLb0EEEEE10hipError_tT1_PNSt15iterator_traitsISN_E10value_typeET2_T3_PNSO_IST_E10value_typeET4_T5_PSY_SZ_PNS1_23onesweep_lookback_stateEbbT6_jjT7_P12ihipStream_tbENKUlT_T0_SN_SS_E_clISG_PjSI_PS9_EEDaS16_S17_SN_SS_EUlS16_E_NS1_11comp_targetILNS1_3genE4ELNS1_11target_archE910ELNS1_3gpuE8ELNS1_3repE0EEENS1_47radix_sort_onesweep_sort_config_static_selectorELNS0_4arch9wavefront6targetE1EEEvSN_,"axG",@progbits,_ZN7rocprim17ROCPRIM_400000_NS6detail17trampoline_kernelINS0_14default_configENS1_35radix_sort_onesweep_config_selectorIjN6thrust23THRUST_200600_302600_NS5tupleIffNS6_9null_typeES8_S8_S8_S8_S8_S8_S8_EEEEZZNS1_29radix_sort_onesweep_iterationIS3_Lb0ENS6_6detail15normal_iteratorINS6_10device_ptrIjEEEESG_NSD_INSE_IS9_EEEESI_jNS0_19identity_decomposerENS1_16block_id_wrapperIjLb0EEEEE10hipError_tT1_PNSt15iterator_traitsISN_E10value_typeET2_T3_PNSO_IST_E10value_typeET4_T5_PSY_SZ_PNS1_23onesweep_lookback_stateEbbT6_jjT7_P12ihipStream_tbENKUlT_T0_SN_SS_E_clISG_PjSI_PS9_EEDaS16_S17_SN_SS_EUlS16_E_NS1_11comp_targetILNS1_3genE4ELNS1_11target_archE910ELNS1_3gpuE8ELNS1_3repE0EEENS1_47radix_sort_onesweep_sort_config_static_selectorELNS0_4arch9wavefront6targetE1EEEvSN_,comdat
	.protected	_ZN7rocprim17ROCPRIM_400000_NS6detail17trampoline_kernelINS0_14default_configENS1_35radix_sort_onesweep_config_selectorIjN6thrust23THRUST_200600_302600_NS5tupleIffNS6_9null_typeES8_S8_S8_S8_S8_S8_S8_EEEEZZNS1_29radix_sort_onesweep_iterationIS3_Lb0ENS6_6detail15normal_iteratorINS6_10device_ptrIjEEEESG_NSD_INSE_IS9_EEEESI_jNS0_19identity_decomposerENS1_16block_id_wrapperIjLb0EEEEE10hipError_tT1_PNSt15iterator_traitsISN_E10value_typeET2_T3_PNSO_IST_E10value_typeET4_T5_PSY_SZ_PNS1_23onesweep_lookback_stateEbbT6_jjT7_P12ihipStream_tbENKUlT_T0_SN_SS_E_clISG_PjSI_PS9_EEDaS16_S17_SN_SS_EUlS16_E_NS1_11comp_targetILNS1_3genE4ELNS1_11target_archE910ELNS1_3gpuE8ELNS1_3repE0EEENS1_47radix_sort_onesweep_sort_config_static_selectorELNS0_4arch9wavefront6targetE1EEEvSN_ ; -- Begin function _ZN7rocprim17ROCPRIM_400000_NS6detail17trampoline_kernelINS0_14default_configENS1_35radix_sort_onesweep_config_selectorIjN6thrust23THRUST_200600_302600_NS5tupleIffNS6_9null_typeES8_S8_S8_S8_S8_S8_S8_EEEEZZNS1_29radix_sort_onesweep_iterationIS3_Lb0ENS6_6detail15normal_iteratorINS6_10device_ptrIjEEEESG_NSD_INSE_IS9_EEEESI_jNS0_19identity_decomposerENS1_16block_id_wrapperIjLb0EEEEE10hipError_tT1_PNSt15iterator_traitsISN_E10value_typeET2_T3_PNSO_IST_E10value_typeET4_T5_PSY_SZ_PNS1_23onesweep_lookback_stateEbbT6_jjT7_P12ihipStream_tbENKUlT_T0_SN_SS_E_clISG_PjSI_PS9_EEDaS16_S17_SN_SS_EUlS16_E_NS1_11comp_targetILNS1_3genE4ELNS1_11target_archE910ELNS1_3gpuE8ELNS1_3repE0EEENS1_47radix_sort_onesweep_sort_config_static_selectorELNS0_4arch9wavefront6targetE1EEEvSN_
	.globl	_ZN7rocprim17ROCPRIM_400000_NS6detail17trampoline_kernelINS0_14default_configENS1_35radix_sort_onesweep_config_selectorIjN6thrust23THRUST_200600_302600_NS5tupleIffNS6_9null_typeES8_S8_S8_S8_S8_S8_S8_EEEEZZNS1_29radix_sort_onesweep_iterationIS3_Lb0ENS6_6detail15normal_iteratorINS6_10device_ptrIjEEEESG_NSD_INSE_IS9_EEEESI_jNS0_19identity_decomposerENS1_16block_id_wrapperIjLb0EEEEE10hipError_tT1_PNSt15iterator_traitsISN_E10value_typeET2_T3_PNSO_IST_E10value_typeET4_T5_PSY_SZ_PNS1_23onesweep_lookback_stateEbbT6_jjT7_P12ihipStream_tbENKUlT_T0_SN_SS_E_clISG_PjSI_PS9_EEDaS16_S17_SN_SS_EUlS16_E_NS1_11comp_targetILNS1_3genE4ELNS1_11target_archE910ELNS1_3gpuE8ELNS1_3repE0EEENS1_47radix_sort_onesweep_sort_config_static_selectorELNS0_4arch9wavefront6targetE1EEEvSN_
	.p2align	8
	.type	_ZN7rocprim17ROCPRIM_400000_NS6detail17trampoline_kernelINS0_14default_configENS1_35radix_sort_onesweep_config_selectorIjN6thrust23THRUST_200600_302600_NS5tupleIffNS6_9null_typeES8_S8_S8_S8_S8_S8_S8_EEEEZZNS1_29radix_sort_onesweep_iterationIS3_Lb0ENS6_6detail15normal_iteratorINS6_10device_ptrIjEEEESG_NSD_INSE_IS9_EEEESI_jNS0_19identity_decomposerENS1_16block_id_wrapperIjLb0EEEEE10hipError_tT1_PNSt15iterator_traitsISN_E10value_typeET2_T3_PNSO_IST_E10value_typeET4_T5_PSY_SZ_PNS1_23onesweep_lookback_stateEbbT6_jjT7_P12ihipStream_tbENKUlT_T0_SN_SS_E_clISG_PjSI_PS9_EEDaS16_S17_SN_SS_EUlS16_E_NS1_11comp_targetILNS1_3genE4ELNS1_11target_archE910ELNS1_3gpuE8ELNS1_3repE0EEENS1_47radix_sort_onesweep_sort_config_static_selectorELNS0_4arch9wavefront6targetE1EEEvSN_,@function
_ZN7rocprim17ROCPRIM_400000_NS6detail17trampoline_kernelINS0_14default_configENS1_35radix_sort_onesweep_config_selectorIjN6thrust23THRUST_200600_302600_NS5tupleIffNS6_9null_typeES8_S8_S8_S8_S8_S8_S8_EEEEZZNS1_29radix_sort_onesweep_iterationIS3_Lb0ENS6_6detail15normal_iteratorINS6_10device_ptrIjEEEESG_NSD_INSE_IS9_EEEESI_jNS0_19identity_decomposerENS1_16block_id_wrapperIjLb0EEEEE10hipError_tT1_PNSt15iterator_traitsISN_E10value_typeET2_T3_PNSO_IST_E10value_typeET4_T5_PSY_SZ_PNS1_23onesweep_lookback_stateEbbT6_jjT7_P12ihipStream_tbENKUlT_T0_SN_SS_E_clISG_PjSI_PS9_EEDaS16_S17_SN_SS_EUlS16_E_NS1_11comp_targetILNS1_3genE4ELNS1_11target_archE910ELNS1_3gpuE8ELNS1_3repE0EEENS1_47radix_sort_onesweep_sort_config_static_selectorELNS0_4arch9wavefront6targetE1EEEvSN_: ; @_ZN7rocprim17ROCPRIM_400000_NS6detail17trampoline_kernelINS0_14default_configENS1_35radix_sort_onesweep_config_selectorIjN6thrust23THRUST_200600_302600_NS5tupleIffNS6_9null_typeES8_S8_S8_S8_S8_S8_S8_EEEEZZNS1_29radix_sort_onesweep_iterationIS3_Lb0ENS6_6detail15normal_iteratorINS6_10device_ptrIjEEEESG_NSD_INSE_IS9_EEEESI_jNS0_19identity_decomposerENS1_16block_id_wrapperIjLb0EEEEE10hipError_tT1_PNSt15iterator_traitsISN_E10value_typeET2_T3_PNSO_IST_E10value_typeET4_T5_PSY_SZ_PNS1_23onesweep_lookback_stateEbbT6_jjT7_P12ihipStream_tbENKUlT_T0_SN_SS_E_clISG_PjSI_PS9_EEDaS16_S17_SN_SS_EUlS16_E_NS1_11comp_targetILNS1_3genE4ELNS1_11target_archE910ELNS1_3gpuE8ELNS1_3repE0EEENS1_47radix_sort_onesweep_sort_config_static_selectorELNS0_4arch9wavefront6targetE1EEEvSN_
; %bb.0:
	s_load_dwordx8 s[40:47], s[4:5], 0x0
	s_load_dwordx4 s[52:55], s[4:5], 0x44
	s_load_dwordx4 s[48:51], s[4:5], 0x28
	s_load_dwordx2 s[56:57], s[4:5], 0x38
	v_mbcnt_lo_u32_b32 v1, -1, 0
	s_waitcnt lgkmcnt(0)
	s_cmp_ge_u32 s6, s54
	s_cbranch_scc0 .LBB215_95
; %bb.1:
	s_load_dword s0, s[4:5], 0x20
	s_lshl_b32 s1, s54, 13
	s_lshl_b32 s54, s6, 13
	s_mov_b32 s55, 0
	v_and_b32_e32 v18, 0x3ff, v0
	s_waitcnt lgkmcnt(0)
	s_sub_i32 s7, s0, s1
	s_lshl_b64 s[0:1], s[54:55], 2
	v_mbcnt_hi_u32_b32 v6, -1, v1
	s_add_u32 s0, s40, s0
	v_and_b32_e32 v22, 63, v6
	v_lshlrev_b32_e32 v2, 4, v18
	s_addc_u32 s1, s41, s1
	v_and_b32_e32 v19, 0x1c00, v2
	v_lshlrev_b32_e32 v2, 2, v22
	v_mov_b32_e32 v3, s1
	v_add_co_u32_e32 v2, vcc, s0, v2
	v_addc_co_u32_e32 v3, vcc, 0, v3, vcc
	v_lshlrev_b32_e32 v4, 2, v19
	v_add_co_u32_e32 v2, vcc, v2, v4
	v_or_b32_e32 v4, v22, v19
	v_addc_co_u32_e32 v3, vcc, 0, v3, vcc
	v_cmp_gt_u32_e64 s[30:31], s7, v4
	v_mov_b32_e32 v23, -1
	v_mov_b32_e32 v24, -1
	s_and_saveexec_b64 s[0:1], s[30:31]
	s_cbranch_execz .LBB215_3
; %bb.2:
	global_load_dword v24, v[2:3], off
.LBB215_3:
	s_or_b64 exec, exec, s[0:1]
	v_or_b32_e32 v5, 64, v4
	v_cmp_gt_u32_e64 s[28:29], s7, v5
	v_mov_b32_e32 v25, -1
	s_and_saveexec_b64 s[0:1], s[28:29]
	s_cbranch_execz .LBB215_5
; %bb.4:
	global_load_dword v25, v[2:3], off offset:256
.LBB215_5:
	s_or_b64 exec, exec, s[0:1]
	v_or_b32_e32 v5, 0x80, v4
	v_cmp_gt_u32_e64 s[26:27], s7, v5
	s_and_saveexec_b64 s[0:1], s[26:27]
	s_cbranch_execz .LBB215_7
; %bb.6:
	global_load_dword v23, v[2:3], off offset:512
.LBB215_7:
	s_or_b64 exec, exec, s[0:1]
	v_or_b32_e32 v5, 0xc0, v4
	v_cmp_gt_u32_e64 s[24:25], s7, v5
	v_mov_b32_e32 v26, -1
	v_mov_b32_e32 v27, -1
	s_and_saveexec_b64 s[0:1], s[24:25]
	s_cbranch_execz .LBB215_9
; %bb.8:
	global_load_dword v27, v[2:3], off offset:768
.LBB215_9:
	s_or_b64 exec, exec, s[0:1]
	v_or_b32_e32 v5, 0x100, v4
	v_cmp_gt_u32_e64 s[22:23], s7, v5
	s_and_saveexec_b64 s[0:1], s[22:23]
	s_cbranch_execz .LBB215_11
; %bb.10:
	global_load_dword v26, v[2:3], off offset:1024
.LBB215_11:
	s_or_b64 exec, exec, s[0:1]
	v_or_b32_e32 v5, 0x140, v4
	v_cmp_gt_u32_e64 s[20:21], s7, v5
	v_mov_b32_e32 v28, -1
	;; [unrolled: 18-line block ×3, first 2 shown]
	v_mov_b32_e32 v31, -1
	s_and_saveexec_b64 s[0:1], s[16:17]
	s_cbranch_execz .LBB215_17
; %bb.16:
	global_load_dword v31, v[2:3], off offset:1792
.LBB215_17:
	s_or_b64 exec, exec, s[0:1]
	v_or_b32_e32 v5, 0x200, v4
	v_cmp_gt_u32_e32 vcc, s7, v5
	s_and_saveexec_b64 s[0:1], vcc
	s_cbranch_execz .LBB215_19
; %bb.18:
	global_load_dword v30, v[2:3], off offset:2048
.LBB215_19:
	s_or_b64 exec, exec, s[0:1]
	v_or_b32_e32 v5, 0x240, v4
	v_cmp_gt_u32_e64 s[14:15], s7, v5
	v_mov_b32_e32 v32, -1
	v_mov_b32_e32 v33, -1
	s_and_saveexec_b64 s[0:1], s[14:15]
	s_cbranch_execz .LBB215_21
; %bb.20:
	global_load_dword v33, v[2:3], off offset:2304
.LBB215_21:
	s_or_b64 exec, exec, s[0:1]
	v_or_b32_e32 v5, 0x280, v4
	v_cmp_gt_u32_e64 s[12:13], s7, v5
	s_and_saveexec_b64 s[0:1], s[12:13]
	s_cbranch_execz .LBB215_23
; %bb.22:
	global_load_dword v32, v[2:3], off offset:2560
.LBB215_23:
	s_or_b64 exec, exec, s[0:1]
	v_or_b32_e32 v5, 0x2c0, v4
	v_cmp_gt_u32_e64 s[10:11], s7, v5
	v_mov_b32_e32 v34, -1
	v_mov_b32_e32 v35, -1
	s_and_saveexec_b64 s[0:1], s[10:11]
	s_cbranch_execz .LBB215_25
; %bb.24:
	global_load_dword v35, v[2:3], off offset:2816
.LBB215_25:
	s_or_b64 exec, exec, s[0:1]
	v_or_b32_e32 v5, 0x300, v4
	v_cmp_gt_u32_e64 s[8:9], s7, v5
	s_and_saveexec_b64 s[0:1], s[8:9]
	;; [unrolled: 18-line block ×3, first 2 shown]
	s_cbranch_execz .LBB215_31
; %bb.30:
	global_load_dword v36, v[2:3], off offset:3584
.LBB215_31:
	s_or_b64 exec, exec, s[0:1]
	v_or_b32_e32 v4, 0x3c0, v4
	v_cmp_gt_u32_e64 s[0:1], s7, v4
	v_mov_b32_e32 v38, -1
	s_and_saveexec_b64 s[34:35], s[0:1]
	s_cbranch_execz .LBB215_33
; %bb.32:
	global_load_dword v38, v[2:3], off offset:3840
.LBB215_33:
	s_or_b64 exec, exec, s[34:35]
	s_load_dword s34, s[4:5], 0x64
	s_load_dword s33, s[4:5], 0x58
	s_add_u32 s35, s4, 0x58
	s_addc_u32 s38, s5, 0
	v_mov_b32_e32 v2, 0
	s_waitcnt lgkmcnt(0)
	s_lshr_b32 s39, s34, 16
	s_cmp_lt_u32 s6, s33
	s_cselect_b32 s34, 12, 18
	s_add_u32 s34, s35, s34
	s_addc_u32 s35, s38, 0
	global_load_ushort v4, v2, s[34:35]
	s_lshl_b32 s34, -1, s53
	s_waitcnt vmcnt(1)
	v_lshrrev_b32_e32 v8, s52, v24
	s_not_b32 s66, s34
	v_and_b32_e32 v8, s66, v8
	v_and_b32_e32 v10, 1, v8
	v_bfe_u32 v3, v0, 10, 10
	v_bfe_u32 v5, v0, 20, 10
	v_add_co_u32_e64 v11, s[34:35], -1, v10
	v_mad_u32_u24 v5, v5, s39, v3
	v_lshlrev_b32_e32 v3, 30, v8
	v_addc_co_u32_e64 v12, s[34:35], 0, -1, s[34:35]
	v_cmp_ne_u32_e64 s[34:35], 0, v10
	v_cmp_gt_i64_e64 s[38:39], 0, v[2:3]
	v_not_b32_e32 v10, v3
	v_lshlrev_b32_e32 v3, 29, v8
	v_xor_b32_e32 v12, s35, v12
	v_xor_b32_e32 v11, s34, v11
	v_ashrrev_i32_e32 v10, 31, v10
	v_cmp_gt_i64_e64 s[34:35], 0, v[2:3]
	v_not_b32_e32 v13, v3
	v_lshlrev_b32_e32 v3, 28, v8
	v_and_b32_e32 v12, exec_hi, v12
	v_and_b32_e32 v11, exec_lo, v11
	v_xor_b32_e32 v14, s39, v10
	v_xor_b32_e32 v10, s38, v10
	v_ashrrev_i32_e32 v13, 31, v13
	v_cmp_gt_i64_e64 s[38:39], 0, v[2:3]
	v_not_b32_e32 v15, v3
	v_lshlrev_b32_e32 v3, 27, v8
	v_and_b32_e32 v12, v12, v14
	v_and_b32_e32 v10, v11, v10
	v_xor_b32_e32 v11, s35, v13
	v_xor_b32_e32 v13, s34, v13
	v_ashrrev_i32_e32 v14, 31, v15
	v_cmp_gt_i64_e64 s[34:35], 0, v[2:3]
	v_not_b32_e32 v15, v3
	v_lshlrev_b32_e32 v3, 26, v8
	v_and_b32_e32 v11, v12, v11
	v_and_b32_e32 v10, v10, v13
	;; [unrolled: 8-line block ×3, first 2 shown]
	v_xor_b32_e32 v12, s35, v14
	v_xor_b32_e32 v13, s34, v14
	v_ashrrev_i32_e32 v14, 31, v15
	v_cmp_gt_i64_e64 s[34:35], 0, v[2:3]
	v_not_b32_e32 v15, v3
	v_lshlrev_b32_e32 v3, 24, v8
	v_lshl_add_u32 v9, v8, 3, v8
	v_and_b32_e32 v8, v11, v12
	v_and_b32_e32 v10, v10, v13
	v_xor_b32_e32 v11, s39, v14
	v_xor_b32_e32 v12, s38, v14
	v_ashrrev_i32_e32 v13, 31, v15
	v_cmp_gt_i64_e64 s[38:39], 0, v[2:3]
	v_not_b32_e32 v3, v3
	v_and_b32_e32 v8, v8, v11
	v_and_b32_e32 v10, v10, v12
	v_xor_b32_e32 v11, s35, v13
	v_xor_b32_e32 v12, s34, v13
	v_ashrrev_i32_e32 v3, 31, v3
	v_and_b32_e32 v8, v8, v11
	v_and_b32_e32 v10, v10, v12
	v_mul_u32_u24_e32 v7, 5, v18
	v_lshlrev_b32_e32 v7, 2, v7
	ds_write2_b32 v7, v2, v2 offset0:8 offset1:9
	ds_write2_b32 v7, v2, v2 offset0:10 offset1:11
	ds_write_b32 v7, v2 offset:48
	s_waitcnt lgkmcnt(0)
	s_barrier
	s_waitcnt lgkmcnt(0)
	; wave barrier
	s_waitcnt vmcnt(0)
	v_mad_u64_u32 v[4:5], s[34:35], v5, v4, v[18:19]
	v_lshrrev_b32_e32 v21, 6, v4
	v_xor_b32_e32 v4, s39, v3
	v_xor_b32_e32 v3, s38, v3
	v_and_b32_e32 v5, v8, v4
	v_and_b32_e32 v4, v10, v3
	v_mbcnt_lo_u32_b32 v3, v4, 0
	v_mbcnt_hi_u32_b32 v8, v5, v3
	v_cmp_eq_u32_e64 s[34:35], 0, v8
	v_cmp_ne_u64_e64 s[38:39], 0, v[4:5]
	v_add_lshl_u32 v12, v21, v9, 2
	s_and_b64 s[38:39], s[38:39], s[34:35]
	s_and_saveexec_b64 s[34:35], s[38:39]
	s_cbranch_execz .LBB215_35
; %bb.34:
	v_bcnt_u32_b32 v3, v4, 0
	v_bcnt_u32_b32 v3, v5, v3
	ds_write_b32 v12, v3 offset:32
.LBB215_35:
	s_or_b64 exec, exec, s[34:35]
	v_lshrrev_b32_e32 v3, s52, v25
	v_and_b32_e32 v4, s66, v3
	v_lshl_add_u32 v3, v4, 3, v4
	v_add_lshl_u32 v13, v21, v3, 2
	v_and_b32_e32 v3, 1, v4
	v_add_co_u32_e64 v5, s[34:35], -1, v3
	v_addc_co_u32_e64 v10, s[34:35], 0, -1, s[34:35]
	v_cmp_ne_u32_e64 s[34:35], 0, v3
	v_xor_b32_e32 v3, s35, v10
	v_and_b32_e32 v10, exec_hi, v3
	v_lshlrev_b32_e32 v3, 30, v4
	v_xor_b32_e32 v5, s34, v5
	v_cmp_gt_i64_e64 s[34:35], 0, v[2:3]
	v_not_b32_e32 v3, v3
	v_ashrrev_i32_e32 v3, 31, v3
	v_and_b32_e32 v5, exec_lo, v5
	v_xor_b32_e32 v11, s35, v3
	v_xor_b32_e32 v3, s34, v3
	v_and_b32_e32 v5, v5, v3
	v_lshlrev_b32_e32 v3, 29, v4
	v_cmp_gt_i64_e64 s[34:35], 0, v[2:3]
	v_not_b32_e32 v3, v3
	v_ashrrev_i32_e32 v3, 31, v3
	v_and_b32_e32 v10, v10, v11
	v_xor_b32_e32 v11, s35, v3
	v_xor_b32_e32 v3, s34, v3
	v_and_b32_e32 v5, v5, v3
	v_lshlrev_b32_e32 v3, 28, v4
	v_cmp_gt_i64_e64 s[34:35], 0, v[2:3]
	v_not_b32_e32 v3, v3
	v_ashrrev_i32_e32 v3, 31, v3
	v_and_b32_e32 v10, v10, v11
	;; [unrolled: 8-line block ×5, first 2 shown]
	v_xor_b32_e32 v11, s35, v3
	v_xor_b32_e32 v3, s34, v3
	v_and_b32_e32 v5, v5, v3
	v_lshlrev_b32_e32 v3, 24, v4
	v_cmp_gt_i64_e64 s[34:35], 0, v[2:3]
	v_not_b32_e32 v2, v3
	v_ashrrev_i32_e32 v2, 31, v2
	v_xor_b32_e32 v3, s35, v2
	v_xor_b32_e32 v2, s34, v2
	; wave barrier
	ds_read_b32 v9, v13 offset:32
	v_and_b32_e32 v10, v10, v11
	v_and_b32_e32 v2, v5, v2
	;; [unrolled: 1-line block ×3, first 2 shown]
	v_mbcnt_lo_u32_b32 v4, v2, 0
	v_mbcnt_hi_u32_b32 v10, v3, v4
	v_cmp_eq_u32_e64 s[34:35], 0, v10
	v_cmp_ne_u64_e64 s[38:39], 0, v[2:3]
	s_and_b64 s[38:39], s[38:39], s[34:35]
	; wave barrier
	s_and_saveexec_b64 s[34:35], s[38:39]
	s_cbranch_execz .LBB215_37
; %bb.36:
	v_bcnt_u32_b32 v2, v2, 0
	v_bcnt_u32_b32 v2, v3, v2
	s_waitcnt lgkmcnt(0)
	v_add_u32_e32 v2, v9, v2
	ds_write_b32 v13, v2 offset:32
.LBB215_37:
	s_or_b64 exec, exec, s[34:35]
	v_lshrrev_b32_e32 v2, s52, v23
	v_and_b32_e32 v4, s66, v2
	v_and_b32_e32 v3, 1, v4
	v_add_co_u32_e64 v5, s[34:35], -1, v3
	v_addc_co_u32_e64 v14, s[34:35], 0, -1, s[34:35]
	v_cmp_ne_u32_e64 s[34:35], 0, v3
	v_lshl_add_u32 v2, v4, 3, v4
	v_xor_b32_e32 v3, s35, v14
	v_add_lshl_u32 v16, v21, v2, 2
	v_mov_b32_e32 v2, 0
	v_and_b32_e32 v14, exec_hi, v3
	v_lshlrev_b32_e32 v3, 30, v4
	v_xor_b32_e32 v5, s34, v5
	v_cmp_gt_i64_e64 s[34:35], 0, v[2:3]
	v_not_b32_e32 v3, v3
	v_ashrrev_i32_e32 v3, 31, v3
	v_and_b32_e32 v5, exec_lo, v5
	v_xor_b32_e32 v15, s35, v3
	v_xor_b32_e32 v3, s34, v3
	v_and_b32_e32 v5, v5, v3
	v_lshlrev_b32_e32 v3, 29, v4
	v_cmp_gt_i64_e64 s[34:35], 0, v[2:3]
	v_not_b32_e32 v3, v3
	v_ashrrev_i32_e32 v3, 31, v3
	v_and_b32_e32 v14, v14, v15
	v_xor_b32_e32 v15, s35, v3
	v_xor_b32_e32 v3, s34, v3
	v_and_b32_e32 v5, v5, v3
	v_lshlrev_b32_e32 v3, 28, v4
	v_cmp_gt_i64_e64 s[34:35], 0, v[2:3]
	v_not_b32_e32 v3, v3
	v_ashrrev_i32_e32 v3, 31, v3
	v_and_b32_e32 v14, v14, v15
	;; [unrolled: 8-line block ×5, first 2 shown]
	v_xor_b32_e32 v15, s35, v3
	v_xor_b32_e32 v3, s34, v3
	v_and_b32_e32 v14, v14, v15
	v_and_b32_e32 v15, v5, v3
	v_lshlrev_b32_e32 v3, 24, v4
	v_cmp_gt_i64_e64 s[34:35], 0, v[2:3]
	v_not_b32_e32 v3, v3
	v_ashrrev_i32_e32 v3, 31, v3
	v_xor_b32_e32 v4, s35, v3
	v_xor_b32_e32 v3, s34, v3
	; wave barrier
	ds_read_b32 v11, v16 offset:32
	v_and_b32_e32 v5, v14, v4
	v_and_b32_e32 v4, v15, v3
	v_mbcnt_lo_u32_b32 v3, v4, 0
	v_mbcnt_hi_u32_b32 v14, v5, v3
	v_cmp_eq_u32_e64 s[34:35], 0, v14
	v_cmp_ne_u64_e64 s[38:39], 0, v[4:5]
	s_and_b64 s[38:39], s[38:39], s[34:35]
	; wave barrier
	s_and_saveexec_b64 s[34:35], s[38:39]
	s_cbranch_execz .LBB215_39
; %bb.38:
	v_bcnt_u32_b32 v3, v4, 0
	v_bcnt_u32_b32 v3, v5, v3
	s_waitcnt lgkmcnt(0)
	v_add_u32_e32 v3, v11, v3
	ds_write_b32 v16, v3 offset:32
.LBB215_39:
	s_or_b64 exec, exec, s[34:35]
	v_lshrrev_b32_e32 v3, s52, v27
	v_and_b32_e32 v4, s66, v3
	v_lshl_add_u32 v3, v4, 3, v4
	v_add_lshl_u32 v39, v21, v3, 2
	v_and_b32_e32 v3, 1, v4
	v_add_co_u32_e64 v5, s[34:35], -1, v3
	v_addc_co_u32_e64 v17, s[34:35], 0, -1, s[34:35]
	v_cmp_ne_u32_e64 s[34:35], 0, v3
	v_xor_b32_e32 v3, s35, v17
	v_and_b32_e32 v17, exec_hi, v3
	v_lshlrev_b32_e32 v3, 30, v4
	v_xor_b32_e32 v5, s34, v5
	v_cmp_gt_i64_e64 s[34:35], 0, v[2:3]
	v_not_b32_e32 v3, v3
	v_ashrrev_i32_e32 v3, 31, v3
	v_and_b32_e32 v5, exec_lo, v5
	v_xor_b32_e32 v20, s35, v3
	v_xor_b32_e32 v3, s34, v3
	v_and_b32_e32 v5, v5, v3
	v_lshlrev_b32_e32 v3, 29, v4
	v_cmp_gt_i64_e64 s[34:35], 0, v[2:3]
	v_not_b32_e32 v3, v3
	v_ashrrev_i32_e32 v3, 31, v3
	v_and_b32_e32 v17, v17, v20
	v_xor_b32_e32 v20, s35, v3
	v_xor_b32_e32 v3, s34, v3
	v_and_b32_e32 v5, v5, v3
	v_lshlrev_b32_e32 v3, 28, v4
	v_cmp_gt_i64_e64 s[34:35], 0, v[2:3]
	v_not_b32_e32 v3, v3
	v_ashrrev_i32_e32 v3, 31, v3
	v_and_b32_e32 v17, v17, v20
	;; [unrolled: 8-line block ×5, first 2 shown]
	v_xor_b32_e32 v20, s35, v3
	v_xor_b32_e32 v3, s34, v3
	v_and_b32_e32 v5, v5, v3
	v_lshlrev_b32_e32 v3, 24, v4
	v_cmp_gt_i64_e64 s[34:35], 0, v[2:3]
	v_not_b32_e32 v2, v3
	v_ashrrev_i32_e32 v2, 31, v2
	v_xor_b32_e32 v3, s35, v2
	v_xor_b32_e32 v2, s34, v2
	; wave barrier
	ds_read_b32 v15, v39 offset:32
	v_and_b32_e32 v17, v17, v20
	v_and_b32_e32 v2, v5, v2
	;; [unrolled: 1-line block ×3, first 2 shown]
	v_mbcnt_lo_u32_b32 v4, v2, 0
	v_mbcnt_hi_u32_b32 v17, v3, v4
	v_cmp_eq_u32_e64 s[34:35], 0, v17
	v_cmp_ne_u64_e64 s[38:39], 0, v[2:3]
	s_and_b64 s[38:39], s[38:39], s[34:35]
	; wave barrier
	s_and_saveexec_b64 s[34:35], s[38:39]
	s_cbranch_execz .LBB215_41
; %bb.40:
	v_bcnt_u32_b32 v2, v2, 0
	v_bcnt_u32_b32 v2, v3, v2
	s_waitcnt lgkmcnt(0)
	v_add_u32_e32 v2, v15, v2
	ds_write_b32 v39, v2 offset:32
.LBB215_41:
	s_or_b64 exec, exec, s[34:35]
	v_lshrrev_b32_e32 v2, s52, v26
	v_and_b32_e32 v4, s66, v2
	v_and_b32_e32 v3, 1, v4
	v_add_co_u32_e64 v5, s[34:35], -1, v3
	v_addc_co_u32_e64 v40, s[34:35], 0, -1, s[34:35]
	v_cmp_ne_u32_e64 s[34:35], 0, v3
	v_lshl_add_u32 v2, v4, 3, v4
	v_xor_b32_e32 v3, s35, v40
	v_add_lshl_u32 v42, v21, v2, 2
	v_mov_b32_e32 v2, 0
	v_and_b32_e32 v40, exec_hi, v3
	v_lshlrev_b32_e32 v3, 30, v4
	v_xor_b32_e32 v5, s34, v5
	v_cmp_gt_i64_e64 s[34:35], 0, v[2:3]
	v_not_b32_e32 v3, v3
	v_ashrrev_i32_e32 v3, 31, v3
	v_and_b32_e32 v5, exec_lo, v5
	v_xor_b32_e32 v41, s35, v3
	v_xor_b32_e32 v3, s34, v3
	v_and_b32_e32 v5, v5, v3
	v_lshlrev_b32_e32 v3, 29, v4
	v_cmp_gt_i64_e64 s[34:35], 0, v[2:3]
	v_not_b32_e32 v3, v3
	v_ashrrev_i32_e32 v3, 31, v3
	v_and_b32_e32 v40, v40, v41
	v_xor_b32_e32 v41, s35, v3
	v_xor_b32_e32 v3, s34, v3
	v_and_b32_e32 v5, v5, v3
	v_lshlrev_b32_e32 v3, 28, v4
	v_cmp_gt_i64_e64 s[34:35], 0, v[2:3]
	v_not_b32_e32 v3, v3
	v_ashrrev_i32_e32 v3, 31, v3
	v_and_b32_e32 v40, v40, v41
	v_xor_b32_e32 v41, s35, v3
	v_xor_b32_e32 v3, s34, v3
	v_and_b32_e32 v5, v5, v3
	v_lshlrev_b32_e32 v3, 27, v4
	v_cmp_gt_i64_e64 s[34:35], 0, v[2:3]
	v_not_b32_e32 v3, v3
	v_ashrrev_i32_e32 v3, 31, v3
	v_and_b32_e32 v40, v40, v41
	v_xor_b32_e32 v41, s35, v3
	v_xor_b32_e32 v3, s34, v3
	v_and_b32_e32 v5, v5, v3
	v_lshlrev_b32_e32 v3, 26, v4
	v_cmp_gt_i64_e64 s[34:35], 0, v[2:3]
	v_not_b32_e32 v3, v3
	v_ashrrev_i32_e32 v3, 31, v3
	v_and_b32_e32 v40, v40, v41
	v_xor_b32_e32 v41, s35, v3
	v_xor_b32_e32 v3, s34, v3
	v_and_b32_e32 v5, v5, v3
	v_lshlrev_b32_e32 v3, 25, v4
	v_cmp_gt_i64_e64 s[34:35], 0, v[2:3]
	v_not_b32_e32 v3, v3
	v_ashrrev_i32_e32 v3, 31, v3
	v_and_b32_e32 v40, v40, v41
	v_xor_b32_e32 v41, s35, v3
	v_xor_b32_e32 v3, s34, v3
	v_and_b32_e32 v40, v40, v41
	v_and_b32_e32 v41, v5, v3
	v_lshlrev_b32_e32 v3, 24, v4
	v_cmp_gt_i64_e64 s[34:35], 0, v[2:3]
	v_not_b32_e32 v3, v3
	v_ashrrev_i32_e32 v3, 31, v3
	v_xor_b32_e32 v4, s35, v3
	v_xor_b32_e32 v3, s34, v3
	; wave barrier
	ds_read_b32 v20, v42 offset:32
	v_and_b32_e32 v5, v40, v4
	v_and_b32_e32 v4, v41, v3
	v_mbcnt_lo_u32_b32 v3, v4, 0
	v_mbcnt_hi_u32_b32 v40, v5, v3
	v_cmp_eq_u32_e64 s[34:35], 0, v40
	v_cmp_ne_u64_e64 s[38:39], 0, v[4:5]
	s_and_b64 s[38:39], s[38:39], s[34:35]
	; wave barrier
	s_and_saveexec_b64 s[34:35], s[38:39]
	s_cbranch_execz .LBB215_43
; %bb.42:
	v_bcnt_u32_b32 v3, v4, 0
	v_bcnt_u32_b32 v3, v5, v3
	s_waitcnt lgkmcnt(0)
	v_add_u32_e32 v3, v20, v3
	ds_write_b32 v42, v3 offset:32
.LBB215_43:
	s_or_b64 exec, exec, s[34:35]
	v_lshrrev_b32_e32 v3, s52, v29
	v_and_b32_e32 v4, s66, v3
	v_lshl_add_u32 v3, v4, 3, v4
	v_add_lshl_u32 v45, v21, v3, 2
	v_and_b32_e32 v3, 1, v4
	v_add_co_u32_e64 v5, s[34:35], -1, v3
	v_addc_co_u32_e64 v43, s[34:35], 0, -1, s[34:35]
	v_cmp_ne_u32_e64 s[34:35], 0, v3
	v_xor_b32_e32 v3, s35, v43
	v_and_b32_e32 v43, exec_hi, v3
	v_lshlrev_b32_e32 v3, 30, v4
	v_xor_b32_e32 v5, s34, v5
	v_cmp_gt_i64_e64 s[34:35], 0, v[2:3]
	v_not_b32_e32 v3, v3
	v_ashrrev_i32_e32 v3, 31, v3
	v_and_b32_e32 v5, exec_lo, v5
	v_xor_b32_e32 v44, s35, v3
	v_xor_b32_e32 v3, s34, v3
	v_and_b32_e32 v5, v5, v3
	v_lshlrev_b32_e32 v3, 29, v4
	v_cmp_gt_i64_e64 s[34:35], 0, v[2:3]
	v_not_b32_e32 v3, v3
	v_ashrrev_i32_e32 v3, 31, v3
	v_and_b32_e32 v43, v43, v44
	v_xor_b32_e32 v44, s35, v3
	v_xor_b32_e32 v3, s34, v3
	v_and_b32_e32 v5, v5, v3
	v_lshlrev_b32_e32 v3, 28, v4
	v_cmp_gt_i64_e64 s[34:35], 0, v[2:3]
	v_not_b32_e32 v3, v3
	v_ashrrev_i32_e32 v3, 31, v3
	v_and_b32_e32 v43, v43, v44
	;; [unrolled: 8-line block ×5, first 2 shown]
	v_xor_b32_e32 v44, s35, v3
	v_xor_b32_e32 v3, s34, v3
	v_and_b32_e32 v5, v5, v3
	v_lshlrev_b32_e32 v3, 24, v4
	v_cmp_gt_i64_e64 s[34:35], 0, v[2:3]
	v_not_b32_e32 v2, v3
	v_ashrrev_i32_e32 v2, 31, v2
	v_xor_b32_e32 v3, s35, v2
	v_xor_b32_e32 v2, s34, v2
	; wave barrier
	ds_read_b32 v41, v45 offset:32
	v_and_b32_e32 v43, v43, v44
	v_and_b32_e32 v2, v5, v2
	;; [unrolled: 1-line block ×3, first 2 shown]
	v_mbcnt_lo_u32_b32 v4, v2, 0
	v_mbcnt_hi_u32_b32 v43, v3, v4
	v_cmp_eq_u32_e64 s[34:35], 0, v43
	v_cmp_ne_u64_e64 s[38:39], 0, v[2:3]
	s_and_b64 s[38:39], s[38:39], s[34:35]
	; wave barrier
	s_and_saveexec_b64 s[34:35], s[38:39]
	s_cbranch_execz .LBB215_45
; %bb.44:
	v_bcnt_u32_b32 v2, v2, 0
	v_bcnt_u32_b32 v2, v3, v2
	s_waitcnt lgkmcnt(0)
	v_add_u32_e32 v2, v41, v2
	ds_write_b32 v45, v2 offset:32
.LBB215_45:
	s_or_b64 exec, exec, s[34:35]
	v_lshrrev_b32_e32 v2, s52, v28
	v_and_b32_e32 v4, s66, v2
	v_and_b32_e32 v3, 1, v4
	v_add_co_u32_e64 v5, s[34:35], -1, v3
	v_addc_co_u32_e64 v46, s[34:35], 0, -1, s[34:35]
	v_cmp_ne_u32_e64 s[34:35], 0, v3
	v_lshl_add_u32 v2, v4, 3, v4
	v_xor_b32_e32 v3, s35, v46
	v_add_lshl_u32 v48, v21, v2, 2
	v_mov_b32_e32 v2, 0
	v_and_b32_e32 v46, exec_hi, v3
	v_lshlrev_b32_e32 v3, 30, v4
	v_xor_b32_e32 v5, s34, v5
	v_cmp_gt_i64_e64 s[34:35], 0, v[2:3]
	v_not_b32_e32 v3, v3
	v_ashrrev_i32_e32 v3, 31, v3
	v_and_b32_e32 v5, exec_lo, v5
	v_xor_b32_e32 v47, s35, v3
	v_xor_b32_e32 v3, s34, v3
	v_and_b32_e32 v5, v5, v3
	v_lshlrev_b32_e32 v3, 29, v4
	v_cmp_gt_i64_e64 s[34:35], 0, v[2:3]
	v_not_b32_e32 v3, v3
	v_ashrrev_i32_e32 v3, 31, v3
	v_and_b32_e32 v46, v46, v47
	v_xor_b32_e32 v47, s35, v3
	v_xor_b32_e32 v3, s34, v3
	v_and_b32_e32 v5, v5, v3
	v_lshlrev_b32_e32 v3, 28, v4
	v_cmp_gt_i64_e64 s[34:35], 0, v[2:3]
	v_not_b32_e32 v3, v3
	v_ashrrev_i32_e32 v3, 31, v3
	v_and_b32_e32 v46, v46, v47
	;; [unrolled: 8-line block ×5, first 2 shown]
	v_xor_b32_e32 v47, s35, v3
	v_xor_b32_e32 v3, s34, v3
	v_and_b32_e32 v46, v46, v47
	v_and_b32_e32 v47, v5, v3
	v_lshlrev_b32_e32 v3, 24, v4
	v_cmp_gt_i64_e64 s[34:35], 0, v[2:3]
	v_not_b32_e32 v3, v3
	v_ashrrev_i32_e32 v3, 31, v3
	v_xor_b32_e32 v4, s35, v3
	v_xor_b32_e32 v3, s34, v3
	; wave barrier
	ds_read_b32 v44, v48 offset:32
	v_and_b32_e32 v5, v46, v4
	v_and_b32_e32 v4, v47, v3
	v_mbcnt_lo_u32_b32 v3, v4, 0
	v_mbcnt_hi_u32_b32 v46, v5, v3
	v_cmp_eq_u32_e64 s[34:35], 0, v46
	v_cmp_ne_u64_e64 s[38:39], 0, v[4:5]
	s_and_b64 s[38:39], s[38:39], s[34:35]
	; wave barrier
	s_and_saveexec_b64 s[34:35], s[38:39]
	s_cbranch_execz .LBB215_47
; %bb.46:
	v_bcnt_u32_b32 v3, v4, 0
	v_bcnt_u32_b32 v3, v5, v3
	s_waitcnt lgkmcnt(0)
	v_add_u32_e32 v3, v44, v3
	ds_write_b32 v48, v3 offset:32
.LBB215_47:
	s_or_b64 exec, exec, s[34:35]
	v_lshrrev_b32_e32 v3, s52, v31
	v_and_b32_e32 v4, s66, v3
	v_lshl_add_u32 v3, v4, 3, v4
	v_add_lshl_u32 v51, v21, v3, 2
	v_and_b32_e32 v3, 1, v4
	v_add_co_u32_e64 v5, s[34:35], -1, v3
	v_addc_co_u32_e64 v49, s[34:35], 0, -1, s[34:35]
	v_cmp_ne_u32_e64 s[34:35], 0, v3
	v_xor_b32_e32 v3, s35, v49
	v_and_b32_e32 v49, exec_hi, v3
	v_lshlrev_b32_e32 v3, 30, v4
	v_xor_b32_e32 v5, s34, v5
	v_cmp_gt_i64_e64 s[34:35], 0, v[2:3]
	v_not_b32_e32 v3, v3
	v_ashrrev_i32_e32 v3, 31, v3
	v_and_b32_e32 v5, exec_lo, v5
	v_xor_b32_e32 v50, s35, v3
	v_xor_b32_e32 v3, s34, v3
	v_and_b32_e32 v5, v5, v3
	v_lshlrev_b32_e32 v3, 29, v4
	v_cmp_gt_i64_e64 s[34:35], 0, v[2:3]
	v_not_b32_e32 v3, v3
	v_ashrrev_i32_e32 v3, 31, v3
	v_and_b32_e32 v49, v49, v50
	v_xor_b32_e32 v50, s35, v3
	v_xor_b32_e32 v3, s34, v3
	v_and_b32_e32 v5, v5, v3
	v_lshlrev_b32_e32 v3, 28, v4
	v_cmp_gt_i64_e64 s[34:35], 0, v[2:3]
	v_not_b32_e32 v3, v3
	v_ashrrev_i32_e32 v3, 31, v3
	v_and_b32_e32 v49, v49, v50
	;; [unrolled: 8-line block ×5, first 2 shown]
	v_xor_b32_e32 v50, s35, v3
	v_xor_b32_e32 v3, s34, v3
	v_and_b32_e32 v5, v5, v3
	v_lshlrev_b32_e32 v3, 24, v4
	v_cmp_gt_i64_e64 s[34:35], 0, v[2:3]
	v_not_b32_e32 v2, v3
	v_ashrrev_i32_e32 v2, 31, v2
	v_xor_b32_e32 v3, s35, v2
	v_xor_b32_e32 v2, s34, v2
	; wave barrier
	ds_read_b32 v47, v51 offset:32
	v_and_b32_e32 v49, v49, v50
	v_and_b32_e32 v2, v5, v2
	v_and_b32_e32 v3, v49, v3
	v_mbcnt_lo_u32_b32 v4, v2, 0
	v_mbcnt_hi_u32_b32 v49, v3, v4
	v_cmp_eq_u32_e64 s[34:35], 0, v49
	v_cmp_ne_u64_e64 s[38:39], 0, v[2:3]
	s_and_b64 s[38:39], s[38:39], s[34:35]
	; wave barrier
	s_and_saveexec_b64 s[34:35], s[38:39]
	s_cbranch_execz .LBB215_49
; %bb.48:
	v_bcnt_u32_b32 v2, v2, 0
	v_bcnt_u32_b32 v2, v3, v2
	s_waitcnt lgkmcnt(0)
	v_add_u32_e32 v2, v47, v2
	ds_write_b32 v51, v2 offset:32
.LBB215_49:
	s_or_b64 exec, exec, s[34:35]
	v_lshrrev_b32_e32 v2, s52, v30
	v_and_b32_e32 v4, s66, v2
	v_and_b32_e32 v3, 1, v4
	v_add_co_u32_e64 v5, s[34:35], -1, v3
	v_addc_co_u32_e64 v52, s[34:35], 0, -1, s[34:35]
	v_cmp_ne_u32_e64 s[34:35], 0, v3
	v_lshl_add_u32 v2, v4, 3, v4
	v_xor_b32_e32 v3, s35, v52
	v_add_lshl_u32 v54, v21, v2, 2
	v_mov_b32_e32 v2, 0
	v_and_b32_e32 v52, exec_hi, v3
	v_lshlrev_b32_e32 v3, 30, v4
	v_xor_b32_e32 v5, s34, v5
	v_cmp_gt_i64_e64 s[34:35], 0, v[2:3]
	v_not_b32_e32 v3, v3
	v_ashrrev_i32_e32 v3, 31, v3
	v_and_b32_e32 v5, exec_lo, v5
	v_xor_b32_e32 v53, s35, v3
	v_xor_b32_e32 v3, s34, v3
	v_and_b32_e32 v5, v5, v3
	v_lshlrev_b32_e32 v3, 29, v4
	v_cmp_gt_i64_e64 s[34:35], 0, v[2:3]
	v_not_b32_e32 v3, v3
	v_ashrrev_i32_e32 v3, 31, v3
	v_and_b32_e32 v52, v52, v53
	v_xor_b32_e32 v53, s35, v3
	v_xor_b32_e32 v3, s34, v3
	v_and_b32_e32 v5, v5, v3
	v_lshlrev_b32_e32 v3, 28, v4
	v_cmp_gt_i64_e64 s[34:35], 0, v[2:3]
	v_not_b32_e32 v3, v3
	v_ashrrev_i32_e32 v3, 31, v3
	v_and_b32_e32 v52, v52, v53
	;; [unrolled: 8-line block ×5, first 2 shown]
	v_xor_b32_e32 v53, s35, v3
	v_xor_b32_e32 v3, s34, v3
	v_and_b32_e32 v52, v52, v53
	v_and_b32_e32 v53, v5, v3
	v_lshlrev_b32_e32 v3, 24, v4
	v_cmp_gt_i64_e64 s[34:35], 0, v[2:3]
	v_not_b32_e32 v3, v3
	v_ashrrev_i32_e32 v3, 31, v3
	v_xor_b32_e32 v4, s35, v3
	v_xor_b32_e32 v3, s34, v3
	; wave barrier
	ds_read_b32 v50, v54 offset:32
	v_and_b32_e32 v5, v52, v4
	v_and_b32_e32 v4, v53, v3
	v_mbcnt_lo_u32_b32 v3, v4, 0
	v_mbcnt_hi_u32_b32 v52, v5, v3
	v_cmp_eq_u32_e64 s[34:35], 0, v52
	v_cmp_ne_u64_e64 s[38:39], 0, v[4:5]
	s_and_b64 s[38:39], s[38:39], s[34:35]
	; wave barrier
	s_and_saveexec_b64 s[34:35], s[38:39]
	s_cbranch_execz .LBB215_51
; %bb.50:
	v_bcnt_u32_b32 v3, v4, 0
	v_bcnt_u32_b32 v3, v5, v3
	s_waitcnt lgkmcnt(0)
	v_add_u32_e32 v3, v50, v3
	ds_write_b32 v54, v3 offset:32
.LBB215_51:
	s_or_b64 exec, exec, s[34:35]
	v_lshrrev_b32_e32 v3, s52, v33
	v_and_b32_e32 v4, s66, v3
	v_lshl_add_u32 v3, v4, 3, v4
	v_add_lshl_u32 v57, v21, v3, 2
	v_and_b32_e32 v3, 1, v4
	v_add_co_u32_e64 v5, s[34:35], -1, v3
	v_addc_co_u32_e64 v55, s[34:35], 0, -1, s[34:35]
	v_cmp_ne_u32_e64 s[34:35], 0, v3
	v_xor_b32_e32 v3, s35, v55
	v_and_b32_e32 v55, exec_hi, v3
	v_lshlrev_b32_e32 v3, 30, v4
	v_xor_b32_e32 v5, s34, v5
	v_cmp_gt_i64_e64 s[34:35], 0, v[2:3]
	v_not_b32_e32 v3, v3
	v_ashrrev_i32_e32 v3, 31, v3
	v_and_b32_e32 v5, exec_lo, v5
	v_xor_b32_e32 v56, s35, v3
	v_xor_b32_e32 v3, s34, v3
	v_and_b32_e32 v5, v5, v3
	v_lshlrev_b32_e32 v3, 29, v4
	v_cmp_gt_i64_e64 s[34:35], 0, v[2:3]
	v_not_b32_e32 v3, v3
	v_ashrrev_i32_e32 v3, 31, v3
	v_and_b32_e32 v55, v55, v56
	v_xor_b32_e32 v56, s35, v3
	v_xor_b32_e32 v3, s34, v3
	v_and_b32_e32 v5, v5, v3
	v_lshlrev_b32_e32 v3, 28, v4
	v_cmp_gt_i64_e64 s[34:35], 0, v[2:3]
	v_not_b32_e32 v3, v3
	v_ashrrev_i32_e32 v3, 31, v3
	v_and_b32_e32 v55, v55, v56
	;; [unrolled: 8-line block ×5, first 2 shown]
	v_xor_b32_e32 v56, s35, v3
	v_xor_b32_e32 v3, s34, v3
	v_and_b32_e32 v5, v5, v3
	v_lshlrev_b32_e32 v3, 24, v4
	v_cmp_gt_i64_e64 s[34:35], 0, v[2:3]
	v_not_b32_e32 v2, v3
	v_ashrrev_i32_e32 v2, 31, v2
	v_xor_b32_e32 v3, s35, v2
	v_xor_b32_e32 v2, s34, v2
	; wave barrier
	ds_read_b32 v53, v57 offset:32
	v_and_b32_e32 v55, v55, v56
	v_and_b32_e32 v2, v5, v2
	;; [unrolled: 1-line block ×3, first 2 shown]
	v_mbcnt_lo_u32_b32 v4, v2, 0
	v_mbcnt_hi_u32_b32 v55, v3, v4
	v_cmp_eq_u32_e64 s[34:35], 0, v55
	v_cmp_ne_u64_e64 s[38:39], 0, v[2:3]
	s_and_b64 s[38:39], s[38:39], s[34:35]
	; wave barrier
	s_and_saveexec_b64 s[34:35], s[38:39]
	s_cbranch_execz .LBB215_53
; %bb.52:
	v_bcnt_u32_b32 v2, v2, 0
	v_bcnt_u32_b32 v2, v3, v2
	s_waitcnt lgkmcnt(0)
	v_add_u32_e32 v2, v53, v2
	ds_write_b32 v57, v2 offset:32
.LBB215_53:
	s_or_b64 exec, exec, s[34:35]
	v_lshrrev_b32_e32 v2, s52, v32
	v_and_b32_e32 v4, s66, v2
	v_and_b32_e32 v3, 1, v4
	v_add_co_u32_e64 v5, s[34:35], -1, v3
	v_addc_co_u32_e64 v58, s[34:35], 0, -1, s[34:35]
	v_cmp_ne_u32_e64 s[34:35], 0, v3
	v_lshl_add_u32 v2, v4, 3, v4
	v_xor_b32_e32 v3, s35, v58
	v_add_lshl_u32 v60, v21, v2, 2
	v_mov_b32_e32 v2, 0
	v_and_b32_e32 v58, exec_hi, v3
	v_lshlrev_b32_e32 v3, 30, v4
	v_xor_b32_e32 v5, s34, v5
	v_cmp_gt_i64_e64 s[34:35], 0, v[2:3]
	v_not_b32_e32 v3, v3
	v_ashrrev_i32_e32 v3, 31, v3
	v_and_b32_e32 v5, exec_lo, v5
	v_xor_b32_e32 v59, s35, v3
	v_xor_b32_e32 v3, s34, v3
	v_and_b32_e32 v5, v5, v3
	v_lshlrev_b32_e32 v3, 29, v4
	v_cmp_gt_i64_e64 s[34:35], 0, v[2:3]
	v_not_b32_e32 v3, v3
	v_ashrrev_i32_e32 v3, 31, v3
	v_and_b32_e32 v58, v58, v59
	v_xor_b32_e32 v59, s35, v3
	v_xor_b32_e32 v3, s34, v3
	v_and_b32_e32 v5, v5, v3
	v_lshlrev_b32_e32 v3, 28, v4
	v_cmp_gt_i64_e64 s[34:35], 0, v[2:3]
	v_not_b32_e32 v3, v3
	v_ashrrev_i32_e32 v3, 31, v3
	v_and_b32_e32 v58, v58, v59
	;; [unrolled: 8-line block ×5, first 2 shown]
	v_xor_b32_e32 v59, s35, v3
	v_xor_b32_e32 v3, s34, v3
	v_and_b32_e32 v58, v58, v59
	v_and_b32_e32 v59, v5, v3
	v_lshlrev_b32_e32 v3, 24, v4
	v_cmp_gt_i64_e64 s[34:35], 0, v[2:3]
	v_not_b32_e32 v3, v3
	v_ashrrev_i32_e32 v3, 31, v3
	v_xor_b32_e32 v4, s35, v3
	v_xor_b32_e32 v3, s34, v3
	; wave barrier
	ds_read_b32 v56, v60 offset:32
	v_and_b32_e32 v5, v58, v4
	v_and_b32_e32 v4, v59, v3
	v_mbcnt_lo_u32_b32 v3, v4, 0
	v_mbcnt_hi_u32_b32 v58, v5, v3
	v_cmp_eq_u32_e64 s[34:35], 0, v58
	v_cmp_ne_u64_e64 s[38:39], 0, v[4:5]
	s_and_b64 s[38:39], s[38:39], s[34:35]
	; wave barrier
	s_and_saveexec_b64 s[34:35], s[38:39]
	s_cbranch_execz .LBB215_55
; %bb.54:
	v_bcnt_u32_b32 v3, v4, 0
	v_bcnt_u32_b32 v3, v5, v3
	s_waitcnt lgkmcnt(0)
	v_add_u32_e32 v3, v56, v3
	ds_write_b32 v60, v3 offset:32
.LBB215_55:
	s_or_b64 exec, exec, s[34:35]
	v_lshrrev_b32_e32 v3, s52, v35
	v_and_b32_e32 v4, s66, v3
	v_lshl_add_u32 v3, v4, 3, v4
	v_add_lshl_u32 v61, v21, v3, 2
	v_and_b32_e32 v3, 1, v4
	v_add_co_u32_e64 v5, s[34:35], -1, v3
	v_addc_co_u32_e64 v62, s[34:35], 0, -1, s[34:35]
	v_cmp_ne_u32_e64 s[34:35], 0, v3
	v_xor_b32_e32 v3, s35, v62
	v_and_b32_e32 v62, exec_hi, v3
	v_lshlrev_b32_e32 v3, 30, v4
	v_xor_b32_e32 v5, s34, v5
	v_cmp_gt_i64_e64 s[34:35], 0, v[2:3]
	v_not_b32_e32 v3, v3
	v_ashrrev_i32_e32 v3, 31, v3
	v_and_b32_e32 v5, exec_lo, v5
	v_xor_b32_e32 v63, s35, v3
	v_xor_b32_e32 v3, s34, v3
	v_and_b32_e32 v5, v5, v3
	v_lshlrev_b32_e32 v3, 29, v4
	v_cmp_gt_i64_e64 s[34:35], 0, v[2:3]
	v_not_b32_e32 v3, v3
	v_ashrrev_i32_e32 v3, 31, v3
	v_and_b32_e32 v62, v62, v63
	v_xor_b32_e32 v63, s35, v3
	v_xor_b32_e32 v3, s34, v3
	v_and_b32_e32 v5, v5, v3
	v_lshlrev_b32_e32 v3, 28, v4
	v_cmp_gt_i64_e64 s[34:35], 0, v[2:3]
	v_not_b32_e32 v3, v3
	v_ashrrev_i32_e32 v3, 31, v3
	v_and_b32_e32 v62, v62, v63
	;; [unrolled: 8-line block ×5, first 2 shown]
	v_xor_b32_e32 v63, s35, v3
	v_xor_b32_e32 v3, s34, v3
	v_and_b32_e32 v5, v5, v3
	v_lshlrev_b32_e32 v3, 24, v4
	v_cmp_gt_i64_e64 s[34:35], 0, v[2:3]
	v_not_b32_e32 v2, v3
	v_ashrrev_i32_e32 v2, 31, v2
	v_xor_b32_e32 v3, s35, v2
	v_xor_b32_e32 v2, s34, v2
	; wave barrier
	ds_read_b32 v59, v61 offset:32
	v_and_b32_e32 v62, v62, v63
	v_and_b32_e32 v2, v5, v2
	;; [unrolled: 1-line block ×3, first 2 shown]
	v_mbcnt_lo_u32_b32 v4, v2, 0
	v_mbcnt_hi_u32_b32 v65, v3, v4
	v_cmp_eq_u32_e64 s[34:35], 0, v65
	v_cmp_ne_u64_e64 s[38:39], 0, v[2:3]
	s_and_b64 s[38:39], s[38:39], s[34:35]
	; wave barrier
	s_and_saveexec_b64 s[34:35], s[38:39]
	s_cbranch_execz .LBB215_57
; %bb.56:
	v_bcnt_u32_b32 v2, v2, 0
	v_bcnt_u32_b32 v2, v3, v2
	s_waitcnt lgkmcnt(0)
	v_add_u32_e32 v2, v59, v2
	ds_write_b32 v61, v2 offset:32
.LBB215_57:
	s_or_b64 exec, exec, s[34:35]
	v_lshrrev_b32_e32 v2, s52, v34
	v_and_b32_e32 v4, s66, v2
	v_and_b32_e32 v3, 1, v4
	v_add_co_u32_e64 v5, s[34:35], -1, v3
	v_addc_co_u32_e64 v63, s[34:35], 0, -1, s[34:35]
	v_cmp_ne_u32_e64 s[34:35], 0, v3
	v_lshl_add_u32 v2, v4, 3, v4
	v_xor_b32_e32 v3, s35, v63
	v_add_lshl_u32 v62, v21, v2, 2
	v_mov_b32_e32 v2, 0
	v_and_b32_e32 v63, exec_hi, v3
	v_lshlrev_b32_e32 v3, 30, v4
	v_xor_b32_e32 v5, s34, v5
	v_cmp_gt_i64_e64 s[34:35], 0, v[2:3]
	v_not_b32_e32 v3, v3
	v_ashrrev_i32_e32 v3, 31, v3
	v_and_b32_e32 v5, exec_lo, v5
	v_xor_b32_e32 v66, s35, v3
	v_xor_b32_e32 v3, s34, v3
	v_and_b32_e32 v5, v5, v3
	v_lshlrev_b32_e32 v3, 29, v4
	v_cmp_gt_i64_e64 s[34:35], 0, v[2:3]
	v_not_b32_e32 v3, v3
	v_ashrrev_i32_e32 v3, 31, v3
	v_and_b32_e32 v63, v63, v66
	v_xor_b32_e32 v66, s35, v3
	v_xor_b32_e32 v3, s34, v3
	v_and_b32_e32 v5, v5, v3
	v_lshlrev_b32_e32 v3, 28, v4
	v_cmp_gt_i64_e64 s[34:35], 0, v[2:3]
	v_not_b32_e32 v3, v3
	v_ashrrev_i32_e32 v3, 31, v3
	v_and_b32_e32 v63, v63, v66
	;; [unrolled: 8-line block ×5, first 2 shown]
	v_xor_b32_e32 v66, s35, v3
	v_xor_b32_e32 v3, s34, v3
	v_and_b32_e32 v63, v63, v66
	v_and_b32_e32 v66, v5, v3
	v_lshlrev_b32_e32 v3, 24, v4
	v_cmp_gt_i64_e64 s[34:35], 0, v[2:3]
	v_not_b32_e32 v3, v3
	v_ashrrev_i32_e32 v3, 31, v3
	v_xor_b32_e32 v4, s35, v3
	v_xor_b32_e32 v3, s34, v3
	; wave barrier
	ds_read_b32 v64, v62 offset:32
	v_and_b32_e32 v5, v63, v4
	v_and_b32_e32 v4, v66, v3
	v_mbcnt_lo_u32_b32 v3, v4, 0
	v_mbcnt_hi_u32_b32 v66, v5, v3
	v_cmp_eq_u32_e64 s[34:35], 0, v66
	v_cmp_ne_u64_e64 s[38:39], 0, v[4:5]
	s_and_b64 s[38:39], s[38:39], s[34:35]
	; wave barrier
	s_and_saveexec_b64 s[34:35], s[38:39]
	s_cbranch_execz .LBB215_59
; %bb.58:
	v_bcnt_u32_b32 v3, v4, 0
	v_bcnt_u32_b32 v3, v5, v3
	s_waitcnt lgkmcnt(0)
	v_add_u32_e32 v3, v64, v3
	ds_write_b32 v62, v3 offset:32
.LBB215_59:
	s_or_b64 exec, exec, s[34:35]
	v_lshrrev_b32_e32 v3, s52, v37
	v_and_b32_e32 v4, s66, v3
	v_lshl_add_u32 v3, v4, 3, v4
	v_add_lshl_u32 v69, v21, v3, 2
	v_and_b32_e32 v3, 1, v4
	v_add_co_u32_e64 v5, s[34:35], -1, v3
	v_addc_co_u32_e64 v67, s[34:35], 0, -1, s[34:35]
	v_cmp_ne_u32_e64 s[34:35], 0, v3
	v_xor_b32_e32 v3, s35, v67
	v_and_b32_e32 v67, exec_hi, v3
	v_lshlrev_b32_e32 v3, 30, v4
	v_xor_b32_e32 v5, s34, v5
	v_cmp_gt_i64_e64 s[34:35], 0, v[2:3]
	v_not_b32_e32 v3, v3
	v_ashrrev_i32_e32 v3, 31, v3
	v_and_b32_e32 v5, exec_lo, v5
	v_xor_b32_e32 v68, s35, v3
	v_xor_b32_e32 v3, s34, v3
	v_and_b32_e32 v5, v5, v3
	v_lshlrev_b32_e32 v3, 29, v4
	v_cmp_gt_i64_e64 s[34:35], 0, v[2:3]
	v_not_b32_e32 v3, v3
	v_ashrrev_i32_e32 v3, 31, v3
	v_and_b32_e32 v67, v67, v68
	v_xor_b32_e32 v68, s35, v3
	v_xor_b32_e32 v3, s34, v3
	v_and_b32_e32 v5, v5, v3
	v_lshlrev_b32_e32 v3, 28, v4
	v_cmp_gt_i64_e64 s[34:35], 0, v[2:3]
	v_not_b32_e32 v3, v3
	v_ashrrev_i32_e32 v3, 31, v3
	v_and_b32_e32 v67, v67, v68
	;; [unrolled: 8-line block ×5, first 2 shown]
	v_xor_b32_e32 v68, s35, v3
	v_xor_b32_e32 v3, s34, v3
	v_and_b32_e32 v5, v5, v3
	v_lshlrev_b32_e32 v3, 24, v4
	v_cmp_gt_i64_e64 s[34:35], 0, v[2:3]
	v_not_b32_e32 v2, v3
	v_ashrrev_i32_e32 v2, 31, v2
	v_xor_b32_e32 v3, s35, v2
	v_xor_b32_e32 v2, s34, v2
	; wave barrier
	ds_read_b32 v63, v69 offset:32
	v_and_b32_e32 v67, v67, v68
	v_and_b32_e32 v2, v5, v2
	;; [unrolled: 1-line block ×3, first 2 shown]
	v_mbcnt_lo_u32_b32 v4, v2, 0
	v_mbcnt_hi_u32_b32 v67, v3, v4
	v_cmp_eq_u32_e64 s[34:35], 0, v67
	v_cmp_ne_u64_e64 s[38:39], 0, v[2:3]
	s_and_b64 s[38:39], s[38:39], s[34:35]
	; wave barrier
	s_and_saveexec_b64 s[34:35], s[38:39]
	s_cbranch_execz .LBB215_61
; %bb.60:
	v_bcnt_u32_b32 v2, v2, 0
	v_bcnt_u32_b32 v2, v3, v2
	s_waitcnt lgkmcnt(0)
	v_add_u32_e32 v2, v63, v2
	ds_write_b32 v69, v2 offset:32
.LBB215_61:
	s_or_b64 exec, exec, s[34:35]
	v_lshrrev_b32_e32 v2, s52, v36
	v_and_b32_e32 v4, s66, v2
	v_and_b32_e32 v3, 1, v4
	v_add_co_u32_e64 v5, s[34:35], -1, v3
	v_addc_co_u32_e64 v70, s[34:35], 0, -1, s[34:35]
	v_cmp_ne_u32_e64 s[34:35], 0, v3
	v_lshl_add_u32 v2, v4, 3, v4
	v_xor_b32_e32 v3, s35, v70
	v_add_lshl_u32 v71, v21, v2, 2
	v_mov_b32_e32 v2, 0
	v_and_b32_e32 v70, exec_hi, v3
	v_lshlrev_b32_e32 v3, 30, v4
	v_xor_b32_e32 v5, s34, v5
	v_cmp_gt_i64_e64 s[34:35], 0, v[2:3]
	v_not_b32_e32 v3, v3
	v_ashrrev_i32_e32 v3, 31, v3
	v_and_b32_e32 v5, exec_lo, v5
	v_xor_b32_e32 v72, s35, v3
	v_xor_b32_e32 v3, s34, v3
	v_and_b32_e32 v5, v5, v3
	v_lshlrev_b32_e32 v3, 29, v4
	v_cmp_gt_i64_e64 s[34:35], 0, v[2:3]
	v_not_b32_e32 v3, v3
	v_ashrrev_i32_e32 v3, 31, v3
	v_and_b32_e32 v70, v70, v72
	v_xor_b32_e32 v72, s35, v3
	v_xor_b32_e32 v3, s34, v3
	v_and_b32_e32 v5, v5, v3
	v_lshlrev_b32_e32 v3, 28, v4
	v_cmp_gt_i64_e64 s[34:35], 0, v[2:3]
	v_not_b32_e32 v3, v3
	v_ashrrev_i32_e32 v3, 31, v3
	v_and_b32_e32 v70, v70, v72
	;; [unrolled: 8-line block ×5, first 2 shown]
	v_xor_b32_e32 v72, s35, v3
	v_xor_b32_e32 v3, s34, v3
	v_and_b32_e32 v70, v70, v72
	v_and_b32_e32 v72, v5, v3
	v_lshlrev_b32_e32 v3, 24, v4
	v_cmp_gt_i64_e64 s[34:35], 0, v[2:3]
	v_not_b32_e32 v3, v3
	v_ashrrev_i32_e32 v3, 31, v3
	v_xor_b32_e32 v4, s35, v3
	v_xor_b32_e32 v3, s34, v3
	; wave barrier
	ds_read_b32 v68, v71 offset:32
	v_and_b32_e32 v5, v70, v4
	v_and_b32_e32 v4, v72, v3
	v_mbcnt_lo_u32_b32 v3, v4, 0
	v_mbcnt_hi_u32_b32 v70, v5, v3
	v_cmp_eq_u32_e64 s[34:35], 0, v70
	v_cmp_ne_u64_e64 s[38:39], 0, v[4:5]
	s_and_b64 s[38:39], s[38:39], s[34:35]
	; wave barrier
	s_and_saveexec_b64 s[34:35], s[38:39]
	s_cbranch_execz .LBB215_63
; %bb.62:
	v_bcnt_u32_b32 v3, v4, 0
	v_bcnt_u32_b32 v3, v5, v3
	s_waitcnt lgkmcnt(0)
	v_add_u32_e32 v3, v68, v3
	ds_write_b32 v71, v3 offset:32
.LBB215_63:
	s_or_b64 exec, exec, s[34:35]
	v_lshrrev_b32_e32 v3, s52, v38
	v_and_b32_e32 v4, s66, v3
	v_lshl_add_u32 v3, v4, 3, v4
	v_add_lshl_u32 v74, v21, v3, 2
	v_and_b32_e32 v3, 1, v4
	v_add_co_u32_e64 v5, s[34:35], -1, v3
	v_addc_co_u32_e64 v72, s[34:35], 0, -1, s[34:35]
	v_cmp_ne_u32_e64 s[34:35], 0, v3
	v_xor_b32_e32 v3, s35, v72
	v_and_b32_e32 v72, exec_hi, v3
	v_lshlrev_b32_e32 v3, 30, v4
	v_xor_b32_e32 v5, s34, v5
	v_cmp_gt_i64_e64 s[34:35], 0, v[2:3]
	v_not_b32_e32 v3, v3
	v_ashrrev_i32_e32 v3, 31, v3
	v_and_b32_e32 v5, exec_lo, v5
	v_xor_b32_e32 v73, s35, v3
	v_xor_b32_e32 v3, s34, v3
	v_and_b32_e32 v5, v5, v3
	v_lshlrev_b32_e32 v3, 29, v4
	v_cmp_gt_i64_e64 s[34:35], 0, v[2:3]
	v_not_b32_e32 v3, v3
	v_ashrrev_i32_e32 v3, 31, v3
	v_and_b32_e32 v72, v72, v73
	v_xor_b32_e32 v73, s35, v3
	v_xor_b32_e32 v3, s34, v3
	v_and_b32_e32 v5, v5, v3
	v_lshlrev_b32_e32 v3, 28, v4
	v_cmp_gt_i64_e64 s[34:35], 0, v[2:3]
	v_not_b32_e32 v3, v3
	v_ashrrev_i32_e32 v3, 31, v3
	v_and_b32_e32 v72, v72, v73
	;; [unrolled: 8-line block ×5, first 2 shown]
	v_xor_b32_e32 v73, s35, v3
	v_xor_b32_e32 v3, s34, v3
	v_and_b32_e32 v5, v5, v3
	v_lshlrev_b32_e32 v3, 24, v4
	v_cmp_gt_i64_e64 s[34:35], 0, v[2:3]
	v_not_b32_e32 v2, v3
	v_ashrrev_i32_e32 v2, 31, v2
	v_xor_b32_e32 v3, s35, v2
	v_xor_b32_e32 v2, s34, v2
	; wave barrier
	ds_read_b32 v21, v74 offset:32
	v_and_b32_e32 v72, v72, v73
	v_and_b32_e32 v2, v5, v2
	;; [unrolled: 1-line block ×3, first 2 shown]
	v_mbcnt_lo_u32_b32 v4, v2, 0
	v_mbcnt_hi_u32_b32 v73, v3, v4
	v_cmp_eq_u32_e64 s[34:35], 0, v73
	v_cmp_ne_u64_e64 s[38:39], 0, v[2:3]
	v_add_u32_e32 v75, 32, v7
	s_and_b64 s[38:39], s[38:39], s[34:35]
	; wave barrier
	s_and_saveexec_b64 s[34:35], s[38:39]
	s_cbranch_execz .LBB215_65
; %bb.64:
	v_bcnt_u32_b32 v2, v2, 0
	v_bcnt_u32_b32 v2, v3, v2
	s_waitcnt lgkmcnt(0)
	v_add_u32_e32 v2, v21, v2
	ds_write_b32 v74, v2 offset:32
.LBB215_65:
	s_or_b64 exec, exec, s[34:35]
	; wave barrier
	s_waitcnt lgkmcnt(0)
	s_barrier
	ds_read2_b32 v[4:5], v7 offset0:8 offset1:9
	ds_read2_b32 v[2:3], v75 offset0:2 offset1:3
	ds_read_b32 v72, v75 offset:16
	s_waitcnt lgkmcnt(1)
	v_add3_u32 v76, v5, v4, v2
	s_waitcnt lgkmcnt(0)
	v_add3_u32 v72, v76, v3, v72
	v_and_b32_e32 v76, 15, v6
	v_cmp_ne_u32_e64 s[34:35], 0, v76
	v_mov_b32_dpp v77, v72 row_shr:1 row_mask:0xf bank_mask:0xf
	v_cndmask_b32_e64 v77, 0, v77, s[34:35]
	v_add_u32_e32 v72, v77, v72
	v_cmp_lt_u32_e64 s[34:35], 1, v76
	s_nop 0
	v_mov_b32_dpp v77, v72 row_shr:2 row_mask:0xf bank_mask:0xf
	v_cndmask_b32_e64 v77, 0, v77, s[34:35]
	v_add_u32_e32 v72, v72, v77
	v_cmp_lt_u32_e64 s[34:35], 3, v76
	s_nop 0
	;; [unrolled: 5-line block ×3, first 2 shown]
	v_mov_b32_dpp v77, v72 row_shr:8 row_mask:0xf bank_mask:0xf
	v_cndmask_b32_e64 v76, 0, v77, s[34:35]
	v_add_u32_e32 v72, v72, v76
	v_bfe_i32 v77, v6, 4, 1
	v_cmp_lt_u32_e64 s[34:35], 31, v6
	v_mov_b32_dpp v76, v72 row_bcast:15 row_mask:0xf bank_mask:0xf
	v_and_b32_e32 v76, v77, v76
	v_add_u32_e32 v72, v72, v76
	v_lshrrev_b32_e32 v77, 6, v18
	s_nop 0
	v_mov_b32_dpp v76, v72 row_bcast:31 row_mask:0xf bank_mask:0xf
	v_cndmask_b32_e64 v76, 0, v76, s[34:35]
	v_add_u32_e32 v76, v72, v76
	v_and_b32_e32 v72, 0x3c0, v18
	v_min_u32_e32 v72, 0x1c0, v72
	v_or_b32_e32 v72, 63, v72
	v_cmp_eq_u32_e64 s[34:35], v72, v18
	s_and_saveexec_b64 s[38:39], s[34:35]
	s_cbranch_execz .LBB215_67
; %bb.66:
	v_lshlrev_b32_e32 v72, 2, v77
	ds_write_b32 v72, v76
.LBB215_67:
	s_or_b64 exec, exec, s[38:39]
	v_cmp_gt_u32_e64 s[34:35], 8, v18
	v_lshlrev_b32_e32 v72, 2, v18
	s_waitcnt lgkmcnt(0)
	s_barrier
	s_and_saveexec_b64 s[58:59], s[34:35]
	s_cbranch_execz .LBB215_69
; %bb.68:
	ds_read_b32 v78, v72
	v_and_b32_e32 v79, 7, v6
	v_cmp_ne_u32_e64 s[34:35], 0, v79
	v_cmp_lt_u32_e64 s[38:39], 1, v79
	s_waitcnt lgkmcnt(0)
	v_mov_b32_dpp v80, v78 row_shr:1 row_mask:0xf bank_mask:0xf
	v_cndmask_b32_e64 v80, 0, v80, s[34:35]
	v_add_u32_e32 v78, v80, v78
	v_cmp_lt_u32_e64 s[34:35], 3, v79
	s_nop 0
	v_mov_b32_dpp v80, v78 row_shr:2 row_mask:0xf bank_mask:0xf
	v_cndmask_b32_e64 v80, 0, v80, s[38:39]
	v_add_u32_e32 v78, v78, v80
	s_nop 1
	v_mov_b32_dpp v80, v78 row_shr:4 row_mask:0xf bank_mask:0xf
	v_cndmask_b32_e64 v79, 0, v80, s[34:35]
	v_add_u32_e32 v78, v78, v79
	ds_write_b32 v72, v78
.LBB215_69:
	s_or_b64 exec, exec, s[58:59]
	v_cmp_lt_u32_e64 s[34:35], 63, v18
	v_mov_b32_e32 v78, 0
	s_waitcnt lgkmcnt(0)
	s_barrier
	s_and_saveexec_b64 s[38:39], s[34:35]
	s_cbranch_execz .LBB215_71
; %bb.70:
	v_lshl_add_u32 v77, v77, 2, -4
	ds_read_b32 v78, v77
.LBB215_71:
	s_or_b64 exec, exec, s[38:39]
	v_add_u32_e32 v77, -1, v6
	v_and_b32_e32 v79, 64, v6
	v_cmp_lt_i32_e64 s[34:35], v77, v79
	v_cndmask_b32_e64 v77, v77, v6, s[34:35]
	s_waitcnt lgkmcnt(0)
	v_add_u32_e32 v76, v78, v76
	v_lshlrev_b32_e32 v77, 2, v77
	ds_bpermute_b32 v76, v77, v76
	v_cmp_eq_u32_e64 s[34:35], 0, v6
	s_waitcnt lgkmcnt(0)
	v_cndmask_b32_e64 v6, v76, v78, s[34:35]
	v_cmp_ne_u32_e64 s[34:35], 0, v18
	v_cndmask_b32_e64 v6, 0, v6, s[34:35]
	v_add_u32_e32 v4, v6, v4
	v_add_u32_e32 v5, v4, v5
	;; [unrolled: 1-line block ×4, first 2 shown]
	ds_write2_b32 v7, v6, v4 offset0:8 offset1:9
	ds_write2_b32 v75, v5, v2 offset0:2 offset1:3
	ds_write_b32 v75, v3 offset:16
	s_waitcnt lgkmcnt(0)
	s_barrier
	ds_read_b32 v76, v12 offset:32
	ds_read_b32 v12, v13 offset:32
	;; [unrolled: 1-line block ×16, first 2 shown]
	s_movk_i32 s34, 0x100
	v_cmp_gt_u32_e64 s[34:35], s34, v18
                                        ; implicit-def: $vgpr54
                                        ; implicit-def: $vgpr57
	s_and_saveexec_b64 s[58:59], s[34:35]
	s_cbranch_execz .LBB215_75
; %bb.72:
	v_mul_u32_u24_e32 v2, 9, v18
	v_lshlrev_b32_e32 v3, 2, v2
	ds_read_b32 v54, v3 offset:32
	s_movk_i32 s38, 0xff
	v_cmp_ne_u32_e64 s[38:39], s38, v18
	v_mov_b32_e32 v2, 0x2000
	s_and_saveexec_b64 s[60:61], s[38:39]
	s_cbranch_execz .LBB215_74
; %bb.73:
	ds_read_b32 v2, v3 offset:68
.LBB215_74:
	s_or_b64 exec, exec, s[60:61]
	s_waitcnt lgkmcnt(0)
	v_sub_u32_e32 v57, v2, v54
.LBB215_75:
	s_or_b64 exec, exec, s[58:59]
	s_waitcnt lgkmcnt(0)
	s_barrier
	s_and_saveexec_b64 s[58:59], s[34:35]
	s_cbranch_execz .LBB215_85
; %bb.76:
	v_lshl_or_b32 v2, s6, 8, v18
	v_mov_b32_e32 v3, 0
	v_lshlrev_b64 v[4:5], 2, v[2:3]
	v_mov_b32_e32 v39, s57
	v_add_co_u32_e64 v4, s[38:39], s56, v4
	v_addc_co_u32_e64 v5, s[38:39], v39, v5, s[38:39]
	v_or_b32_e32 v2, 2.0, v57
	s_mov_b64 s[60:61], 0
	s_brev_b32 s67, 1
	s_mov_b32 s68, s6
	v_mov_b32_e32 v60, 0
	global_store_dword v[4:5], v2, off
                                        ; implicit-def: $sgpr38_sgpr39
	s_branch .LBB215_78
.LBB215_77:                             ;   in Loop: Header=BB215_78 Depth=1
	s_or_b64 exec, exec, s[62:63]
	v_and_b32_e32 v6, 0x3fffffff, v71
	v_add_u32_e32 v60, v6, v60
	v_cmp_eq_u32_e64 s[38:39], s67, v2
	s_and_b64 s[62:63], exec, s[38:39]
	s_or_b64 s[60:61], s[62:63], s[60:61]
	s_andn2_b64 exec, exec, s[60:61]
	s_cbranch_execz .LBB215_84
.LBB215_78:                             ; =>This Loop Header: Depth=1
                                        ;     Child Loop BB215_81 Depth 2
	s_or_b64 s[38:39], s[38:39], exec
	s_cmp_eq_u32 s68, 0
	s_cbranch_scc1 .LBB215_83
; %bb.79:                               ;   in Loop: Header=BB215_78 Depth=1
	s_add_i32 s68, s68, -1
	v_lshl_or_b32 v2, s68, 8, v18
	v_lshlrev_b64 v[6:7], 2, v[2:3]
	v_add_co_u32_e64 v6, s[38:39], s56, v6
	v_addc_co_u32_e64 v7, s[38:39], v39, v7, s[38:39]
	global_load_dword v71, v[6:7], off glc
	s_waitcnt vmcnt(0)
	v_and_b32_e32 v2, -2.0, v71
	v_cmp_eq_u32_e64 s[38:39], 0, v2
	s_and_saveexec_b64 s[62:63], s[38:39]
	s_cbranch_execz .LBB215_77
; %bb.80:                               ;   in Loop: Header=BB215_78 Depth=1
	s_mov_b64 s[64:65], 0
.LBB215_81:                             ;   Parent Loop BB215_78 Depth=1
                                        ; =>  This Inner Loop Header: Depth=2
	global_load_dword v71, v[6:7], off glc
	s_waitcnt vmcnt(0)
	v_and_b32_e32 v2, -2.0, v71
	v_cmp_ne_u32_e64 s[38:39], 0, v2
	s_or_b64 s[64:65], s[38:39], s[64:65]
	s_andn2_b64 exec, exec, s[64:65]
	s_cbranch_execnz .LBB215_81
; %bb.82:                               ;   in Loop: Header=BB215_78 Depth=1
	s_or_b64 exec, exec, s[64:65]
	s_branch .LBB215_77
.LBB215_83:                             ;   in Loop: Header=BB215_78 Depth=1
                                        ; implicit-def: $sgpr68
	s_and_b64 s[62:63], exec, s[38:39]
	s_or_b64 s[60:61], s[62:63], s[60:61]
	s_andn2_b64 exec, exec, s[60:61]
	s_cbranch_execnz .LBB215_78
.LBB215_84:
	s_or_b64 exec, exec, s[60:61]
	v_add_u32_e32 v2, v60, v57
	v_or_b32_e32 v2, 0x80000000, v2
	global_store_dword v[4:5], v2, off
	global_load_dword v2, v72, s[48:49]
	v_sub_u32_e32 v3, v60, v54
	s_waitcnt vmcnt(0)
	v_add_u32_e32 v2, v3, v2
	ds_write_b32 v72, v2
.LBB215_85:
	s_or_b64 exec, exec, s[58:59]
	v_add_u32_e32 v60, v76, v8
	s_movk_i32 s60, 0x400
	v_add_u32_e32 v39, 0x400, v72
	v_add3_u32 v61, v73, v61, v21
	v_add3_u32 v62, v70, v62, v68
	;; [unrolled: 1-line block ×15, first 2 shown]
	s_mov_b32 s61, 0
	v_mov_b32_e32 v21, 0
	s_movk_i32 s62, 0x200
	s_movk_i32 s63, 0x600
	s_mov_b32 s64, 0
	s_mov_b32 s65, 0
                                        ; implicit-def: $vgpr2_vgpr3_vgpr4_vgpr5_vgpr6_vgpr7_vgpr8_vgpr9_vgpr10_vgpr11_vgpr12_vgpr13_vgpr14_vgpr15_vgpr16_vgpr17
	s_branch .LBB215_87
.LBB215_86:                             ;   in Loop: Header=BB215_87 Depth=1
	s_or_b64 exec, exec, s[58:59]
	s_addk_i32 s65, 0x800
	s_addk_i32 s64, 0xf800
	s_add_i32 s61, s61, 4
	s_cmpk_eq_i32 s64, 0xe000
	s_barrier
	s_cbranch_scc1 .LBB215_96
.LBB215_87:                             ; =>This Inner Loop Header: Depth=1
	v_add_u32_e32 v20, s64, v60
	v_min_u32_e32 v20, 0x800, v20
	v_lshlrev_b32_e32 v20, 2, v20
	ds_write_b32 v20, v24 offset:1024
	v_add_u32_e32 v20, s64, v71
	v_min_u32_e32 v20, 0x800, v20
	v_lshlrev_b32_e32 v20, 2, v20
	ds_write_b32 v20, v25 offset:1024
	;; [unrolled: 4-line block ×15, first 2 shown]
	v_add_u32_e32 v20, s64, v61
	v_min_u32_e32 v20, 0x800, v20
	v_add_u32_e32 v40, s65, v18
	v_lshlrev_b32_e32 v20, 2, v20
	v_cmp_gt_u32_e64 s[38:39], s7, v40
	ds_write_b32 v20, v38 offset:1024
	s_waitcnt lgkmcnt(0)
	s_barrier
	s_and_saveexec_b64 s[58:59], s[38:39]
	s_cbranch_execz .LBB215_89
; %bb.88:                               ;   in Loop: Header=BB215_87 Depth=1
	ds_read_b32 v41, v72 offset:1024
	v_mov_b32_e32 v45, s43
	s_waitcnt lgkmcnt(0)
	v_lshrrev_b32_e32 v20, s52, v41
	v_and_b32_e32 v44, s66, v20
	v_lshlrev_b32_e32 v20, 2, v44
	ds_read_b32 v20, v20
	s_waitcnt lgkmcnt(0)
	v_add_u32_e32 v20, v40, v20
	v_lshlrev_b64 v[42:43], 2, v[20:21]
	v_add_co_u32_e64 v42, s[38:39], s42, v42
	v_addc_co_u32_e64 v43, s[38:39], v45, v43, s[38:39]
	global_store_dword v[42:43], v41, off
	s_set_gpr_idx_on s61, gpr_idx(DST)
	v_mov_b32_e32 v2, v44
	s_set_gpr_idx_off
.LBB215_89:                             ;   in Loop: Header=BB215_87 Depth=1
	s_or_b64 exec, exec, s[58:59]
	v_add_u32_e32 v20, 0x200, v40
	v_cmp_gt_u32_e64 s[38:39], s7, v20
	s_and_saveexec_b64 s[58:59], s[38:39]
	s_cbranch_execz .LBB215_91
; %bb.90:                               ;   in Loop: Header=BB215_87 Depth=1
	ds_read_b32 v41, v39 offset:2048
	v_mov_b32_e32 v45, s43
	s_add_i32 s67, s61, 1
	s_waitcnt lgkmcnt(0)
	v_lshrrev_b32_e32 v20, s52, v41
	v_and_b32_e32 v44, s66, v20
	v_lshlrev_b32_e32 v20, 2, v44
	ds_read_b32 v20, v20
	s_waitcnt lgkmcnt(0)
	v_add3_u32 v20, v40, v20, s62
	v_lshlrev_b64 v[42:43], 2, v[20:21]
	v_add_co_u32_e64 v42, s[38:39], s42, v42
	v_addc_co_u32_e64 v43, s[38:39], v45, v43, s[38:39]
	global_store_dword v[42:43], v41, off
	s_set_gpr_idx_on s67, gpr_idx(DST)
	v_mov_b32_e32 v2, v44
	s_set_gpr_idx_off
.LBB215_91:                             ;   in Loop: Header=BB215_87 Depth=1
	s_or_b64 exec, exec, s[58:59]
	v_add_u32_e32 v20, 0x400, v40
	v_cmp_gt_u32_e64 s[38:39], s7, v20
	s_and_saveexec_b64 s[58:59], s[38:39]
	s_cbranch_execz .LBB215_93
; %bb.92:                               ;   in Loop: Header=BB215_87 Depth=1
	ds_read_b32 v41, v39 offset:4096
	v_mov_b32_e32 v45, s43
	s_add_i32 s67, s61, 2
	s_waitcnt lgkmcnt(0)
	v_lshrrev_b32_e32 v20, s52, v41
	v_and_b32_e32 v44, s66, v20
	v_lshlrev_b32_e32 v20, 2, v44
	ds_read_b32 v20, v20
	s_waitcnt lgkmcnt(0)
	v_add3_u32 v20, v40, v20, s60
	v_lshlrev_b64 v[42:43], 2, v[20:21]
	v_add_co_u32_e64 v42, s[38:39], s42, v42
	v_addc_co_u32_e64 v43, s[38:39], v45, v43, s[38:39]
	global_store_dword v[42:43], v41, off
	s_set_gpr_idx_on s67, gpr_idx(DST)
	v_mov_b32_e32 v2, v44
	s_set_gpr_idx_off
.LBB215_93:                             ;   in Loop: Header=BB215_87 Depth=1
	s_or_b64 exec, exec, s[58:59]
	v_add_u32_e32 v20, 0x600, v40
	v_cmp_gt_u32_e64 s[38:39], s7, v20
	s_and_saveexec_b64 s[58:59], s[38:39]
	s_cbranch_execz .LBB215_86
; %bb.94:                               ;   in Loop: Header=BB215_87 Depth=1
	ds_read_b32 v42, v39 offset:6144
	v_mov_b32_e32 v44, s43
	s_add_i32 s67, s61, 3
	s_waitcnt lgkmcnt(0)
	v_lshrrev_b32_e32 v20, s52, v42
	v_and_b32_e32 v43, s66, v20
	v_lshlrev_b32_e32 v20, 2, v43
	ds_read_b32 v20, v20
	s_waitcnt lgkmcnt(0)
	v_add3_u32 v20, v40, v20, s63
	v_lshlrev_b64 v[40:41], 2, v[20:21]
	v_add_co_u32_e64 v40, s[38:39], s42, v40
	v_addc_co_u32_e64 v41, s[38:39], v44, v41, s[38:39]
	global_store_dword v[40:41], v42, off
	s_set_gpr_idx_on s67, gpr_idx(DST)
	v_mov_b32_e32 v2, v43
	s_set_gpr_idx_off
	s_branch .LBB215_86
.LBB215_95:
	s_mov_b64 s[2:3], 0
                                        ; implicit-def: $vgpr2
                                        ; implicit-def: $vgpr18
	s_cbranch_execnz .LBB215_137
	s_branch .LBB215_196
.LBB215_96:
	s_lshl_b64 s[38:39], s[54:55], 3
	s_add_u32 s38, s44, s38
	s_addc_u32 s39, s45, s39
	v_lshlrev_b32_e32 v20, 3, v22
	v_mov_b32_e32 v21, s39
	v_add_co_u32_e64 v20, s[38:39], s38, v20
	v_addc_co_u32_e64 v21, s[38:39], 0, v21, s[38:39]
	v_lshlrev_b32_e32 v19, 3, v19
	v_add_co_u32_e64 v40, s[38:39], v20, v19
	v_addc_co_u32_e64 v41, s[38:39], 0, v21, s[38:39]
	v_mov_b32_e32 v20, 0
	v_mov_b32_e32 v22, 0
	;; [unrolled: 1-line block ×3, first 2 shown]
	s_and_saveexec_b64 s[38:39], s[30:31]
	s_cbranch_execz .LBB215_98
; %bb.97:
	global_load_dwordx2 v[22:23], v[40:41], off
.LBB215_98:
	s_or_b64 exec, exec, s[38:39]
	v_mov_b32_e32 v21, 0
	s_and_saveexec_b64 s[30:31], s[28:29]
	s_cbranch_execz .LBB215_100
; %bb.99:
	global_load_dwordx2 v[20:21], v[40:41], off offset:512
.LBB215_100:
	s_or_b64 exec, exec, s[30:31]
	v_mov_b32_e32 v24, 0
	v_mov_b32_e32 v26, 0
	v_mov_b32_e32 v27, 0
	s_and_saveexec_b64 s[28:29], s[26:27]
	s_cbranch_execz .LBB215_102
; %bb.101:
	global_load_dwordx2 v[26:27], v[40:41], off offset:1024
.LBB215_102:
	s_or_b64 exec, exec, s[28:29]
	v_mov_b32_e32 v25, 0
	s_and_saveexec_b64 s[26:27], s[24:25]
	s_cbranch_execz .LBB215_104
; %bb.103:
	global_load_dwordx2 v[24:25], v[40:41], off offset:1536
.LBB215_104:
	s_or_b64 exec, exec, s[26:27]
	v_mov_b32_e32 v28, 0
	v_mov_b32_e32 v30, 0
	v_mov_b32_e32 v31, 0
	s_and_saveexec_b64 s[24:25], s[22:23]
	s_cbranch_execz .LBB215_106
; %bb.105:
	global_load_dwordx2 v[30:31], v[40:41], off offset:2048
.LBB215_106:
	s_or_b64 exec, exec, s[24:25]
	v_mov_b32_e32 v29, 0
	s_and_saveexec_b64 s[22:23], s[20:21]
	s_cbranch_execz .LBB215_108
; %bb.107:
	global_load_dwordx2 v[28:29], v[40:41], off offset:2560
.LBB215_108:
	s_or_b64 exec, exec, s[22:23]
	v_mov_b32_e32 v32, 0
	v_mov_b32_e32 v34, 0
	v_mov_b32_e32 v35, 0
	s_and_saveexec_b64 s[20:21], s[18:19]
	s_cbranch_execz .LBB215_110
; %bb.109:
	global_load_dwordx2 v[34:35], v[40:41], off offset:3072
.LBB215_110:
	s_or_b64 exec, exec, s[20:21]
	v_mov_b32_e32 v33, 0
	s_and_saveexec_b64 s[18:19], s[16:17]
	s_cbranch_execz .LBB215_112
; %bb.111:
	global_load_dwordx2 v[32:33], v[40:41], off offset:3584
.LBB215_112:
	s_or_b64 exec, exec, s[18:19]
	v_mov_b32_e32 v36, 0
	v_mov_b32_e32 v38, 0
	;; [unrolled: 1-line block ×3, first 2 shown]
	s_and_saveexec_b64 s[16:17], vcc
	s_cbranch_execz .LBB215_114
; %bb.113:
	v_add_co_u32_e32 v38, vcc, 0x1000, v40
	v_addc_co_u32_e32 v39, vcc, 0, v41, vcc
	global_load_dwordx2 v[38:39], v[38:39], off
.LBB215_114:
	s_or_b64 exec, exec, s[16:17]
	v_mov_b32_e32 v37, 0
	s_and_saveexec_b64 s[16:17], s[14:15]
	s_cbranch_execz .LBB215_116
; %bb.115:
	v_add_co_u32_e32 v36, vcc, 0x1000, v40
	v_addc_co_u32_e32 v37, vcc, 0, v41, vcc
	global_load_dwordx2 v[36:37], v[36:37], off offset:512
.LBB215_116:
	s_or_b64 exec, exec, s[16:17]
	v_mov_b32_e32 v42, 0
	v_mov_b32_e32 v44, 0
	v_mov_b32_e32 v45, 0
	s_and_saveexec_b64 s[14:15], s[12:13]
	s_cbranch_execz .LBB215_118
; %bb.117:
	v_add_co_u32_e32 v44, vcc, 0x1000, v40
	v_addc_co_u32_e32 v45, vcc, 0, v41, vcc
	global_load_dwordx2 v[44:45], v[44:45], off offset:1024
.LBB215_118:
	s_or_b64 exec, exec, s[14:15]
	v_mov_b32_e32 v43, 0
	s_and_saveexec_b64 s[12:13], s[10:11]
	s_cbranch_execz .LBB215_120
; %bb.119:
	v_add_co_u32_e32 v42, vcc, 0x1000, v40
	v_addc_co_u32_e32 v43, vcc, 0, v41, vcc
	global_load_dwordx2 v[42:43], v[42:43], off offset:1536
.LBB215_120:
	s_or_b64 exec, exec, s[12:13]
	v_mov_b32_e32 v46, 0
	v_mov_b32_e32 v48, 0
	v_mov_b32_e32 v49, 0
	s_and_saveexec_b64 s[10:11], s[8:9]
	s_cbranch_execz .LBB215_122
; %bb.121:
	v_add_co_u32_e32 v48, vcc, 0x1000, v40
	v_addc_co_u32_e32 v49, vcc, 0, v41, vcc
	global_load_dwordx2 v[48:49], v[48:49], off offset:2048
.LBB215_122:
	;; [unrolled: 20-line block ×3, first 2 shown]
	s_or_b64 exec, exec, s[8:9]
	s_mov_b32 s8, 0
	v_mov_b32_e32 v51, 0
	s_and_saveexec_b64 s[2:3], s[0:1]
	s_cbranch_execz .LBB215_128
; %bb.127:
	v_add_co_u32_e32 v40, vcc, 0x1000, v40
	v_addc_co_u32_e32 v41, vcc, 0, v41, vcc
	global_load_dwordx2 v[50:51], v[40:41], off offset:3584
.LBB215_128:
	s_or_b64 exec, exec, s[2:3]
	v_lshlrev_b32_e32 v19, 3, v18
	v_add_u32_e32 v72, 0x400, v19
	v_mov_b32_e32 v41, 0
	s_movk_i32 s2, 0x200
	s_mov_b32 s3, 0
	v_mov_b32_e32 v73, v18
	s_waitcnt vmcnt(0)
	s_branch .LBB215_130
.LBB215_129:                            ;   in Loop: Header=BB215_130 Depth=1
	s_or_b64 exec, exec, s[0:1]
	s_addk_i32 s3, 0xfc00
	s_add_i32 s8, s8, 2
	s_cmpk_eq_i32 s3, 0xe000
	v_add_u32_e32 v73, 0x400, v73
	s_barrier
	s_cbranch_scc1 .LBB215_134
.LBB215_130:                            ; =>This Inner Loop Header: Depth=1
	v_add_u32_e32 v40, s3, v60
	v_min_u32_e32 v40, 0x400, v40
	v_lshlrev_b32_e32 v40, 3, v40
	ds_write_b64 v40, v[22:23] offset:1024
	v_add_u32_e32 v40, s3, v71
	v_min_u32_e32 v40, 0x400, v40
	v_lshlrev_b32_e32 v40, 3, v40
	ds_write_b64 v40, v[20:21] offset:1024
	;; [unrolled: 4-line block ×15, first 2 shown]
	v_add_u32_e32 v40, s3, v61
	v_min_u32_e32 v40, 0x400, v40
	v_lshlrev_b32_e32 v40, 3, v40
	v_cmp_gt_u32_e32 vcc, s7, v73
	ds_write_b64 v40, v[50:51] offset:1024
	s_waitcnt lgkmcnt(0)
	s_barrier
	s_and_saveexec_b64 s[0:1], vcc
	s_cbranch_execz .LBB215_132
; %bb.131:                              ;   in Loop: Header=BB215_130 Depth=1
	s_set_gpr_idx_on s8, gpr_idx(SRC0)
	v_mov_b32_e32 v40, v2
	s_set_gpr_idx_off
	v_lshlrev_b32_e32 v40, 2, v40
	ds_read_b32 v40, v40
	ds_read_b64 v[74:75], v19 offset:1024
	v_mov_b32_e32 v78, s47
	s_waitcnt lgkmcnt(1)
	v_add_u32_e32 v40, v73, v40
	v_lshlrev_b64 v[76:77], 3, v[40:41]
	v_add_co_u32_e32 v76, vcc, s46, v76
	v_addc_co_u32_e32 v77, vcc, v78, v77, vcc
	s_waitcnt lgkmcnt(0)
	global_store_dwordx2 v[76:77], v[74:75], off
.LBB215_132:                            ;   in Loop: Header=BB215_130 Depth=1
	s_or_b64 exec, exec, s[0:1]
	v_add_u32_e32 v40, 0x200, v73
	v_cmp_gt_u32_e32 vcc, s7, v40
	s_and_saveexec_b64 s[0:1], vcc
	s_cbranch_execz .LBB215_129
; %bb.133:                              ;   in Loop: Header=BB215_130 Depth=1
	s_add_i32 s9, s8, 1
	s_set_gpr_idx_on s9, gpr_idx(SRC0)
	v_mov_b32_e32 v40, v2
	s_set_gpr_idx_off
	v_lshlrev_b32_e32 v40, 2, v40
	ds_read_b32 v40, v40
	ds_read_b64 v[74:75], v72 offset:4096
	v_mov_b32_e32 v78, s47
	s_waitcnt lgkmcnt(1)
	v_add3_u32 v40, v73, v40, s2
	v_lshlrev_b64 v[76:77], 3, v[40:41]
	v_add_co_u32_e32 v76, vcc, s46, v76
	v_addc_co_u32_e32 v77, vcc, v78, v77, vcc
	s_waitcnt lgkmcnt(0)
	global_store_dwordx2 v[76:77], v[74:75], off
	s_branch .LBB215_129
.LBB215_134:
	s_add_i32 s33, s33, -1
	s_cmp_eq_u32 s33, s6
	s_cselect_b64 s[0:1], -1, 0
	s_and_b64 s[8:9], s[34:35], s[0:1]
	s_mov_b64 s[0:1], 0
	s_mov_b64 s[2:3], 0
                                        ; implicit-def: $vgpr2
	s_and_saveexec_b64 s[10:11], s[8:9]
	s_xor_b64 s[8:9], exec, s[10:11]
; %bb.135:
	s_mov_b64 s[2:3], exec
	v_add_u32_e32 v2, v54, v57
; %bb.136:
	s_or_b64 exec, exec, s[8:9]
	s_and_b64 vcc, exec, s[0:1]
	s_cbranch_vccz .LBB215_196
.LBB215_137:
	v_and_b32_e32 v18, 0x3ff, v0
	s_lshl_b32 s8, s6, 13
	s_mov_b32 s9, 0
	v_mbcnt_hi_u32_b32 v4, -1, v1
	s_lshl_b64 s[0:1], s[8:9], 2
	v_and_b32_e32 v20, 63, v4
	v_lshlrev_b32_e32 v1, 4, v18
	s_add_u32 s0, s40, s0
	v_and_b32_e32 v19, 0x1c00, v1
	v_lshlrev_b32_e32 v1, 2, v20
	v_add_co_u32_e32 v1, vcc, s0, v1
	s_load_dword s7, s[4:5], 0x58
	s_load_dword s0, s[4:5], 0x64
	s_addc_u32 s1, s41, s1
	v_mov_b32_e32 v3, s1
	s_add_u32 s1, s4, 0x58
	v_addc_co_u32_e32 v3, vcc, 0, v3, vcc
	v_lshlrev_b32_e32 v5, 2, v19
	s_addc_u32 s4, s5, 0
	s_waitcnt lgkmcnt(0)
	s_lshr_b32 s5, s0, 16
	v_add_co_u32_e32 v6, vcc, v1, v5
	s_cmp_lt_u32 s6, s7
	v_addc_co_u32_e32 v7, vcc, 0, v3, vcc
	s_cselect_b32 s0, 12, 18
	global_load_dword v21, v[6:7], off
	s_add_u32 s0, s1, s0
	v_mov_b32_e32 v2, 0
	s_addc_u32 s1, s4, 0
	global_load_ushort v1, v2, s[0:1]
	v_mul_u32_u24_e32 v5, 5, v18
	v_lshlrev_b32_e32 v5, 2, v5
	ds_write2_b32 v5, v2, v2 offset0:8 offset1:9
	ds_write2_b32 v5, v2, v2 offset0:10 offset1:11
	ds_write_b32 v5, v2 offset:48
	global_load_dword v22, v[6:7], off offset:256
	global_load_dword v23, v[6:7], off offset:512
	global_load_dword v24, v[6:7], off offset:768
	global_load_dword v25, v[6:7], off offset:1024
	global_load_dword v26, v[6:7], off offset:1280
	global_load_dword v27, v[6:7], off offset:1536
	global_load_dword v28, v[6:7], off offset:1792
	global_load_dword v29, v[6:7], off offset:2048
	global_load_dword v30, v[6:7], off offset:2304
	global_load_dword v31, v[6:7], off offset:2560
	global_load_dword v32, v[6:7], off offset:2816
	global_load_dword v33, v[6:7], off offset:3072
	global_load_dword v34, v[6:7], off offset:3328
	global_load_dword v35, v[6:7], off offset:3584
	global_load_dword v36, v[6:7], off offset:3840
	v_bfe_u32 v3, v0, 10, 10
	v_bfe_u32 v0, v0, 20, 10
	s_lshl_b32 s0, -1, s53
	v_mad_u32_u24 v0, v0, s5, v3
	s_not_b32 s16, s0
	s_waitcnt lgkmcnt(0)
	s_barrier
	s_waitcnt lgkmcnt(0)
	; wave barrier
	s_waitcnt vmcnt(16)
	v_lshrrev_b32_e32 v3, s52, v21
	v_and_b32_e32 v6, s16, v3
	v_and_b32_e32 v8, 1, v6
	v_lshlrev_b32_e32 v3, 30, v6
	s_waitcnt vmcnt(15)
	v_mad_u64_u32 v[0:1], s[0:1], v0, v1, v[18:19]
	v_add_co_u32_e32 v1, vcc, -1, v8
	v_addc_co_u32_e64 v9, s[0:1], 0, -1, vcc
	v_cmp_ne_u32_e32 vcc, 0, v8
	v_cmp_gt_i64_e64 s[0:1], 0, v[2:3]
	v_not_b32_e32 v8, v3
	v_lshlrev_b32_e32 v3, 29, v6
	v_lshl_add_u32 v7, v6, 3, v6
	v_lshrrev_b32_e32 v16, 6, v0
	v_xor_b32_e32 v0, vcc_hi, v9
	v_xor_b32_e32 v1, vcc_lo, v1
	v_ashrrev_i32_e32 v8, 31, v8
	v_not_b32_e32 v10, v3
	v_cmp_gt_i64_e32 vcc, 0, v[2:3]
	v_lshlrev_b32_e32 v3, 28, v6
	v_add_lshl_u32 v9, v16, v7, 2
	v_and_b32_e32 v0, exec_hi, v0
	v_and_b32_e32 v1, exec_lo, v1
	v_xor_b32_e32 v7, s1, v8
	v_xor_b32_e32 v8, s0, v8
	v_ashrrev_i32_e32 v10, 31, v10
	v_and_b32_e32 v0, v0, v7
	v_and_b32_e32 v1, v1, v8
	v_xor_b32_e32 v7, vcc_hi, v10
	v_xor_b32_e32 v8, vcc_lo, v10
	v_cmp_gt_i64_e32 vcc, 0, v[2:3]
	v_not_b32_e32 v3, v3
	v_ashrrev_i32_e32 v3, 31, v3
	v_and_b32_e32 v0, v0, v7
	v_and_b32_e32 v1, v1, v8
	v_xor_b32_e32 v7, vcc_hi, v3
	v_xor_b32_e32 v3, vcc_lo, v3
	v_and_b32_e32 v1, v1, v3
	v_lshlrev_b32_e32 v3, 27, v6
	v_cmp_gt_i64_e32 vcc, 0, v[2:3]
	v_not_b32_e32 v3, v3
	v_ashrrev_i32_e32 v3, 31, v3
	v_and_b32_e32 v0, v0, v7
	v_xor_b32_e32 v7, vcc_hi, v3
	v_xor_b32_e32 v3, vcc_lo, v3
	v_and_b32_e32 v1, v1, v3
	v_lshlrev_b32_e32 v3, 26, v6
	v_cmp_gt_i64_e32 vcc, 0, v[2:3]
	v_not_b32_e32 v3, v3
	v_ashrrev_i32_e32 v3, 31, v3
	;; [unrolled: 8-line block ×3, first 2 shown]
	v_and_b32_e32 v0, v0, v7
	v_xor_b32_e32 v7, vcc_hi, v3
	v_xor_b32_e32 v3, vcc_lo, v3
	v_and_b32_e32 v0, v0, v7
	v_and_b32_e32 v7, v1, v3
	v_lshlrev_b32_e32 v3, 24, v6
	v_not_b32_e32 v1, v3
	v_cmp_gt_i64_e32 vcc, 0, v[2:3]
	v_ashrrev_i32_e32 v1, 31, v1
	v_xor_b32_e32 v3, vcc_hi, v1
	v_xor_b32_e32 v6, vcc_lo, v1
	v_and_b32_e32 v1, v0, v3
	v_and_b32_e32 v0, v7, v6
	v_mbcnt_lo_u32_b32 v3, v0, 0
	v_mbcnt_hi_u32_b32 v6, v1, v3
	v_cmp_eq_u32_e32 vcc, 0, v6
	v_cmp_ne_u64_e64 s[0:1], 0, v[0:1]
	s_and_b64 s[4:5], s[0:1], vcc
	s_and_saveexec_b64 s[0:1], s[4:5]
	s_cbranch_execz .LBB215_139
; %bb.138:
	v_bcnt_u32_b32 v0, v0, 0
	v_bcnt_u32_b32 v0, v1, v0
	ds_write_b32 v9, v0 offset:32
.LBB215_139:
	s_or_b64 exec, exec, s[0:1]
	s_waitcnt vmcnt(14)
	v_lshrrev_b32_e32 v0, s52, v22
	v_and_b32_e32 v0, s16, v0
	v_lshl_add_u32 v1, v0, 3, v0
	v_add_lshl_u32 v11, v16, v1, 2
	v_and_b32_e32 v1, 1, v0
	v_add_co_u32_e32 v3, vcc, -1, v1
	v_addc_co_u32_e64 v8, s[0:1], 0, -1, vcc
	v_cmp_ne_u32_e32 vcc, 0, v1
	v_xor_b32_e32 v3, vcc_lo, v3
	v_xor_b32_e32 v1, vcc_hi, v8
	v_and_b32_e32 v8, exec_lo, v3
	v_lshlrev_b32_e32 v3, 30, v0
	v_cmp_gt_i64_e32 vcc, 0, v[2:3]
	v_not_b32_e32 v3, v3
	v_ashrrev_i32_e32 v3, 31, v3
	v_xor_b32_e32 v10, vcc_hi, v3
	v_xor_b32_e32 v3, vcc_lo, v3
	v_and_b32_e32 v8, v8, v3
	v_lshlrev_b32_e32 v3, 29, v0
	v_cmp_gt_i64_e32 vcc, 0, v[2:3]
	v_not_b32_e32 v3, v3
	v_and_b32_e32 v1, exec_hi, v1
	v_ashrrev_i32_e32 v3, 31, v3
	v_and_b32_e32 v1, v1, v10
	v_xor_b32_e32 v10, vcc_hi, v3
	v_xor_b32_e32 v3, vcc_lo, v3
	v_and_b32_e32 v8, v8, v3
	v_lshlrev_b32_e32 v3, 28, v0
	v_cmp_gt_i64_e32 vcc, 0, v[2:3]
	v_not_b32_e32 v3, v3
	v_ashrrev_i32_e32 v3, 31, v3
	v_and_b32_e32 v1, v1, v10
	v_xor_b32_e32 v10, vcc_hi, v3
	v_xor_b32_e32 v3, vcc_lo, v3
	v_and_b32_e32 v8, v8, v3
	v_lshlrev_b32_e32 v3, 27, v0
	v_cmp_gt_i64_e32 vcc, 0, v[2:3]
	v_not_b32_e32 v3, v3
	v_ashrrev_i32_e32 v3, 31, v3
	v_and_b32_e32 v1, v1, v10
	v_xor_b32_e32 v10, vcc_hi, v3
	v_xor_b32_e32 v3, vcc_lo, v3
	v_and_b32_e32 v8, v8, v3
	v_lshlrev_b32_e32 v3, 26, v0
	v_cmp_gt_i64_e32 vcc, 0, v[2:3]
	v_not_b32_e32 v3, v3
	v_ashrrev_i32_e32 v3, 31, v3
	v_and_b32_e32 v1, v1, v10
	v_xor_b32_e32 v10, vcc_hi, v3
	v_xor_b32_e32 v3, vcc_lo, v3
	v_and_b32_e32 v8, v8, v3
	v_lshlrev_b32_e32 v3, 25, v0
	v_cmp_gt_i64_e32 vcc, 0, v[2:3]
	v_not_b32_e32 v3, v3
	v_ashrrev_i32_e32 v3, 31, v3
	v_and_b32_e32 v1, v1, v10
	v_xor_b32_e32 v10, vcc_hi, v3
	v_xor_b32_e32 v3, vcc_lo, v3
	v_and_b32_e32 v8, v8, v3
	v_lshlrev_b32_e32 v3, 24, v0
	v_not_b32_e32 v0, v3
	v_cmp_gt_i64_e32 vcc, 0, v[2:3]
	v_ashrrev_i32_e32 v0, 31, v0
	v_xor_b32_e32 v2, vcc_hi, v0
	v_xor_b32_e32 v0, vcc_lo, v0
	; wave barrier
	ds_read_b32 v7, v11 offset:32
	v_and_b32_e32 v1, v1, v10
	v_and_b32_e32 v0, v8, v0
	;; [unrolled: 1-line block ×3, first 2 shown]
	v_mbcnt_lo_u32_b32 v2, v0, 0
	v_mbcnt_hi_u32_b32 v8, v1, v2
	v_cmp_eq_u32_e32 vcc, 0, v8
	v_cmp_ne_u64_e64 s[0:1], 0, v[0:1]
	s_and_b64 s[4:5], s[0:1], vcc
	; wave barrier
	s_and_saveexec_b64 s[0:1], s[4:5]
	s_cbranch_execz .LBB215_141
; %bb.140:
	v_bcnt_u32_b32 v0, v0, 0
	v_bcnt_u32_b32 v0, v1, v0
	s_waitcnt lgkmcnt(0)
	v_add_u32_e32 v0, v7, v0
	ds_write_b32 v11, v0 offset:32
.LBB215_141:
	s_or_b64 exec, exec, s[0:1]
	s_waitcnt vmcnt(13)
	v_lshrrev_b32_e32 v0, s52, v23
	v_and_b32_e32 v2, s16, v0
	v_and_b32_e32 v1, 1, v2
	v_add_co_u32_e32 v3, vcc, -1, v1
	v_addc_co_u32_e64 v12, s[0:1], 0, -1, vcc
	v_cmp_ne_u32_e32 vcc, 0, v1
	v_lshl_add_u32 v0, v2, 3, v2
	v_xor_b32_e32 v1, vcc_hi, v12
	v_add_lshl_u32 v14, v16, v0, 2
	v_mov_b32_e32 v0, 0
	v_and_b32_e32 v12, exec_hi, v1
	v_lshlrev_b32_e32 v1, 30, v2
	v_xor_b32_e32 v3, vcc_lo, v3
	v_cmp_gt_i64_e32 vcc, 0, v[0:1]
	v_not_b32_e32 v1, v1
	v_ashrrev_i32_e32 v1, 31, v1
	v_and_b32_e32 v3, exec_lo, v3
	v_xor_b32_e32 v13, vcc_hi, v1
	v_xor_b32_e32 v1, vcc_lo, v1
	v_and_b32_e32 v3, v3, v1
	v_lshlrev_b32_e32 v1, 29, v2
	v_cmp_gt_i64_e32 vcc, 0, v[0:1]
	v_not_b32_e32 v1, v1
	v_ashrrev_i32_e32 v1, 31, v1
	v_and_b32_e32 v12, v12, v13
	v_xor_b32_e32 v13, vcc_hi, v1
	v_xor_b32_e32 v1, vcc_lo, v1
	v_and_b32_e32 v3, v3, v1
	v_lshlrev_b32_e32 v1, 28, v2
	v_cmp_gt_i64_e32 vcc, 0, v[0:1]
	v_not_b32_e32 v1, v1
	v_ashrrev_i32_e32 v1, 31, v1
	v_and_b32_e32 v12, v12, v13
	;; [unrolled: 8-line block ×5, first 2 shown]
	v_xor_b32_e32 v13, vcc_hi, v1
	v_xor_b32_e32 v1, vcc_lo, v1
	v_and_b32_e32 v12, v12, v13
	v_and_b32_e32 v13, v3, v1
	v_lshlrev_b32_e32 v1, 24, v2
	v_cmp_gt_i64_e32 vcc, 0, v[0:1]
	v_not_b32_e32 v1, v1
	v_ashrrev_i32_e32 v1, 31, v1
	v_xor_b32_e32 v2, vcc_hi, v1
	v_xor_b32_e32 v1, vcc_lo, v1
	; wave barrier
	ds_read_b32 v10, v14 offset:32
	v_and_b32_e32 v3, v12, v2
	v_and_b32_e32 v2, v13, v1
	v_mbcnt_lo_u32_b32 v1, v2, 0
	v_mbcnt_hi_u32_b32 v12, v3, v1
	v_cmp_eq_u32_e32 vcc, 0, v12
	v_cmp_ne_u64_e64 s[0:1], 0, v[2:3]
	s_and_b64 s[4:5], s[0:1], vcc
	; wave barrier
	s_and_saveexec_b64 s[0:1], s[4:5]
	s_cbranch_execz .LBB215_143
; %bb.142:
	v_bcnt_u32_b32 v1, v2, 0
	v_bcnt_u32_b32 v1, v3, v1
	s_waitcnt lgkmcnt(0)
	v_add_u32_e32 v1, v10, v1
	ds_write_b32 v14, v1 offset:32
.LBB215_143:
	s_or_b64 exec, exec, s[0:1]
	s_waitcnt vmcnt(12)
	v_lshrrev_b32_e32 v1, s52, v24
	v_and_b32_e32 v2, s16, v1
	v_lshl_add_u32 v1, v2, 3, v2
	v_add_lshl_u32 v37, v16, v1, 2
	v_and_b32_e32 v1, 1, v2
	v_add_co_u32_e32 v3, vcc, -1, v1
	v_addc_co_u32_e64 v15, s[0:1], 0, -1, vcc
	v_cmp_ne_u32_e32 vcc, 0, v1
	v_xor_b32_e32 v1, vcc_hi, v15
	v_and_b32_e32 v15, exec_hi, v1
	v_lshlrev_b32_e32 v1, 30, v2
	v_xor_b32_e32 v3, vcc_lo, v3
	v_cmp_gt_i64_e32 vcc, 0, v[0:1]
	v_not_b32_e32 v1, v1
	v_ashrrev_i32_e32 v1, 31, v1
	v_and_b32_e32 v3, exec_lo, v3
	v_xor_b32_e32 v17, vcc_hi, v1
	v_xor_b32_e32 v1, vcc_lo, v1
	v_and_b32_e32 v3, v3, v1
	v_lshlrev_b32_e32 v1, 29, v2
	v_cmp_gt_i64_e32 vcc, 0, v[0:1]
	v_not_b32_e32 v1, v1
	v_ashrrev_i32_e32 v1, 31, v1
	v_and_b32_e32 v15, v15, v17
	v_xor_b32_e32 v17, vcc_hi, v1
	v_xor_b32_e32 v1, vcc_lo, v1
	v_and_b32_e32 v3, v3, v1
	v_lshlrev_b32_e32 v1, 28, v2
	v_cmp_gt_i64_e32 vcc, 0, v[0:1]
	v_not_b32_e32 v1, v1
	v_ashrrev_i32_e32 v1, 31, v1
	v_and_b32_e32 v15, v15, v17
	;; [unrolled: 8-line block ×5, first 2 shown]
	v_xor_b32_e32 v17, vcc_hi, v1
	v_xor_b32_e32 v1, vcc_lo, v1
	v_and_b32_e32 v3, v3, v1
	v_lshlrev_b32_e32 v1, 24, v2
	v_cmp_gt_i64_e32 vcc, 0, v[0:1]
	v_not_b32_e32 v0, v1
	v_ashrrev_i32_e32 v0, 31, v0
	v_xor_b32_e32 v1, vcc_hi, v0
	v_xor_b32_e32 v0, vcc_lo, v0
	; wave barrier
	ds_read_b32 v13, v37 offset:32
	v_and_b32_e32 v15, v15, v17
	v_and_b32_e32 v0, v3, v0
	;; [unrolled: 1-line block ×3, first 2 shown]
	v_mbcnt_lo_u32_b32 v2, v0, 0
	v_mbcnt_hi_u32_b32 v15, v1, v2
	v_cmp_eq_u32_e32 vcc, 0, v15
	v_cmp_ne_u64_e64 s[0:1], 0, v[0:1]
	s_and_b64 s[4:5], s[0:1], vcc
	; wave barrier
	s_and_saveexec_b64 s[0:1], s[4:5]
	s_cbranch_execz .LBB215_145
; %bb.144:
	v_bcnt_u32_b32 v0, v0, 0
	v_bcnt_u32_b32 v0, v1, v0
	s_waitcnt lgkmcnt(0)
	v_add_u32_e32 v0, v13, v0
	ds_write_b32 v37, v0 offset:32
.LBB215_145:
	s_or_b64 exec, exec, s[0:1]
	s_waitcnt vmcnt(11)
	v_lshrrev_b32_e32 v0, s52, v25
	v_and_b32_e32 v2, s16, v0
	v_and_b32_e32 v1, 1, v2
	v_add_co_u32_e32 v3, vcc, -1, v1
	v_addc_co_u32_e64 v38, s[0:1], 0, -1, vcc
	v_cmp_ne_u32_e32 vcc, 0, v1
	v_lshl_add_u32 v0, v2, 3, v2
	v_xor_b32_e32 v1, vcc_hi, v38
	v_add_lshl_u32 v40, v16, v0, 2
	v_mov_b32_e32 v0, 0
	v_and_b32_e32 v38, exec_hi, v1
	v_lshlrev_b32_e32 v1, 30, v2
	v_xor_b32_e32 v3, vcc_lo, v3
	v_cmp_gt_i64_e32 vcc, 0, v[0:1]
	v_not_b32_e32 v1, v1
	v_ashrrev_i32_e32 v1, 31, v1
	v_and_b32_e32 v3, exec_lo, v3
	v_xor_b32_e32 v39, vcc_hi, v1
	v_xor_b32_e32 v1, vcc_lo, v1
	v_and_b32_e32 v3, v3, v1
	v_lshlrev_b32_e32 v1, 29, v2
	v_cmp_gt_i64_e32 vcc, 0, v[0:1]
	v_not_b32_e32 v1, v1
	v_ashrrev_i32_e32 v1, 31, v1
	v_and_b32_e32 v38, v38, v39
	v_xor_b32_e32 v39, vcc_hi, v1
	v_xor_b32_e32 v1, vcc_lo, v1
	v_and_b32_e32 v3, v3, v1
	v_lshlrev_b32_e32 v1, 28, v2
	v_cmp_gt_i64_e32 vcc, 0, v[0:1]
	v_not_b32_e32 v1, v1
	v_ashrrev_i32_e32 v1, 31, v1
	v_and_b32_e32 v38, v38, v39
	;; [unrolled: 8-line block ×5, first 2 shown]
	v_xor_b32_e32 v39, vcc_hi, v1
	v_xor_b32_e32 v1, vcc_lo, v1
	v_and_b32_e32 v38, v38, v39
	v_and_b32_e32 v39, v3, v1
	v_lshlrev_b32_e32 v1, 24, v2
	v_cmp_gt_i64_e32 vcc, 0, v[0:1]
	v_not_b32_e32 v1, v1
	v_ashrrev_i32_e32 v1, 31, v1
	v_xor_b32_e32 v2, vcc_hi, v1
	v_xor_b32_e32 v1, vcc_lo, v1
	; wave barrier
	ds_read_b32 v17, v40 offset:32
	v_and_b32_e32 v3, v38, v2
	v_and_b32_e32 v2, v39, v1
	v_mbcnt_lo_u32_b32 v1, v2, 0
	v_mbcnt_hi_u32_b32 v38, v3, v1
	v_cmp_eq_u32_e32 vcc, 0, v38
	v_cmp_ne_u64_e64 s[0:1], 0, v[2:3]
	s_and_b64 s[4:5], s[0:1], vcc
	; wave barrier
	s_and_saveexec_b64 s[0:1], s[4:5]
	s_cbranch_execz .LBB215_147
; %bb.146:
	v_bcnt_u32_b32 v1, v2, 0
	v_bcnt_u32_b32 v1, v3, v1
	s_waitcnt lgkmcnt(0)
	v_add_u32_e32 v1, v17, v1
	ds_write_b32 v40, v1 offset:32
.LBB215_147:
	s_or_b64 exec, exec, s[0:1]
	s_waitcnt vmcnt(10)
	v_lshrrev_b32_e32 v1, s52, v26
	v_and_b32_e32 v2, s16, v1
	v_lshl_add_u32 v1, v2, 3, v2
	v_add_lshl_u32 v43, v16, v1, 2
	v_and_b32_e32 v1, 1, v2
	v_add_co_u32_e32 v3, vcc, -1, v1
	v_addc_co_u32_e64 v41, s[0:1], 0, -1, vcc
	v_cmp_ne_u32_e32 vcc, 0, v1
	v_xor_b32_e32 v1, vcc_hi, v41
	v_and_b32_e32 v41, exec_hi, v1
	v_lshlrev_b32_e32 v1, 30, v2
	v_xor_b32_e32 v3, vcc_lo, v3
	v_cmp_gt_i64_e32 vcc, 0, v[0:1]
	v_not_b32_e32 v1, v1
	v_ashrrev_i32_e32 v1, 31, v1
	v_and_b32_e32 v3, exec_lo, v3
	v_xor_b32_e32 v42, vcc_hi, v1
	v_xor_b32_e32 v1, vcc_lo, v1
	v_and_b32_e32 v3, v3, v1
	v_lshlrev_b32_e32 v1, 29, v2
	v_cmp_gt_i64_e32 vcc, 0, v[0:1]
	v_not_b32_e32 v1, v1
	v_ashrrev_i32_e32 v1, 31, v1
	v_and_b32_e32 v41, v41, v42
	v_xor_b32_e32 v42, vcc_hi, v1
	v_xor_b32_e32 v1, vcc_lo, v1
	v_and_b32_e32 v3, v3, v1
	v_lshlrev_b32_e32 v1, 28, v2
	v_cmp_gt_i64_e32 vcc, 0, v[0:1]
	v_not_b32_e32 v1, v1
	v_ashrrev_i32_e32 v1, 31, v1
	v_and_b32_e32 v41, v41, v42
	;; [unrolled: 8-line block ×5, first 2 shown]
	v_xor_b32_e32 v42, vcc_hi, v1
	v_xor_b32_e32 v1, vcc_lo, v1
	v_and_b32_e32 v3, v3, v1
	v_lshlrev_b32_e32 v1, 24, v2
	v_cmp_gt_i64_e32 vcc, 0, v[0:1]
	v_not_b32_e32 v0, v1
	v_ashrrev_i32_e32 v0, 31, v0
	v_xor_b32_e32 v1, vcc_hi, v0
	v_xor_b32_e32 v0, vcc_lo, v0
	; wave barrier
	ds_read_b32 v39, v43 offset:32
	v_and_b32_e32 v41, v41, v42
	v_and_b32_e32 v0, v3, v0
	;; [unrolled: 1-line block ×3, first 2 shown]
	v_mbcnt_lo_u32_b32 v2, v0, 0
	v_mbcnt_hi_u32_b32 v41, v1, v2
	v_cmp_eq_u32_e32 vcc, 0, v41
	v_cmp_ne_u64_e64 s[0:1], 0, v[0:1]
	s_and_b64 s[4:5], s[0:1], vcc
	; wave barrier
	s_and_saveexec_b64 s[0:1], s[4:5]
	s_cbranch_execz .LBB215_149
; %bb.148:
	v_bcnt_u32_b32 v0, v0, 0
	v_bcnt_u32_b32 v0, v1, v0
	s_waitcnt lgkmcnt(0)
	v_add_u32_e32 v0, v39, v0
	ds_write_b32 v43, v0 offset:32
.LBB215_149:
	s_or_b64 exec, exec, s[0:1]
	s_waitcnt vmcnt(9)
	v_lshrrev_b32_e32 v0, s52, v27
	v_and_b32_e32 v2, s16, v0
	v_and_b32_e32 v1, 1, v2
	v_add_co_u32_e32 v3, vcc, -1, v1
	v_addc_co_u32_e64 v44, s[0:1], 0, -1, vcc
	v_cmp_ne_u32_e32 vcc, 0, v1
	v_lshl_add_u32 v0, v2, 3, v2
	v_xor_b32_e32 v1, vcc_hi, v44
	v_add_lshl_u32 v46, v16, v0, 2
	v_mov_b32_e32 v0, 0
	v_and_b32_e32 v44, exec_hi, v1
	v_lshlrev_b32_e32 v1, 30, v2
	v_xor_b32_e32 v3, vcc_lo, v3
	v_cmp_gt_i64_e32 vcc, 0, v[0:1]
	v_not_b32_e32 v1, v1
	v_ashrrev_i32_e32 v1, 31, v1
	v_and_b32_e32 v3, exec_lo, v3
	v_xor_b32_e32 v45, vcc_hi, v1
	v_xor_b32_e32 v1, vcc_lo, v1
	v_and_b32_e32 v3, v3, v1
	v_lshlrev_b32_e32 v1, 29, v2
	v_cmp_gt_i64_e32 vcc, 0, v[0:1]
	v_not_b32_e32 v1, v1
	v_ashrrev_i32_e32 v1, 31, v1
	v_and_b32_e32 v44, v44, v45
	v_xor_b32_e32 v45, vcc_hi, v1
	v_xor_b32_e32 v1, vcc_lo, v1
	v_and_b32_e32 v3, v3, v1
	v_lshlrev_b32_e32 v1, 28, v2
	v_cmp_gt_i64_e32 vcc, 0, v[0:1]
	v_not_b32_e32 v1, v1
	v_ashrrev_i32_e32 v1, 31, v1
	v_and_b32_e32 v44, v44, v45
	;; [unrolled: 8-line block ×5, first 2 shown]
	v_xor_b32_e32 v45, vcc_hi, v1
	v_xor_b32_e32 v1, vcc_lo, v1
	v_and_b32_e32 v44, v44, v45
	v_and_b32_e32 v45, v3, v1
	v_lshlrev_b32_e32 v1, 24, v2
	v_cmp_gt_i64_e32 vcc, 0, v[0:1]
	v_not_b32_e32 v1, v1
	v_ashrrev_i32_e32 v1, 31, v1
	v_xor_b32_e32 v2, vcc_hi, v1
	v_xor_b32_e32 v1, vcc_lo, v1
	; wave barrier
	ds_read_b32 v42, v46 offset:32
	v_and_b32_e32 v3, v44, v2
	v_and_b32_e32 v2, v45, v1
	v_mbcnt_lo_u32_b32 v1, v2, 0
	v_mbcnt_hi_u32_b32 v44, v3, v1
	v_cmp_eq_u32_e32 vcc, 0, v44
	v_cmp_ne_u64_e64 s[0:1], 0, v[2:3]
	s_and_b64 s[4:5], s[0:1], vcc
	; wave barrier
	s_and_saveexec_b64 s[0:1], s[4:5]
	s_cbranch_execz .LBB215_151
; %bb.150:
	v_bcnt_u32_b32 v1, v2, 0
	v_bcnt_u32_b32 v1, v3, v1
	s_waitcnt lgkmcnt(0)
	v_add_u32_e32 v1, v42, v1
	ds_write_b32 v46, v1 offset:32
.LBB215_151:
	s_or_b64 exec, exec, s[0:1]
	s_waitcnt vmcnt(8)
	v_lshrrev_b32_e32 v1, s52, v28
	v_and_b32_e32 v2, s16, v1
	v_lshl_add_u32 v1, v2, 3, v2
	v_add_lshl_u32 v49, v16, v1, 2
	v_and_b32_e32 v1, 1, v2
	v_add_co_u32_e32 v3, vcc, -1, v1
	v_addc_co_u32_e64 v47, s[0:1], 0, -1, vcc
	v_cmp_ne_u32_e32 vcc, 0, v1
	v_xor_b32_e32 v1, vcc_hi, v47
	v_and_b32_e32 v47, exec_hi, v1
	v_lshlrev_b32_e32 v1, 30, v2
	v_xor_b32_e32 v3, vcc_lo, v3
	v_cmp_gt_i64_e32 vcc, 0, v[0:1]
	v_not_b32_e32 v1, v1
	v_ashrrev_i32_e32 v1, 31, v1
	v_and_b32_e32 v3, exec_lo, v3
	v_xor_b32_e32 v48, vcc_hi, v1
	v_xor_b32_e32 v1, vcc_lo, v1
	v_and_b32_e32 v3, v3, v1
	v_lshlrev_b32_e32 v1, 29, v2
	v_cmp_gt_i64_e32 vcc, 0, v[0:1]
	v_not_b32_e32 v1, v1
	v_ashrrev_i32_e32 v1, 31, v1
	v_and_b32_e32 v47, v47, v48
	v_xor_b32_e32 v48, vcc_hi, v1
	v_xor_b32_e32 v1, vcc_lo, v1
	v_and_b32_e32 v3, v3, v1
	v_lshlrev_b32_e32 v1, 28, v2
	v_cmp_gt_i64_e32 vcc, 0, v[0:1]
	v_not_b32_e32 v1, v1
	v_ashrrev_i32_e32 v1, 31, v1
	v_and_b32_e32 v47, v47, v48
	;; [unrolled: 8-line block ×5, first 2 shown]
	v_xor_b32_e32 v48, vcc_hi, v1
	v_xor_b32_e32 v1, vcc_lo, v1
	v_and_b32_e32 v3, v3, v1
	v_lshlrev_b32_e32 v1, 24, v2
	v_cmp_gt_i64_e32 vcc, 0, v[0:1]
	v_not_b32_e32 v0, v1
	v_ashrrev_i32_e32 v0, 31, v0
	v_xor_b32_e32 v1, vcc_hi, v0
	v_xor_b32_e32 v0, vcc_lo, v0
	; wave barrier
	ds_read_b32 v45, v49 offset:32
	v_and_b32_e32 v47, v47, v48
	v_and_b32_e32 v0, v3, v0
	;; [unrolled: 1-line block ×3, first 2 shown]
	v_mbcnt_lo_u32_b32 v2, v0, 0
	v_mbcnt_hi_u32_b32 v47, v1, v2
	v_cmp_eq_u32_e32 vcc, 0, v47
	v_cmp_ne_u64_e64 s[0:1], 0, v[0:1]
	s_and_b64 s[4:5], s[0:1], vcc
	; wave barrier
	s_and_saveexec_b64 s[0:1], s[4:5]
	s_cbranch_execz .LBB215_153
; %bb.152:
	v_bcnt_u32_b32 v0, v0, 0
	v_bcnt_u32_b32 v0, v1, v0
	s_waitcnt lgkmcnt(0)
	v_add_u32_e32 v0, v45, v0
	ds_write_b32 v49, v0 offset:32
.LBB215_153:
	s_or_b64 exec, exec, s[0:1]
	s_waitcnt vmcnt(7)
	v_lshrrev_b32_e32 v0, s52, v29
	v_and_b32_e32 v2, s16, v0
	v_and_b32_e32 v1, 1, v2
	v_add_co_u32_e32 v3, vcc, -1, v1
	v_addc_co_u32_e64 v50, s[0:1], 0, -1, vcc
	v_cmp_ne_u32_e32 vcc, 0, v1
	v_lshl_add_u32 v0, v2, 3, v2
	v_xor_b32_e32 v1, vcc_hi, v50
	v_add_lshl_u32 v52, v16, v0, 2
	v_mov_b32_e32 v0, 0
	v_and_b32_e32 v50, exec_hi, v1
	v_lshlrev_b32_e32 v1, 30, v2
	v_xor_b32_e32 v3, vcc_lo, v3
	v_cmp_gt_i64_e32 vcc, 0, v[0:1]
	v_not_b32_e32 v1, v1
	v_ashrrev_i32_e32 v1, 31, v1
	v_and_b32_e32 v3, exec_lo, v3
	v_xor_b32_e32 v51, vcc_hi, v1
	v_xor_b32_e32 v1, vcc_lo, v1
	v_and_b32_e32 v3, v3, v1
	v_lshlrev_b32_e32 v1, 29, v2
	v_cmp_gt_i64_e32 vcc, 0, v[0:1]
	v_not_b32_e32 v1, v1
	v_ashrrev_i32_e32 v1, 31, v1
	v_and_b32_e32 v50, v50, v51
	v_xor_b32_e32 v51, vcc_hi, v1
	v_xor_b32_e32 v1, vcc_lo, v1
	v_and_b32_e32 v3, v3, v1
	v_lshlrev_b32_e32 v1, 28, v2
	v_cmp_gt_i64_e32 vcc, 0, v[0:1]
	v_not_b32_e32 v1, v1
	v_ashrrev_i32_e32 v1, 31, v1
	v_and_b32_e32 v50, v50, v51
	;; [unrolled: 8-line block ×5, first 2 shown]
	v_xor_b32_e32 v51, vcc_hi, v1
	v_xor_b32_e32 v1, vcc_lo, v1
	v_and_b32_e32 v50, v50, v51
	v_and_b32_e32 v51, v3, v1
	v_lshlrev_b32_e32 v1, 24, v2
	v_cmp_gt_i64_e32 vcc, 0, v[0:1]
	v_not_b32_e32 v1, v1
	v_ashrrev_i32_e32 v1, 31, v1
	v_xor_b32_e32 v2, vcc_hi, v1
	v_xor_b32_e32 v1, vcc_lo, v1
	; wave barrier
	ds_read_b32 v48, v52 offset:32
	v_and_b32_e32 v3, v50, v2
	v_and_b32_e32 v2, v51, v1
	v_mbcnt_lo_u32_b32 v1, v2, 0
	v_mbcnt_hi_u32_b32 v50, v3, v1
	v_cmp_eq_u32_e32 vcc, 0, v50
	v_cmp_ne_u64_e64 s[0:1], 0, v[2:3]
	s_and_b64 s[4:5], s[0:1], vcc
	; wave barrier
	s_and_saveexec_b64 s[0:1], s[4:5]
	s_cbranch_execz .LBB215_155
; %bb.154:
	v_bcnt_u32_b32 v1, v2, 0
	v_bcnt_u32_b32 v1, v3, v1
	s_waitcnt lgkmcnt(0)
	v_add_u32_e32 v1, v48, v1
	ds_write_b32 v52, v1 offset:32
.LBB215_155:
	s_or_b64 exec, exec, s[0:1]
	s_waitcnt vmcnt(6)
	v_lshrrev_b32_e32 v1, s52, v30
	v_and_b32_e32 v2, s16, v1
	v_lshl_add_u32 v1, v2, 3, v2
	v_add_lshl_u32 v55, v16, v1, 2
	v_and_b32_e32 v1, 1, v2
	v_add_co_u32_e32 v3, vcc, -1, v1
	v_addc_co_u32_e64 v53, s[0:1], 0, -1, vcc
	v_cmp_ne_u32_e32 vcc, 0, v1
	v_xor_b32_e32 v1, vcc_hi, v53
	v_and_b32_e32 v53, exec_hi, v1
	v_lshlrev_b32_e32 v1, 30, v2
	v_xor_b32_e32 v3, vcc_lo, v3
	v_cmp_gt_i64_e32 vcc, 0, v[0:1]
	v_not_b32_e32 v1, v1
	v_ashrrev_i32_e32 v1, 31, v1
	v_and_b32_e32 v3, exec_lo, v3
	v_xor_b32_e32 v54, vcc_hi, v1
	v_xor_b32_e32 v1, vcc_lo, v1
	v_and_b32_e32 v3, v3, v1
	v_lshlrev_b32_e32 v1, 29, v2
	v_cmp_gt_i64_e32 vcc, 0, v[0:1]
	v_not_b32_e32 v1, v1
	v_ashrrev_i32_e32 v1, 31, v1
	v_and_b32_e32 v53, v53, v54
	v_xor_b32_e32 v54, vcc_hi, v1
	v_xor_b32_e32 v1, vcc_lo, v1
	v_and_b32_e32 v3, v3, v1
	v_lshlrev_b32_e32 v1, 28, v2
	v_cmp_gt_i64_e32 vcc, 0, v[0:1]
	v_not_b32_e32 v1, v1
	v_ashrrev_i32_e32 v1, 31, v1
	v_and_b32_e32 v53, v53, v54
	;; [unrolled: 8-line block ×5, first 2 shown]
	v_xor_b32_e32 v54, vcc_hi, v1
	v_xor_b32_e32 v1, vcc_lo, v1
	v_and_b32_e32 v3, v3, v1
	v_lshlrev_b32_e32 v1, 24, v2
	v_cmp_gt_i64_e32 vcc, 0, v[0:1]
	v_not_b32_e32 v0, v1
	v_ashrrev_i32_e32 v0, 31, v0
	v_xor_b32_e32 v1, vcc_hi, v0
	v_xor_b32_e32 v0, vcc_lo, v0
	; wave barrier
	ds_read_b32 v51, v55 offset:32
	v_and_b32_e32 v53, v53, v54
	v_and_b32_e32 v0, v3, v0
	;; [unrolled: 1-line block ×3, first 2 shown]
	v_mbcnt_lo_u32_b32 v2, v0, 0
	v_mbcnt_hi_u32_b32 v53, v1, v2
	v_cmp_eq_u32_e32 vcc, 0, v53
	v_cmp_ne_u64_e64 s[0:1], 0, v[0:1]
	s_and_b64 s[4:5], s[0:1], vcc
	; wave barrier
	s_and_saveexec_b64 s[0:1], s[4:5]
	s_cbranch_execz .LBB215_157
; %bb.156:
	v_bcnt_u32_b32 v0, v0, 0
	v_bcnt_u32_b32 v0, v1, v0
	s_waitcnt lgkmcnt(0)
	v_add_u32_e32 v0, v51, v0
	ds_write_b32 v55, v0 offset:32
.LBB215_157:
	s_or_b64 exec, exec, s[0:1]
	s_waitcnt vmcnt(5)
	v_lshrrev_b32_e32 v0, s52, v31
	v_and_b32_e32 v2, s16, v0
	v_and_b32_e32 v1, 1, v2
	v_add_co_u32_e32 v3, vcc, -1, v1
	v_addc_co_u32_e64 v56, s[0:1], 0, -1, vcc
	v_cmp_ne_u32_e32 vcc, 0, v1
	v_lshl_add_u32 v0, v2, 3, v2
	v_xor_b32_e32 v1, vcc_hi, v56
	v_add_lshl_u32 v58, v16, v0, 2
	v_mov_b32_e32 v0, 0
	v_and_b32_e32 v56, exec_hi, v1
	v_lshlrev_b32_e32 v1, 30, v2
	v_xor_b32_e32 v3, vcc_lo, v3
	v_cmp_gt_i64_e32 vcc, 0, v[0:1]
	v_not_b32_e32 v1, v1
	v_ashrrev_i32_e32 v1, 31, v1
	v_and_b32_e32 v3, exec_lo, v3
	v_xor_b32_e32 v57, vcc_hi, v1
	v_xor_b32_e32 v1, vcc_lo, v1
	v_and_b32_e32 v3, v3, v1
	v_lshlrev_b32_e32 v1, 29, v2
	v_cmp_gt_i64_e32 vcc, 0, v[0:1]
	v_not_b32_e32 v1, v1
	v_ashrrev_i32_e32 v1, 31, v1
	v_and_b32_e32 v56, v56, v57
	v_xor_b32_e32 v57, vcc_hi, v1
	v_xor_b32_e32 v1, vcc_lo, v1
	v_and_b32_e32 v3, v3, v1
	v_lshlrev_b32_e32 v1, 28, v2
	v_cmp_gt_i64_e32 vcc, 0, v[0:1]
	v_not_b32_e32 v1, v1
	v_ashrrev_i32_e32 v1, 31, v1
	v_and_b32_e32 v56, v56, v57
	;; [unrolled: 8-line block ×5, first 2 shown]
	v_xor_b32_e32 v57, vcc_hi, v1
	v_xor_b32_e32 v1, vcc_lo, v1
	v_and_b32_e32 v56, v56, v57
	v_and_b32_e32 v57, v3, v1
	v_lshlrev_b32_e32 v1, 24, v2
	v_cmp_gt_i64_e32 vcc, 0, v[0:1]
	v_not_b32_e32 v1, v1
	v_ashrrev_i32_e32 v1, 31, v1
	v_xor_b32_e32 v2, vcc_hi, v1
	v_xor_b32_e32 v1, vcc_lo, v1
	; wave barrier
	ds_read_b32 v54, v58 offset:32
	v_and_b32_e32 v3, v56, v2
	v_and_b32_e32 v2, v57, v1
	v_mbcnt_lo_u32_b32 v1, v2, 0
	v_mbcnt_hi_u32_b32 v56, v3, v1
	v_cmp_eq_u32_e32 vcc, 0, v56
	v_cmp_ne_u64_e64 s[0:1], 0, v[2:3]
	s_and_b64 s[4:5], s[0:1], vcc
	; wave barrier
	s_and_saveexec_b64 s[0:1], s[4:5]
	s_cbranch_execz .LBB215_159
; %bb.158:
	v_bcnt_u32_b32 v1, v2, 0
	v_bcnt_u32_b32 v1, v3, v1
	s_waitcnt lgkmcnt(0)
	v_add_u32_e32 v1, v54, v1
	ds_write_b32 v58, v1 offset:32
.LBB215_159:
	s_or_b64 exec, exec, s[0:1]
	s_waitcnt vmcnt(4)
	v_lshrrev_b32_e32 v1, s52, v32
	v_and_b32_e32 v2, s16, v1
	v_lshl_add_u32 v1, v2, 3, v2
	v_add_lshl_u32 v61, v16, v1, 2
	v_and_b32_e32 v1, 1, v2
	v_add_co_u32_e32 v3, vcc, -1, v1
	v_addc_co_u32_e64 v59, s[0:1], 0, -1, vcc
	v_cmp_ne_u32_e32 vcc, 0, v1
	v_xor_b32_e32 v1, vcc_hi, v59
	v_and_b32_e32 v59, exec_hi, v1
	v_lshlrev_b32_e32 v1, 30, v2
	v_xor_b32_e32 v3, vcc_lo, v3
	v_cmp_gt_i64_e32 vcc, 0, v[0:1]
	v_not_b32_e32 v1, v1
	v_ashrrev_i32_e32 v1, 31, v1
	v_and_b32_e32 v3, exec_lo, v3
	v_xor_b32_e32 v60, vcc_hi, v1
	v_xor_b32_e32 v1, vcc_lo, v1
	v_and_b32_e32 v3, v3, v1
	v_lshlrev_b32_e32 v1, 29, v2
	v_cmp_gt_i64_e32 vcc, 0, v[0:1]
	v_not_b32_e32 v1, v1
	v_ashrrev_i32_e32 v1, 31, v1
	v_and_b32_e32 v59, v59, v60
	v_xor_b32_e32 v60, vcc_hi, v1
	v_xor_b32_e32 v1, vcc_lo, v1
	v_and_b32_e32 v3, v3, v1
	v_lshlrev_b32_e32 v1, 28, v2
	v_cmp_gt_i64_e32 vcc, 0, v[0:1]
	v_not_b32_e32 v1, v1
	v_ashrrev_i32_e32 v1, 31, v1
	v_and_b32_e32 v59, v59, v60
	;; [unrolled: 8-line block ×5, first 2 shown]
	v_xor_b32_e32 v60, vcc_hi, v1
	v_xor_b32_e32 v1, vcc_lo, v1
	v_and_b32_e32 v3, v3, v1
	v_lshlrev_b32_e32 v1, 24, v2
	v_cmp_gt_i64_e32 vcc, 0, v[0:1]
	v_not_b32_e32 v0, v1
	v_ashrrev_i32_e32 v0, 31, v0
	v_xor_b32_e32 v1, vcc_hi, v0
	v_xor_b32_e32 v0, vcc_lo, v0
	; wave barrier
	ds_read_b32 v57, v61 offset:32
	v_and_b32_e32 v59, v59, v60
	v_and_b32_e32 v0, v3, v0
	;; [unrolled: 1-line block ×3, first 2 shown]
	v_mbcnt_lo_u32_b32 v2, v0, 0
	v_mbcnt_hi_u32_b32 v59, v1, v2
	v_cmp_eq_u32_e32 vcc, 0, v59
	v_cmp_ne_u64_e64 s[0:1], 0, v[0:1]
	s_and_b64 s[4:5], s[0:1], vcc
	; wave barrier
	s_and_saveexec_b64 s[0:1], s[4:5]
	s_cbranch_execz .LBB215_161
; %bb.160:
	v_bcnt_u32_b32 v0, v0, 0
	v_bcnt_u32_b32 v0, v1, v0
	s_waitcnt lgkmcnt(0)
	v_add_u32_e32 v0, v57, v0
	ds_write_b32 v61, v0 offset:32
.LBB215_161:
	s_or_b64 exec, exec, s[0:1]
	s_waitcnt vmcnt(3)
	v_lshrrev_b32_e32 v0, s52, v33
	v_and_b32_e32 v2, s16, v0
	v_and_b32_e32 v1, 1, v2
	v_add_co_u32_e32 v3, vcc, -1, v1
	v_addc_co_u32_e64 v62, s[0:1], 0, -1, vcc
	v_cmp_ne_u32_e32 vcc, 0, v1
	v_lshl_add_u32 v0, v2, 3, v2
	v_xor_b32_e32 v1, vcc_hi, v62
	v_add_lshl_u32 v64, v16, v0, 2
	v_mov_b32_e32 v0, 0
	v_and_b32_e32 v62, exec_hi, v1
	v_lshlrev_b32_e32 v1, 30, v2
	v_xor_b32_e32 v3, vcc_lo, v3
	v_cmp_gt_i64_e32 vcc, 0, v[0:1]
	v_not_b32_e32 v1, v1
	v_ashrrev_i32_e32 v1, 31, v1
	v_and_b32_e32 v3, exec_lo, v3
	v_xor_b32_e32 v63, vcc_hi, v1
	v_xor_b32_e32 v1, vcc_lo, v1
	v_and_b32_e32 v3, v3, v1
	v_lshlrev_b32_e32 v1, 29, v2
	v_cmp_gt_i64_e32 vcc, 0, v[0:1]
	v_not_b32_e32 v1, v1
	v_ashrrev_i32_e32 v1, 31, v1
	v_and_b32_e32 v62, v62, v63
	v_xor_b32_e32 v63, vcc_hi, v1
	v_xor_b32_e32 v1, vcc_lo, v1
	v_and_b32_e32 v3, v3, v1
	v_lshlrev_b32_e32 v1, 28, v2
	v_cmp_gt_i64_e32 vcc, 0, v[0:1]
	v_not_b32_e32 v1, v1
	v_ashrrev_i32_e32 v1, 31, v1
	v_and_b32_e32 v62, v62, v63
	;; [unrolled: 8-line block ×5, first 2 shown]
	v_xor_b32_e32 v63, vcc_hi, v1
	v_xor_b32_e32 v1, vcc_lo, v1
	v_and_b32_e32 v62, v62, v63
	v_and_b32_e32 v63, v3, v1
	v_lshlrev_b32_e32 v1, 24, v2
	v_cmp_gt_i64_e32 vcc, 0, v[0:1]
	v_not_b32_e32 v1, v1
	v_ashrrev_i32_e32 v1, 31, v1
	v_xor_b32_e32 v2, vcc_hi, v1
	v_xor_b32_e32 v1, vcc_lo, v1
	; wave barrier
	ds_read_b32 v60, v64 offset:32
	v_and_b32_e32 v3, v62, v2
	v_and_b32_e32 v2, v63, v1
	v_mbcnt_lo_u32_b32 v1, v2, 0
	v_mbcnt_hi_u32_b32 v62, v3, v1
	v_cmp_eq_u32_e32 vcc, 0, v62
	v_cmp_ne_u64_e64 s[0:1], 0, v[2:3]
	s_and_b64 s[4:5], s[0:1], vcc
	; wave barrier
	s_and_saveexec_b64 s[0:1], s[4:5]
	s_cbranch_execz .LBB215_163
; %bb.162:
	v_bcnt_u32_b32 v1, v2, 0
	v_bcnt_u32_b32 v1, v3, v1
	s_waitcnt lgkmcnt(0)
	v_add_u32_e32 v1, v60, v1
	ds_write_b32 v64, v1 offset:32
.LBB215_163:
	s_or_b64 exec, exec, s[0:1]
	s_waitcnt vmcnt(2)
	v_lshrrev_b32_e32 v1, s52, v34
	v_and_b32_e32 v2, s16, v1
	v_lshl_add_u32 v1, v2, 3, v2
	v_add_lshl_u32 v67, v16, v1, 2
	v_and_b32_e32 v1, 1, v2
	v_add_co_u32_e32 v3, vcc, -1, v1
	v_addc_co_u32_e64 v65, s[0:1], 0, -1, vcc
	v_cmp_ne_u32_e32 vcc, 0, v1
	v_xor_b32_e32 v1, vcc_hi, v65
	v_and_b32_e32 v65, exec_hi, v1
	v_lshlrev_b32_e32 v1, 30, v2
	v_xor_b32_e32 v3, vcc_lo, v3
	v_cmp_gt_i64_e32 vcc, 0, v[0:1]
	v_not_b32_e32 v1, v1
	v_ashrrev_i32_e32 v1, 31, v1
	v_and_b32_e32 v3, exec_lo, v3
	v_xor_b32_e32 v66, vcc_hi, v1
	v_xor_b32_e32 v1, vcc_lo, v1
	v_and_b32_e32 v3, v3, v1
	v_lshlrev_b32_e32 v1, 29, v2
	v_cmp_gt_i64_e32 vcc, 0, v[0:1]
	v_not_b32_e32 v1, v1
	v_ashrrev_i32_e32 v1, 31, v1
	v_and_b32_e32 v65, v65, v66
	v_xor_b32_e32 v66, vcc_hi, v1
	v_xor_b32_e32 v1, vcc_lo, v1
	v_and_b32_e32 v3, v3, v1
	v_lshlrev_b32_e32 v1, 28, v2
	v_cmp_gt_i64_e32 vcc, 0, v[0:1]
	v_not_b32_e32 v1, v1
	v_ashrrev_i32_e32 v1, 31, v1
	v_and_b32_e32 v65, v65, v66
	;; [unrolled: 8-line block ×5, first 2 shown]
	v_xor_b32_e32 v66, vcc_hi, v1
	v_xor_b32_e32 v1, vcc_lo, v1
	v_and_b32_e32 v3, v3, v1
	v_lshlrev_b32_e32 v1, 24, v2
	v_cmp_gt_i64_e32 vcc, 0, v[0:1]
	v_not_b32_e32 v0, v1
	v_ashrrev_i32_e32 v0, 31, v0
	v_xor_b32_e32 v1, vcc_hi, v0
	v_xor_b32_e32 v0, vcc_lo, v0
	; wave barrier
	ds_read_b32 v63, v67 offset:32
	v_and_b32_e32 v65, v65, v66
	v_and_b32_e32 v0, v3, v0
	;; [unrolled: 1-line block ×3, first 2 shown]
	v_mbcnt_lo_u32_b32 v2, v0, 0
	v_mbcnt_hi_u32_b32 v65, v1, v2
	v_cmp_eq_u32_e32 vcc, 0, v65
	v_cmp_ne_u64_e64 s[0:1], 0, v[0:1]
	s_and_b64 s[4:5], s[0:1], vcc
	; wave barrier
	s_and_saveexec_b64 s[0:1], s[4:5]
	s_cbranch_execz .LBB215_165
; %bb.164:
	v_bcnt_u32_b32 v0, v0, 0
	v_bcnt_u32_b32 v0, v1, v0
	s_waitcnt lgkmcnt(0)
	v_add_u32_e32 v0, v63, v0
	ds_write_b32 v67, v0 offset:32
.LBB215_165:
	s_or_b64 exec, exec, s[0:1]
	s_waitcnt vmcnt(1)
	v_lshrrev_b32_e32 v0, s52, v35
	v_and_b32_e32 v2, s16, v0
	v_and_b32_e32 v1, 1, v2
	v_add_co_u32_e32 v3, vcc, -1, v1
	v_addc_co_u32_e64 v68, s[0:1], 0, -1, vcc
	v_cmp_ne_u32_e32 vcc, 0, v1
	v_lshl_add_u32 v0, v2, 3, v2
	v_xor_b32_e32 v1, vcc_hi, v68
	v_add_lshl_u32 v69, v16, v0, 2
	v_mov_b32_e32 v0, 0
	v_and_b32_e32 v68, exec_hi, v1
	v_lshlrev_b32_e32 v1, 30, v2
	v_xor_b32_e32 v3, vcc_lo, v3
	v_cmp_gt_i64_e32 vcc, 0, v[0:1]
	v_not_b32_e32 v1, v1
	v_ashrrev_i32_e32 v1, 31, v1
	v_and_b32_e32 v3, exec_lo, v3
	v_xor_b32_e32 v70, vcc_hi, v1
	v_xor_b32_e32 v1, vcc_lo, v1
	v_and_b32_e32 v3, v3, v1
	v_lshlrev_b32_e32 v1, 29, v2
	v_cmp_gt_i64_e32 vcc, 0, v[0:1]
	v_not_b32_e32 v1, v1
	v_ashrrev_i32_e32 v1, 31, v1
	v_and_b32_e32 v68, v68, v70
	v_xor_b32_e32 v70, vcc_hi, v1
	v_xor_b32_e32 v1, vcc_lo, v1
	v_and_b32_e32 v3, v3, v1
	v_lshlrev_b32_e32 v1, 28, v2
	v_cmp_gt_i64_e32 vcc, 0, v[0:1]
	v_not_b32_e32 v1, v1
	v_ashrrev_i32_e32 v1, 31, v1
	v_and_b32_e32 v68, v68, v70
	v_xor_b32_e32 v70, vcc_hi, v1
	v_xor_b32_e32 v1, vcc_lo, v1
	v_and_b32_e32 v3, v3, v1
	v_lshlrev_b32_e32 v1, 27, v2
	v_cmp_gt_i64_e32 vcc, 0, v[0:1]
	v_not_b32_e32 v1, v1
	v_ashrrev_i32_e32 v1, 31, v1
	v_and_b32_e32 v68, v68, v70
	v_xor_b32_e32 v70, vcc_hi, v1
	v_xor_b32_e32 v1, vcc_lo, v1
	v_and_b32_e32 v3, v3, v1
	v_lshlrev_b32_e32 v1, 26, v2
	v_cmp_gt_i64_e32 vcc, 0, v[0:1]
	v_not_b32_e32 v1, v1
	v_ashrrev_i32_e32 v1, 31, v1
	v_and_b32_e32 v68, v68, v70
	v_xor_b32_e32 v70, vcc_hi, v1
	v_xor_b32_e32 v1, vcc_lo, v1
	v_and_b32_e32 v3, v3, v1
	v_lshlrev_b32_e32 v1, 25, v2
	v_cmp_gt_i64_e32 vcc, 0, v[0:1]
	v_not_b32_e32 v1, v1
	v_ashrrev_i32_e32 v1, 31, v1
	v_and_b32_e32 v68, v68, v70
	v_xor_b32_e32 v70, vcc_hi, v1
	v_xor_b32_e32 v1, vcc_lo, v1
	v_and_b32_e32 v68, v68, v70
	v_and_b32_e32 v70, v3, v1
	v_lshlrev_b32_e32 v1, 24, v2
	v_cmp_gt_i64_e32 vcc, 0, v[0:1]
	v_not_b32_e32 v1, v1
	v_ashrrev_i32_e32 v1, 31, v1
	v_xor_b32_e32 v2, vcc_hi, v1
	v_xor_b32_e32 v1, vcc_lo, v1
	; wave barrier
	ds_read_b32 v66, v69 offset:32
	v_and_b32_e32 v3, v68, v2
	v_and_b32_e32 v2, v70, v1
	v_mbcnt_lo_u32_b32 v1, v2, 0
	v_mbcnt_hi_u32_b32 v68, v3, v1
	v_cmp_eq_u32_e32 vcc, 0, v68
	v_cmp_ne_u64_e64 s[0:1], 0, v[2:3]
	s_and_b64 s[4:5], s[0:1], vcc
	; wave barrier
	s_and_saveexec_b64 s[0:1], s[4:5]
	s_cbranch_execz .LBB215_167
; %bb.166:
	v_bcnt_u32_b32 v1, v2, 0
	v_bcnt_u32_b32 v1, v3, v1
	s_waitcnt lgkmcnt(0)
	v_add_u32_e32 v1, v66, v1
	ds_write_b32 v69, v1 offset:32
.LBB215_167:
	s_or_b64 exec, exec, s[0:1]
	s_waitcnt vmcnt(0)
	v_lshrrev_b32_e32 v1, s52, v36
	v_and_b32_e32 v2, s16, v1
	v_lshl_add_u32 v1, v2, 3, v2
	v_add_lshl_u32 v72, v16, v1, 2
	v_and_b32_e32 v1, 1, v2
	v_add_co_u32_e32 v3, vcc, -1, v1
	v_addc_co_u32_e64 v70, s[0:1], 0, -1, vcc
	v_cmp_ne_u32_e32 vcc, 0, v1
	v_xor_b32_e32 v1, vcc_hi, v70
	v_and_b32_e32 v70, exec_hi, v1
	v_lshlrev_b32_e32 v1, 30, v2
	v_xor_b32_e32 v3, vcc_lo, v3
	v_cmp_gt_i64_e32 vcc, 0, v[0:1]
	v_not_b32_e32 v1, v1
	v_ashrrev_i32_e32 v1, 31, v1
	v_and_b32_e32 v3, exec_lo, v3
	v_xor_b32_e32 v71, vcc_hi, v1
	v_xor_b32_e32 v1, vcc_lo, v1
	v_and_b32_e32 v3, v3, v1
	v_lshlrev_b32_e32 v1, 29, v2
	v_cmp_gt_i64_e32 vcc, 0, v[0:1]
	v_not_b32_e32 v1, v1
	v_ashrrev_i32_e32 v1, 31, v1
	v_and_b32_e32 v70, v70, v71
	v_xor_b32_e32 v71, vcc_hi, v1
	v_xor_b32_e32 v1, vcc_lo, v1
	v_and_b32_e32 v3, v3, v1
	v_lshlrev_b32_e32 v1, 28, v2
	v_cmp_gt_i64_e32 vcc, 0, v[0:1]
	v_not_b32_e32 v1, v1
	v_ashrrev_i32_e32 v1, 31, v1
	v_and_b32_e32 v70, v70, v71
	;; [unrolled: 8-line block ×5, first 2 shown]
	v_xor_b32_e32 v71, vcc_hi, v1
	v_xor_b32_e32 v1, vcc_lo, v1
	v_and_b32_e32 v3, v3, v1
	v_lshlrev_b32_e32 v1, 24, v2
	v_cmp_gt_i64_e32 vcc, 0, v[0:1]
	v_not_b32_e32 v0, v1
	v_ashrrev_i32_e32 v0, 31, v0
	v_xor_b32_e32 v1, vcc_hi, v0
	v_xor_b32_e32 v0, vcc_lo, v0
	; wave barrier
	ds_read_b32 v16, v72 offset:32
	v_and_b32_e32 v70, v70, v71
	v_and_b32_e32 v0, v3, v0
	v_and_b32_e32 v1, v70, v1
	v_mbcnt_lo_u32_b32 v2, v0, 0
	v_mbcnt_hi_u32_b32 v71, v1, v2
	v_cmp_eq_u32_e32 vcc, 0, v71
	v_cmp_ne_u64_e64 s[0:1], 0, v[0:1]
	v_add_u32_e32 v73, 32, v5
	s_and_b64 s[4:5], s[0:1], vcc
	; wave barrier
	s_and_saveexec_b64 s[0:1], s[4:5]
	s_cbranch_execz .LBB215_169
; %bb.168:
	v_bcnt_u32_b32 v0, v0, 0
	v_bcnt_u32_b32 v0, v1, v0
	s_waitcnt lgkmcnt(0)
	v_add_u32_e32 v0, v16, v0
	ds_write_b32 v72, v0 offset:32
.LBB215_169:
	s_or_b64 exec, exec, s[0:1]
	; wave barrier
	s_waitcnt lgkmcnt(0)
	s_barrier
	ds_read2_b32 v[2:3], v5 offset0:8 offset1:9
	ds_read2_b32 v[0:1], v73 offset0:2 offset1:3
	ds_read_b32 v70, v73 offset:16
	s_waitcnt lgkmcnt(1)
	v_add3_u32 v74, v3, v2, v0
	s_waitcnt lgkmcnt(0)
	v_add3_u32 v70, v74, v1, v70
	v_and_b32_e32 v74, 15, v4
	v_cmp_ne_u32_e32 vcc, 0, v74
	v_mov_b32_dpp v75, v70 row_shr:1 row_mask:0xf bank_mask:0xf
	v_cndmask_b32_e32 v75, 0, v75, vcc
	v_add_u32_e32 v70, v75, v70
	v_cmp_lt_u32_e32 vcc, 1, v74
	s_nop 0
	v_mov_b32_dpp v75, v70 row_shr:2 row_mask:0xf bank_mask:0xf
	v_cndmask_b32_e32 v75, 0, v75, vcc
	v_add_u32_e32 v70, v70, v75
	v_cmp_lt_u32_e32 vcc, 3, v74
	s_nop 0
	;; [unrolled: 5-line block ×3, first 2 shown]
	v_mov_b32_dpp v75, v70 row_shr:8 row_mask:0xf bank_mask:0xf
	v_cndmask_b32_e32 v74, 0, v75, vcc
	v_add_u32_e32 v70, v70, v74
	v_bfe_i32 v75, v4, 4, 1
	v_cmp_lt_u32_e32 vcc, 31, v4
	v_mov_b32_dpp v74, v70 row_bcast:15 row_mask:0xf bank_mask:0xf
	v_and_b32_e32 v74, v75, v74
	v_add_u32_e32 v70, v70, v74
	v_lshrrev_b32_e32 v75, 6, v18
	s_nop 0
	v_mov_b32_dpp v74, v70 row_bcast:31 row_mask:0xf bank_mask:0xf
	v_cndmask_b32_e32 v74, 0, v74, vcc
	v_add_u32_e32 v74, v70, v74
	v_and_b32_e32 v70, 0x3c0, v18
	v_min_u32_e32 v70, 0x1c0, v70
	v_or_b32_e32 v70, 63, v70
	v_cmp_eq_u32_e32 vcc, v70, v18
	s_and_saveexec_b64 s[0:1], vcc
	s_cbranch_execz .LBB215_171
; %bb.170:
	v_lshlrev_b32_e32 v70, 2, v75
	ds_write_b32 v70, v74
.LBB215_171:
	s_or_b64 exec, exec, s[0:1]
	v_cmp_gt_u32_e32 vcc, 8, v18
	v_lshlrev_b32_e32 v70, 2, v18
	s_waitcnt lgkmcnt(0)
	s_barrier
	s_and_saveexec_b64 s[0:1], vcc
	s_cbranch_execz .LBB215_173
; %bb.172:
	ds_read_b32 v76, v70
	v_and_b32_e32 v77, 7, v4
	v_cmp_ne_u32_e32 vcc, 0, v77
	s_waitcnt lgkmcnt(0)
	v_mov_b32_dpp v78, v76 row_shr:1 row_mask:0xf bank_mask:0xf
	v_cndmask_b32_e32 v78, 0, v78, vcc
	v_add_u32_e32 v76, v78, v76
	v_cmp_lt_u32_e32 vcc, 1, v77
	s_nop 0
	v_mov_b32_dpp v78, v76 row_shr:2 row_mask:0xf bank_mask:0xf
	v_cndmask_b32_e32 v78, 0, v78, vcc
	v_add_u32_e32 v76, v76, v78
	v_cmp_lt_u32_e32 vcc, 3, v77
	s_nop 0
	v_mov_b32_dpp v78, v76 row_shr:4 row_mask:0xf bank_mask:0xf
	v_cndmask_b32_e32 v77, 0, v78, vcc
	v_add_u32_e32 v76, v76, v77
	ds_write_b32 v70, v76
.LBB215_173:
	s_or_b64 exec, exec, s[0:1]
	v_cmp_lt_u32_e32 vcc, 63, v18
	v_mov_b32_e32 v76, 0
	s_waitcnt lgkmcnt(0)
	s_barrier
	s_and_saveexec_b64 s[0:1], vcc
	s_cbranch_execz .LBB215_175
; %bb.174:
	v_lshl_add_u32 v75, v75, 2, -4
	ds_read_b32 v76, v75
.LBB215_175:
	s_or_b64 exec, exec, s[0:1]
	v_add_u32_e32 v75, -1, v4
	v_and_b32_e32 v77, 64, v4
	v_cmp_lt_i32_e32 vcc, v75, v77
	v_cndmask_b32_e32 v75, v75, v4, vcc
	s_waitcnt lgkmcnt(0)
	v_add_u32_e32 v74, v76, v74
	v_lshlrev_b32_e32 v75, 2, v75
	ds_bpermute_b32 v74, v75, v74
	v_cmp_eq_u32_e32 vcc, 0, v4
	s_movk_i32 s0, 0x100
	s_waitcnt lgkmcnt(0)
	v_cndmask_b32_e32 v4, v74, v76, vcc
	v_cmp_ne_u32_e32 vcc, 0, v18
	v_cndmask_b32_e32 v4, 0, v4, vcc
	v_add_u32_e32 v2, v4, v2
	v_add_u32_e32 v3, v2, v3
	;; [unrolled: 1-line block ×4, first 2 shown]
	ds_write2_b32 v5, v4, v2 offset0:8 offset1:9
	ds_write2_b32 v73, v3, v0 offset0:2 offset1:3
	ds_write_b32 v73, v1 offset:16
	s_waitcnt lgkmcnt(0)
	s_barrier
	ds_read_b32 v74, v9 offset:32
	ds_read_b32 v9, v11 offset:32
	;; [unrolled: 1-line block ×16, first 2 shown]
	v_cmp_gt_u32_e32 vcc, s0, v18
                                        ; implicit-def: $vgpr52
                                        ; implicit-def: $vgpr55
	s_and_saveexec_b64 s[4:5], vcc
	s_cbranch_execz .LBB215_179
; %bb.176:
	v_mul_u32_u24_e32 v0, 9, v18
	v_lshlrev_b32_e32 v1, 2, v0
	ds_read_b32 v52, v1 offset:32
	s_movk_i32 s0, 0xff
	v_cmp_ne_u32_e64 s[0:1], s0, v18
	v_mov_b32_e32 v0, 0x2000
	s_and_saveexec_b64 s[10:11], s[0:1]
	s_cbranch_execz .LBB215_178
; %bb.177:
	ds_read_b32 v0, v1 offset:68
.LBB215_178:
	s_or_b64 exec, exec, s[10:11]
	s_waitcnt lgkmcnt(0)
	v_sub_u32_e32 v55, v0, v52
.LBB215_179:
	s_or_b64 exec, exec, s[4:5]
	s_waitcnt lgkmcnt(0)
	s_barrier
	s_and_saveexec_b64 s[4:5], vcc
	s_cbranch_execz .LBB215_189
; %bb.180:
	v_lshl_or_b32 v0, s6, 8, v18
	v_mov_b32_e32 v1, 0
	v_lshlrev_b64 v[2:3], 2, v[0:1]
	v_mov_b32_e32 v37, s57
	v_add_co_u32_e64 v2, s[0:1], s56, v2
	v_addc_co_u32_e64 v3, s[0:1], v37, v3, s[0:1]
	v_or_b32_e32 v0, 2.0, v55
	s_mov_b64 s[10:11], 0
	s_brev_b32 s17, 1
	s_mov_b32 s18, s6
	v_mov_b32_e32 v58, 0
	global_store_dword v[2:3], v0, off
                                        ; implicit-def: $sgpr0_sgpr1
	s_branch .LBB215_183
.LBB215_181:                            ;   in Loop: Header=BB215_183 Depth=1
	s_or_b64 exec, exec, s[14:15]
.LBB215_182:                            ;   in Loop: Header=BB215_183 Depth=1
	s_or_b64 exec, exec, s[12:13]
	v_and_b32_e32 v4, 0x3fffffff, v69
	v_add_u32_e32 v58, v4, v58
	v_cmp_eq_u32_e64 s[0:1], s17, v0
	s_and_b64 s[12:13], exec, s[0:1]
	s_or_b64 s[10:11], s[12:13], s[10:11]
	s_andn2_b64 exec, exec, s[10:11]
	s_cbranch_execz .LBB215_188
.LBB215_183:                            ; =>This Loop Header: Depth=1
                                        ;     Child Loop BB215_186 Depth 2
	s_or_b64 s[0:1], s[0:1], exec
	s_cmp_eq_u32 s18, 0
	s_cbranch_scc1 .LBB215_187
; %bb.184:                              ;   in Loop: Header=BB215_183 Depth=1
	s_add_i32 s18, s18, -1
	v_lshl_or_b32 v0, s18, 8, v18
	v_lshlrev_b64 v[4:5], 2, v[0:1]
	v_add_co_u32_e64 v4, s[0:1], s56, v4
	v_addc_co_u32_e64 v5, s[0:1], v37, v5, s[0:1]
	global_load_dword v69, v[4:5], off glc
	s_waitcnt vmcnt(0)
	v_and_b32_e32 v0, -2.0, v69
	v_cmp_eq_u32_e64 s[0:1], 0, v0
	s_and_saveexec_b64 s[12:13], s[0:1]
	s_cbranch_execz .LBB215_182
; %bb.185:                              ;   in Loop: Header=BB215_183 Depth=1
	s_mov_b64 s[14:15], 0
.LBB215_186:                            ;   Parent Loop BB215_183 Depth=1
                                        ; =>  This Inner Loop Header: Depth=2
	global_load_dword v69, v[4:5], off glc
	s_waitcnt vmcnt(0)
	v_and_b32_e32 v0, -2.0, v69
	v_cmp_ne_u32_e64 s[0:1], 0, v0
	s_or_b64 s[14:15], s[0:1], s[14:15]
	s_andn2_b64 exec, exec, s[14:15]
	s_cbranch_execnz .LBB215_186
	s_branch .LBB215_181
.LBB215_187:                            ;   in Loop: Header=BB215_183 Depth=1
                                        ; implicit-def: $sgpr18
	s_and_b64 s[12:13], exec, s[0:1]
	s_or_b64 s[10:11], s[12:13], s[10:11]
	s_andn2_b64 exec, exec, s[10:11]
	s_cbranch_execnz .LBB215_183
.LBB215_188:
	s_or_b64 exec, exec, s[10:11]
	v_add_u32_e32 v0, v58, v55
	v_or_b32_e32 v0, 0x80000000, v0
	global_store_dword v[2:3], v0, off
	global_load_dword v0, v70, s[48:49]
	v_sub_u32_e32 v1, v58, v52
	s_waitcnt vmcnt(0)
	v_add_u32_e32 v0, v1, v0
	ds_write_b32 v70, v0
.LBB215_189:
	s_or_b64 exec, exec, s[4:5]
	v_add_u32_e32 v58, v74, v6
	s_movk_i32 s4, 0x400
	v_add_u32_e32 v37, 0x400, v70
	v_add3_u32 v61, v71, v61, v16
	v_add3_u32 v64, v68, v64, v66
	;; [unrolled: 1-line block ×15, first 2 shown]
	s_mov_b32 s5, 0
	s_mov_b32 s10, 3
	s_movk_i32 s11, 0x200
	s_movk_i32 s12, 0x600
	v_mov_b32_e32 v17, 0
	v_mov_b32_e32 v38, s43
	s_mov_b32 s13, 0
                                        ; implicit-def: $vgpr0
.LBB215_190:                            ; =>This Inner Loop Header: Depth=1
	v_add_u32_e32 v16, s5, v58
	v_add_u32_e32 v39, s5, v69
	;; [unrolled: 1-line block ×16, first 2 shown]
	v_min_u32_e32 v16, 0x800, v16
	v_min_u32_e32 v39, 0x800, v39
	;; [unrolled: 1-line block ×16, first 2 shown]
	v_lshlrev_b32_e32 v16, 2, v16
	v_lshlrev_b32_e32 v39, 2, v39
	;; [unrolled: 1-line block ×16, first 2 shown]
	ds_write_b32 v16, v21 offset:1024
	ds_write_b32 v39, v22 offset:1024
	;; [unrolled: 1-line block ×16, first 2 shown]
	s_waitcnt lgkmcnt(0)
	s_barrier
	ds_read_b32 v39, v70 offset:1024
	v_add_u32_e32 v73, s13, v18
	s_add_i32 s14, s10, -3
	s_add_i32 s15, s10, -2
	;; [unrolled: 1-line block ×3, first 2 shown]
	s_waitcnt lgkmcnt(0)
	v_lshrrev_b32_e32 v16, s52, v39
	v_and_b32_e32 v42, s16, v16
	v_lshlrev_b32_e32 v16, 2, v42
	ds_read_b32 v16, v16
	s_addk_i32 s13, 0x800
	s_addk_i32 s5, 0xf800
	s_waitcnt lgkmcnt(0)
	v_add_u32_e32 v16, v73, v16
	v_lshlrev_b64 v[40:41], 2, v[16:17]
	v_add_co_u32_e64 v40, s[0:1], s42, v40
	v_addc_co_u32_e64 v41, s[0:1], v38, v41, s[0:1]
	global_store_dword v[40:41], v39, off
	s_set_gpr_idx_on s14, gpr_idx(DST)
	v_mov_b32_e32 v0, v42
	s_set_gpr_idx_off
	ds_read_b32 v39, v37 offset:2048
	s_waitcnt lgkmcnt(0)
	v_lshrrev_b32_e32 v16, s52, v39
	v_and_b32_e32 v42, s16, v16
	v_lshlrev_b32_e32 v16, 2, v42
	ds_read_b32 v16, v16
	s_waitcnt lgkmcnt(0)
	v_add3_u32 v16, v73, v16, s11
	v_lshlrev_b64 v[40:41], 2, v[16:17]
	v_add_co_u32_e64 v40, s[0:1], s42, v40
	v_addc_co_u32_e64 v41, s[0:1], v38, v41, s[0:1]
	global_store_dword v[40:41], v39, off
	s_set_gpr_idx_on s15, gpr_idx(DST)
	v_mov_b32_e32 v0, v42
	s_set_gpr_idx_off
	ds_read_b32 v39, v37 offset:4096
	s_waitcnt lgkmcnt(0)
	v_lshrrev_b32_e32 v16, s52, v39
	v_and_b32_e32 v42, s16, v16
	v_lshlrev_b32_e32 v16, 2, v42
	ds_read_b32 v16, v16
	s_waitcnt lgkmcnt(0)
	v_add3_u32 v16, v73, v16, s4
	;; [unrolled: 15-line block ×3, first 2 shown]
	v_lshlrev_b64 v[40:41], 2, v[16:17]
	v_add_co_u32_e64 v40, s[0:1], s42, v40
	v_addc_co_u32_e64 v41, s[0:1], v38, v41, s[0:1]
	global_store_dword v[40:41], v39, off
	s_set_gpr_idx_on s10, gpr_idx(DST)
	v_mov_b32_e32 v0, v42
	s_set_gpr_idx_off
	s_add_i32 s10, s10, 4
	s_cmpk_lg_i32 s5, 0xe000
	s_barrier
	s_cbranch_scc1 .LBB215_190
; %bb.191:
	s_lshl_b64 s[0:1], s[8:9], 3
	s_add_u32 s0, s44, s0
	s_addc_u32 s1, s45, s1
	v_lshlrev_b32_e32 v16, 3, v20
	v_mov_b32_e32 v17, s1
	v_add_co_u32_e64 v16, s[0:1], s0, v16
	v_addc_co_u32_e64 v17, s[0:1], 0, v17, s[0:1]
	v_lshlrev_b32_e32 v19, 3, v19
	v_add_co_u32_e64 v34, s[0:1], v16, v19
	v_addc_co_u32_e64 v35, s[0:1], 0, v17, s[0:1]
	s_movk_i32 s0, 0x1000
	v_add_co_u32_e64 v50, s[0:1], s0, v34
	v_addc_co_u32_e64 v51, s[0:1], 0, v35, s[0:1]
	global_load_dwordx2 v[16:17], v[34:35], off
	global_load_dwordx2 v[20:21], v[34:35], off offset:512
	global_load_dwordx2 v[22:23], v[34:35], off offset:1024
	;; [unrolled: 1-line block ×7, first 2 shown]
	s_nop 0
	global_load_dwordx2 v[34:35], v[50:51], off
	global_load_dwordx2 v[36:37], v[50:51], off offset:512
	global_load_dwordx2 v[38:39], v[50:51], off offset:1024
	;; [unrolled: 1-line block ×7, first 2 shown]
	v_lshlrev_b32_e32 v19, 3, v18
	s_mov_b32 s4, 0
	v_add_u32_e32 v70, 0x400, v19
	s_mov_b32 s5, 1
	s_movk_i32 s8, 0x200
	v_mov_b32_e32 v51, 0
	v_mov_b32_e32 v71, v18
	s_waitcnt vmcnt(0)
.LBB215_192:                            ; =>This Inner Loop Header: Depth=1
	v_add_u32_e32 v50, s4, v58
	v_add_u32_e32 v72, s4, v69
	;; [unrolled: 1-line block ×16, first 2 shown]
	v_min_u32_e32 v50, 0x400, v50
	s_add_i32 s0, s5, -1
	v_min_u32_e32 v72, 0x400, v72
	v_min_u32_e32 v73, 0x400, v73
	;; [unrolled: 1-line block ×15, first 2 shown]
	v_lshlrev_b32_e32 v50, 3, v50
	v_lshlrev_b32_e32 v72, 3, v72
	;; [unrolled: 1-line block ×16, first 2 shown]
	ds_write_b64 v50, v[16:17] offset:1024
	ds_write_b64 v72, v[20:21] offset:1024
	;; [unrolled: 1-line block ×16, first 2 shown]
	s_waitcnt lgkmcnt(0)
	s_barrier
	s_set_gpr_idx_on s0, gpr_idx(SRC0)
	v_mov_b32_e32 v50, v0
	s_set_gpr_idx_off
	v_lshlrev_b32_e32 v50, 2, v50
	ds_read_b32 v50, v50
	ds_read_b64 v[72:73], v19 offset:1024
	v_mov_b32_e32 v87, s47
	s_addk_i32 s4, 0xfc00
	s_waitcnt lgkmcnt(1)
	v_add_u32_e32 v50, v71, v50
	v_lshlrev_b64 v[74:75], 3, v[50:51]
	v_add_co_u32_e64 v74, s[0:1], s46, v74
	v_addc_co_u32_e64 v75, s[0:1], v87, v75, s[0:1]
	s_waitcnt lgkmcnt(0)
	global_store_dwordx2 v[74:75], v[72:73], off
	s_set_gpr_idx_on s5, gpr_idx(SRC0)
	v_mov_b32_e32 v50, v0
	s_set_gpr_idx_off
	v_lshlrev_b32_e32 v50, 2, v50
	ds_read_b32 v50, v50
	ds_read_b64 v[72:73], v70 offset:4096
	s_add_i32 s5, s5, 2
	s_cmpk_lg_i32 s4, 0xe000
	s_waitcnt lgkmcnt(1)
	v_add3_u32 v50, v71, v50, s8
	v_lshlrev_b64 v[74:75], 3, v[50:51]
	v_add_co_u32_e64 v74, s[0:1], s46, v74
	v_add_u32_e32 v71, 0x400, v71
	v_addc_co_u32_e64 v75, s[0:1], v87, v75, s[0:1]
	s_waitcnt lgkmcnt(0)
	global_store_dwordx2 v[74:75], v[72:73], off
	s_barrier
	s_cbranch_scc1 .LBB215_192
; %bb.193:
	s_add_i32 s7, s7, -1
	s_cmp_eq_u32 s7, s6
	s_cselect_b64 s[0:1], -1, 0
	s_and_b64 s[4:5], vcc, s[0:1]
                                        ; implicit-def: $vgpr2
	s_and_saveexec_b64 s[0:1], s[4:5]
; %bb.194:
	v_add_u32_e32 v2, v52, v55
	s_or_b64 s[2:3], s[2:3], exec
; %bb.195:
	s_or_b64 exec, exec, s[0:1]
.LBB215_196:
	s_and_saveexec_b64 s[0:1], s[2:3]
	s_cbranch_execnz .LBB215_198
; %bb.197:
	s_endpgm
.LBB215_198:
	v_lshlrev_b32_e32 v3, 2, v18
	ds_read_b32 v3, v3
	v_mov_b32_e32 v19, 0
	v_lshlrev_b64 v[0:1], 2, v[18:19]
	v_mov_b32_e32 v4, s51
	v_add_co_u32_e32 v0, vcc, s50, v0
	v_addc_co_u32_e32 v1, vcc, v4, v1, vcc
	s_waitcnt lgkmcnt(0)
	v_add_u32_e32 v2, v3, v2
	global_store_dword v[0:1], v2, off
	s_endpgm
	.section	.rodata,"a",@progbits
	.p2align	6, 0x0
	.amdhsa_kernel _ZN7rocprim17ROCPRIM_400000_NS6detail17trampoline_kernelINS0_14default_configENS1_35radix_sort_onesweep_config_selectorIjN6thrust23THRUST_200600_302600_NS5tupleIffNS6_9null_typeES8_S8_S8_S8_S8_S8_S8_EEEEZZNS1_29radix_sort_onesweep_iterationIS3_Lb0ENS6_6detail15normal_iteratorINS6_10device_ptrIjEEEESG_NSD_INSE_IS9_EEEESI_jNS0_19identity_decomposerENS1_16block_id_wrapperIjLb0EEEEE10hipError_tT1_PNSt15iterator_traitsISN_E10value_typeET2_T3_PNSO_IST_E10value_typeET4_T5_PSY_SZ_PNS1_23onesweep_lookback_stateEbbT6_jjT7_P12ihipStream_tbENKUlT_T0_SN_SS_E_clISG_PjSI_PS9_EEDaS16_S17_SN_SS_EUlS16_E_NS1_11comp_targetILNS1_3genE4ELNS1_11target_archE910ELNS1_3gpuE8ELNS1_3repE0EEENS1_47radix_sort_onesweep_sort_config_static_selectorELNS0_4arch9wavefront6targetE1EEEvSN_
		.amdhsa_group_segment_fixed_size 10280
		.amdhsa_private_segment_fixed_size 0
		.amdhsa_kernarg_size 344
		.amdhsa_user_sgpr_count 6
		.amdhsa_user_sgpr_private_segment_buffer 1
		.amdhsa_user_sgpr_dispatch_ptr 0
		.amdhsa_user_sgpr_queue_ptr 0
		.amdhsa_user_sgpr_kernarg_segment_ptr 1
		.amdhsa_user_sgpr_dispatch_id 0
		.amdhsa_user_sgpr_flat_scratch_init 0
		.amdhsa_user_sgpr_kernarg_preload_length 0
		.amdhsa_user_sgpr_kernarg_preload_offset 0
		.amdhsa_user_sgpr_private_segment_size 0
		.amdhsa_uses_dynamic_stack 0
		.amdhsa_system_sgpr_private_segment_wavefront_offset 0
		.amdhsa_system_sgpr_workgroup_id_x 1
		.amdhsa_system_sgpr_workgroup_id_y 0
		.amdhsa_system_sgpr_workgroup_id_z 0
		.amdhsa_system_sgpr_workgroup_info 0
		.amdhsa_system_vgpr_workitem_id 2
		.amdhsa_next_free_vgpr 88
		.amdhsa_next_free_sgpr 69
		.amdhsa_accum_offset 88
		.amdhsa_reserve_vcc 1
		.amdhsa_reserve_flat_scratch 0
		.amdhsa_float_round_mode_32 0
		.amdhsa_float_round_mode_16_64 0
		.amdhsa_float_denorm_mode_32 3
		.amdhsa_float_denorm_mode_16_64 3
		.amdhsa_dx10_clamp 1
		.amdhsa_ieee_mode 1
		.amdhsa_fp16_overflow 0
		.amdhsa_tg_split 0
		.amdhsa_exception_fp_ieee_invalid_op 0
		.amdhsa_exception_fp_denorm_src 0
		.amdhsa_exception_fp_ieee_div_zero 0
		.amdhsa_exception_fp_ieee_overflow 0
		.amdhsa_exception_fp_ieee_underflow 0
		.amdhsa_exception_fp_ieee_inexact 0
		.amdhsa_exception_int_div_zero 0
	.end_amdhsa_kernel
	.section	.text._ZN7rocprim17ROCPRIM_400000_NS6detail17trampoline_kernelINS0_14default_configENS1_35radix_sort_onesweep_config_selectorIjN6thrust23THRUST_200600_302600_NS5tupleIffNS6_9null_typeES8_S8_S8_S8_S8_S8_S8_EEEEZZNS1_29radix_sort_onesweep_iterationIS3_Lb0ENS6_6detail15normal_iteratorINS6_10device_ptrIjEEEESG_NSD_INSE_IS9_EEEESI_jNS0_19identity_decomposerENS1_16block_id_wrapperIjLb0EEEEE10hipError_tT1_PNSt15iterator_traitsISN_E10value_typeET2_T3_PNSO_IST_E10value_typeET4_T5_PSY_SZ_PNS1_23onesweep_lookback_stateEbbT6_jjT7_P12ihipStream_tbENKUlT_T0_SN_SS_E_clISG_PjSI_PS9_EEDaS16_S17_SN_SS_EUlS16_E_NS1_11comp_targetILNS1_3genE4ELNS1_11target_archE910ELNS1_3gpuE8ELNS1_3repE0EEENS1_47radix_sort_onesweep_sort_config_static_selectorELNS0_4arch9wavefront6targetE1EEEvSN_,"axG",@progbits,_ZN7rocprim17ROCPRIM_400000_NS6detail17trampoline_kernelINS0_14default_configENS1_35radix_sort_onesweep_config_selectorIjN6thrust23THRUST_200600_302600_NS5tupleIffNS6_9null_typeES8_S8_S8_S8_S8_S8_S8_EEEEZZNS1_29radix_sort_onesweep_iterationIS3_Lb0ENS6_6detail15normal_iteratorINS6_10device_ptrIjEEEESG_NSD_INSE_IS9_EEEESI_jNS0_19identity_decomposerENS1_16block_id_wrapperIjLb0EEEEE10hipError_tT1_PNSt15iterator_traitsISN_E10value_typeET2_T3_PNSO_IST_E10value_typeET4_T5_PSY_SZ_PNS1_23onesweep_lookback_stateEbbT6_jjT7_P12ihipStream_tbENKUlT_T0_SN_SS_E_clISG_PjSI_PS9_EEDaS16_S17_SN_SS_EUlS16_E_NS1_11comp_targetILNS1_3genE4ELNS1_11target_archE910ELNS1_3gpuE8ELNS1_3repE0EEENS1_47radix_sort_onesweep_sort_config_static_selectorELNS0_4arch9wavefront6targetE1EEEvSN_,comdat
.Lfunc_end215:
	.size	_ZN7rocprim17ROCPRIM_400000_NS6detail17trampoline_kernelINS0_14default_configENS1_35radix_sort_onesweep_config_selectorIjN6thrust23THRUST_200600_302600_NS5tupleIffNS6_9null_typeES8_S8_S8_S8_S8_S8_S8_EEEEZZNS1_29radix_sort_onesweep_iterationIS3_Lb0ENS6_6detail15normal_iteratorINS6_10device_ptrIjEEEESG_NSD_INSE_IS9_EEEESI_jNS0_19identity_decomposerENS1_16block_id_wrapperIjLb0EEEEE10hipError_tT1_PNSt15iterator_traitsISN_E10value_typeET2_T3_PNSO_IST_E10value_typeET4_T5_PSY_SZ_PNS1_23onesweep_lookback_stateEbbT6_jjT7_P12ihipStream_tbENKUlT_T0_SN_SS_E_clISG_PjSI_PS9_EEDaS16_S17_SN_SS_EUlS16_E_NS1_11comp_targetILNS1_3genE4ELNS1_11target_archE910ELNS1_3gpuE8ELNS1_3repE0EEENS1_47radix_sort_onesweep_sort_config_static_selectorELNS0_4arch9wavefront6targetE1EEEvSN_, .Lfunc_end215-_ZN7rocprim17ROCPRIM_400000_NS6detail17trampoline_kernelINS0_14default_configENS1_35radix_sort_onesweep_config_selectorIjN6thrust23THRUST_200600_302600_NS5tupleIffNS6_9null_typeES8_S8_S8_S8_S8_S8_S8_EEEEZZNS1_29radix_sort_onesweep_iterationIS3_Lb0ENS6_6detail15normal_iteratorINS6_10device_ptrIjEEEESG_NSD_INSE_IS9_EEEESI_jNS0_19identity_decomposerENS1_16block_id_wrapperIjLb0EEEEE10hipError_tT1_PNSt15iterator_traitsISN_E10value_typeET2_T3_PNSO_IST_E10value_typeET4_T5_PSY_SZ_PNS1_23onesweep_lookback_stateEbbT6_jjT7_P12ihipStream_tbENKUlT_T0_SN_SS_E_clISG_PjSI_PS9_EEDaS16_S17_SN_SS_EUlS16_E_NS1_11comp_targetILNS1_3genE4ELNS1_11target_archE910ELNS1_3gpuE8ELNS1_3repE0EEENS1_47radix_sort_onesweep_sort_config_static_selectorELNS0_4arch9wavefront6targetE1EEEvSN_
                                        ; -- End function
	.section	.AMDGPU.csdata,"",@progbits
; Kernel info:
; codeLenInByte = 20304
; NumSgprs: 73
; NumVgprs: 88
; NumAgprs: 0
; TotalNumVgprs: 88
; ScratchSize: 0
; MemoryBound: 0
; FloatMode: 240
; IeeeMode: 1
; LDSByteSize: 10280 bytes/workgroup (compile time only)
; SGPRBlocks: 9
; VGPRBlocks: 10
; NumSGPRsForWavesPerEU: 73
; NumVGPRsForWavesPerEU: 88
; AccumOffset: 88
; Occupancy: 5
; WaveLimiterHint : 1
; COMPUTE_PGM_RSRC2:SCRATCH_EN: 0
; COMPUTE_PGM_RSRC2:USER_SGPR: 6
; COMPUTE_PGM_RSRC2:TRAP_HANDLER: 0
; COMPUTE_PGM_RSRC2:TGID_X_EN: 1
; COMPUTE_PGM_RSRC2:TGID_Y_EN: 0
; COMPUTE_PGM_RSRC2:TGID_Z_EN: 0
; COMPUTE_PGM_RSRC2:TIDIG_COMP_CNT: 2
; COMPUTE_PGM_RSRC3_GFX90A:ACCUM_OFFSET: 21
; COMPUTE_PGM_RSRC3_GFX90A:TG_SPLIT: 0
	.section	.text._ZN7rocprim17ROCPRIM_400000_NS6detail17trampoline_kernelINS0_14default_configENS1_35radix_sort_onesweep_config_selectorIjN6thrust23THRUST_200600_302600_NS5tupleIffNS6_9null_typeES8_S8_S8_S8_S8_S8_S8_EEEEZZNS1_29radix_sort_onesweep_iterationIS3_Lb0ENS6_6detail15normal_iteratorINS6_10device_ptrIjEEEESG_NSD_INSE_IS9_EEEESI_jNS0_19identity_decomposerENS1_16block_id_wrapperIjLb0EEEEE10hipError_tT1_PNSt15iterator_traitsISN_E10value_typeET2_T3_PNSO_IST_E10value_typeET4_T5_PSY_SZ_PNS1_23onesweep_lookback_stateEbbT6_jjT7_P12ihipStream_tbENKUlT_T0_SN_SS_E_clISG_PjSI_PS9_EEDaS16_S17_SN_SS_EUlS16_E_NS1_11comp_targetILNS1_3genE3ELNS1_11target_archE908ELNS1_3gpuE7ELNS1_3repE0EEENS1_47radix_sort_onesweep_sort_config_static_selectorELNS0_4arch9wavefront6targetE1EEEvSN_,"axG",@progbits,_ZN7rocprim17ROCPRIM_400000_NS6detail17trampoline_kernelINS0_14default_configENS1_35radix_sort_onesweep_config_selectorIjN6thrust23THRUST_200600_302600_NS5tupleIffNS6_9null_typeES8_S8_S8_S8_S8_S8_S8_EEEEZZNS1_29radix_sort_onesweep_iterationIS3_Lb0ENS6_6detail15normal_iteratorINS6_10device_ptrIjEEEESG_NSD_INSE_IS9_EEEESI_jNS0_19identity_decomposerENS1_16block_id_wrapperIjLb0EEEEE10hipError_tT1_PNSt15iterator_traitsISN_E10value_typeET2_T3_PNSO_IST_E10value_typeET4_T5_PSY_SZ_PNS1_23onesweep_lookback_stateEbbT6_jjT7_P12ihipStream_tbENKUlT_T0_SN_SS_E_clISG_PjSI_PS9_EEDaS16_S17_SN_SS_EUlS16_E_NS1_11comp_targetILNS1_3genE3ELNS1_11target_archE908ELNS1_3gpuE7ELNS1_3repE0EEENS1_47radix_sort_onesweep_sort_config_static_selectorELNS0_4arch9wavefront6targetE1EEEvSN_,comdat
	.protected	_ZN7rocprim17ROCPRIM_400000_NS6detail17trampoline_kernelINS0_14default_configENS1_35radix_sort_onesweep_config_selectorIjN6thrust23THRUST_200600_302600_NS5tupleIffNS6_9null_typeES8_S8_S8_S8_S8_S8_S8_EEEEZZNS1_29radix_sort_onesweep_iterationIS3_Lb0ENS6_6detail15normal_iteratorINS6_10device_ptrIjEEEESG_NSD_INSE_IS9_EEEESI_jNS0_19identity_decomposerENS1_16block_id_wrapperIjLb0EEEEE10hipError_tT1_PNSt15iterator_traitsISN_E10value_typeET2_T3_PNSO_IST_E10value_typeET4_T5_PSY_SZ_PNS1_23onesweep_lookback_stateEbbT6_jjT7_P12ihipStream_tbENKUlT_T0_SN_SS_E_clISG_PjSI_PS9_EEDaS16_S17_SN_SS_EUlS16_E_NS1_11comp_targetILNS1_3genE3ELNS1_11target_archE908ELNS1_3gpuE7ELNS1_3repE0EEENS1_47radix_sort_onesweep_sort_config_static_selectorELNS0_4arch9wavefront6targetE1EEEvSN_ ; -- Begin function _ZN7rocprim17ROCPRIM_400000_NS6detail17trampoline_kernelINS0_14default_configENS1_35radix_sort_onesweep_config_selectorIjN6thrust23THRUST_200600_302600_NS5tupleIffNS6_9null_typeES8_S8_S8_S8_S8_S8_S8_EEEEZZNS1_29radix_sort_onesweep_iterationIS3_Lb0ENS6_6detail15normal_iteratorINS6_10device_ptrIjEEEESG_NSD_INSE_IS9_EEEESI_jNS0_19identity_decomposerENS1_16block_id_wrapperIjLb0EEEEE10hipError_tT1_PNSt15iterator_traitsISN_E10value_typeET2_T3_PNSO_IST_E10value_typeET4_T5_PSY_SZ_PNS1_23onesweep_lookback_stateEbbT6_jjT7_P12ihipStream_tbENKUlT_T0_SN_SS_E_clISG_PjSI_PS9_EEDaS16_S17_SN_SS_EUlS16_E_NS1_11comp_targetILNS1_3genE3ELNS1_11target_archE908ELNS1_3gpuE7ELNS1_3repE0EEENS1_47radix_sort_onesweep_sort_config_static_selectorELNS0_4arch9wavefront6targetE1EEEvSN_
	.globl	_ZN7rocprim17ROCPRIM_400000_NS6detail17trampoline_kernelINS0_14default_configENS1_35radix_sort_onesweep_config_selectorIjN6thrust23THRUST_200600_302600_NS5tupleIffNS6_9null_typeES8_S8_S8_S8_S8_S8_S8_EEEEZZNS1_29radix_sort_onesweep_iterationIS3_Lb0ENS6_6detail15normal_iteratorINS6_10device_ptrIjEEEESG_NSD_INSE_IS9_EEEESI_jNS0_19identity_decomposerENS1_16block_id_wrapperIjLb0EEEEE10hipError_tT1_PNSt15iterator_traitsISN_E10value_typeET2_T3_PNSO_IST_E10value_typeET4_T5_PSY_SZ_PNS1_23onesweep_lookback_stateEbbT6_jjT7_P12ihipStream_tbENKUlT_T0_SN_SS_E_clISG_PjSI_PS9_EEDaS16_S17_SN_SS_EUlS16_E_NS1_11comp_targetILNS1_3genE3ELNS1_11target_archE908ELNS1_3gpuE7ELNS1_3repE0EEENS1_47radix_sort_onesweep_sort_config_static_selectorELNS0_4arch9wavefront6targetE1EEEvSN_
	.p2align	8
	.type	_ZN7rocprim17ROCPRIM_400000_NS6detail17trampoline_kernelINS0_14default_configENS1_35radix_sort_onesweep_config_selectorIjN6thrust23THRUST_200600_302600_NS5tupleIffNS6_9null_typeES8_S8_S8_S8_S8_S8_S8_EEEEZZNS1_29radix_sort_onesweep_iterationIS3_Lb0ENS6_6detail15normal_iteratorINS6_10device_ptrIjEEEESG_NSD_INSE_IS9_EEEESI_jNS0_19identity_decomposerENS1_16block_id_wrapperIjLb0EEEEE10hipError_tT1_PNSt15iterator_traitsISN_E10value_typeET2_T3_PNSO_IST_E10value_typeET4_T5_PSY_SZ_PNS1_23onesweep_lookback_stateEbbT6_jjT7_P12ihipStream_tbENKUlT_T0_SN_SS_E_clISG_PjSI_PS9_EEDaS16_S17_SN_SS_EUlS16_E_NS1_11comp_targetILNS1_3genE3ELNS1_11target_archE908ELNS1_3gpuE7ELNS1_3repE0EEENS1_47radix_sort_onesweep_sort_config_static_selectorELNS0_4arch9wavefront6targetE1EEEvSN_,@function
_ZN7rocprim17ROCPRIM_400000_NS6detail17trampoline_kernelINS0_14default_configENS1_35radix_sort_onesweep_config_selectorIjN6thrust23THRUST_200600_302600_NS5tupleIffNS6_9null_typeES8_S8_S8_S8_S8_S8_S8_EEEEZZNS1_29radix_sort_onesweep_iterationIS3_Lb0ENS6_6detail15normal_iteratorINS6_10device_ptrIjEEEESG_NSD_INSE_IS9_EEEESI_jNS0_19identity_decomposerENS1_16block_id_wrapperIjLb0EEEEE10hipError_tT1_PNSt15iterator_traitsISN_E10value_typeET2_T3_PNSO_IST_E10value_typeET4_T5_PSY_SZ_PNS1_23onesweep_lookback_stateEbbT6_jjT7_P12ihipStream_tbENKUlT_T0_SN_SS_E_clISG_PjSI_PS9_EEDaS16_S17_SN_SS_EUlS16_E_NS1_11comp_targetILNS1_3genE3ELNS1_11target_archE908ELNS1_3gpuE7ELNS1_3repE0EEENS1_47radix_sort_onesweep_sort_config_static_selectorELNS0_4arch9wavefront6targetE1EEEvSN_: ; @_ZN7rocprim17ROCPRIM_400000_NS6detail17trampoline_kernelINS0_14default_configENS1_35radix_sort_onesweep_config_selectorIjN6thrust23THRUST_200600_302600_NS5tupleIffNS6_9null_typeES8_S8_S8_S8_S8_S8_S8_EEEEZZNS1_29radix_sort_onesweep_iterationIS3_Lb0ENS6_6detail15normal_iteratorINS6_10device_ptrIjEEEESG_NSD_INSE_IS9_EEEESI_jNS0_19identity_decomposerENS1_16block_id_wrapperIjLb0EEEEE10hipError_tT1_PNSt15iterator_traitsISN_E10value_typeET2_T3_PNSO_IST_E10value_typeET4_T5_PSY_SZ_PNS1_23onesweep_lookback_stateEbbT6_jjT7_P12ihipStream_tbENKUlT_T0_SN_SS_E_clISG_PjSI_PS9_EEDaS16_S17_SN_SS_EUlS16_E_NS1_11comp_targetILNS1_3genE3ELNS1_11target_archE908ELNS1_3gpuE7ELNS1_3repE0EEENS1_47radix_sort_onesweep_sort_config_static_selectorELNS0_4arch9wavefront6targetE1EEEvSN_
; %bb.0:
	.section	.rodata,"a",@progbits
	.p2align	6, 0x0
	.amdhsa_kernel _ZN7rocprim17ROCPRIM_400000_NS6detail17trampoline_kernelINS0_14default_configENS1_35radix_sort_onesweep_config_selectorIjN6thrust23THRUST_200600_302600_NS5tupleIffNS6_9null_typeES8_S8_S8_S8_S8_S8_S8_EEEEZZNS1_29radix_sort_onesweep_iterationIS3_Lb0ENS6_6detail15normal_iteratorINS6_10device_ptrIjEEEESG_NSD_INSE_IS9_EEEESI_jNS0_19identity_decomposerENS1_16block_id_wrapperIjLb0EEEEE10hipError_tT1_PNSt15iterator_traitsISN_E10value_typeET2_T3_PNSO_IST_E10value_typeET4_T5_PSY_SZ_PNS1_23onesweep_lookback_stateEbbT6_jjT7_P12ihipStream_tbENKUlT_T0_SN_SS_E_clISG_PjSI_PS9_EEDaS16_S17_SN_SS_EUlS16_E_NS1_11comp_targetILNS1_3genE3ELNS1_11target_archE908ELNS1_3gpuE7ELNS1_3repE0EEENS1_47radix_sort_onesweep_sort_config_static_selectorELNS0_4arch9wavefront6targetE1EEEvSN_
		.amdhsa_group_segment_fixed_size 0
		.amdhsa_private_segment_fixed_size 0
		.amdhsa_kernarg_size 88
		.amdhsa_user_sgpr_count 6
		.amdhsa_user_sgpr_private_segment_buffer 1
		.amdhsa_user_sgpr_dispatch_ptr 0
		.amdhsa_user_sgpr_queue_ptr 0
		.amdhsa_user_sgpr_kernarg_segment_ptr 1
		.amdhsa_user_sgpr_dispatch_id 0
		.amdhsa_user_sgpr_flat_scratch_init 0
		.amdhsa_user_sgpr_kernarg_preload_length 0
		.amdhsa_user_sgpr_kernarg_preload_offset 0
		.amdhsa_user_sgpr_private_segment_size 0
		.amdhsa_uses_dynamic_stack 0
		.amdhsa_system_sgpr_private_segment_wavefront_offset 0
		.amdhsa_system_sgpr_workgroup_id_x 1
		.amdhsa_system_sgpr_workgroup_id_y 0
		.amdhsa_system_sgpr_workgroup_id_z 0
		.amdhsa_system_sgpr_workgroup_info 0
		.amdhsa_system_vgpr_workitem_id 0
		.amdhsa_next_free_vgpr 1
		.amdhsa_next_free_sgpr 0
		.amdhsa_accum_offset 4
		.amdhsa_reserve_vcc 0
		.amdhsa_reserve_flat_scratch 0
		.amdhsa_float_round_mode_32 0
		.amdhsa_float_round_mode_16_64 0
		.amdhsa_float_denorm_mode_32 3
		.amdhsa_float_denorm_mode_16_64 3
		.amdhsa_dx10_clamp 1
		.amdhsa_ieee_mode 1
		.amdhsa_fp16_overflow 0
		.amdhsa_tg_split 0
		.amdhsa_exception_fp_ieee_invalid_op 0
		.amdhsa_exception_fp_denorm_src 0
		.amdhsa_exception_fp_ieee_div_zero 0
		.amdhsa_exception_fp_ieee_overflow 0
		.amdhsa_exception_fp_ieee_underflow 0
		.amdhsa_exception_fp_ieee_inexact 0
		.amdhsa_exception_int_div_zero 0
	.end_amdhsa_kernel
	.section	.text._ZN7rocprim17ROCPRIM_400000_NS6detail17trampoline_kernelINS0_14default_configENS1_35radix_sort_onesweep_config_selectorIjN6thrust23THRUST_200600_302600_NS5tupleIffNS6_9null_typeES8_S8_S8_S8_S8_S8_S8_EEEEZZNS1_29radix_sort_onesweep_iterationIS3_Lb0ENS6_6detail15normal_iteratorINS6_10device_ptrIjEEEESG_NSD_INSE_IS9_EEEESI_jNS0_19identity_decomposerENS1_16block_id_wrapperIjLb0EEEEE10hipError_tT1_PNSt15iterator_traitsISN_E10value_typeET2_T3_PNSO_IST_E10value_typeET4_T5_PSY_SZ_PNS1_23onesweep_lookback_stateEbbT6_jjT7_P12ihipStream_tbENKUlT_T0_SN_SS_E_clISG_PjSI_PS9_EEDaS16_S17_SN_SS_EUlS16_E_NS1_11comp_targetILNS1_3genE3ELNS1_11target_archE908ELNS1_3gpuE7ELNS1_3repE0EEENS1_47radix_sort_onesweep_sort_config_static_selectorELNS0_4arch9wavefront6targetE1EEEvSN_,"axG",@progbits,_ZN7rocprim17ROCPRIM_400000_NS6detail17trampoline_kernelINS0_14default_configENS1_35radix_sort_onesweep_config_selectorIjN6thrust23THRUST_200600_302600_NS5tupleIffNS6_9null_typeES8_S8_S8_S8_S8_S8_S8_EEEEZZNS1_29radix_sort_onesweep_iterationIS3_Lb0ENS6_6detail15normal_iteratorINS6_10device_ptrIjEEEESG_NSD_INSE_IS9_EEEESI_jNS0_19identity_decomposerENS1_16block_id_wrapperIjLb0EEEEE10hipError_tT1_PNSt15iterator_traitsISN_E10value_typeET2_T3_PNSO_IST_E10value_typeET4_T5_PSY_SZ_PNS1_23onesweep_lookback_stateEbbT6_jjT7_P12ihipStream_tbENKUlT_T0_SN_SS_E_clISG_PjSI_PS9_EEDaS16_S17_SN_SS_EUlS16_E_NS1_11comp_targetILNS1_3genE3ELNS1_11target_archE908ELNS1_3gpuE7ELNS1_3repE0EEENS1_47radix_sort_onesweep_sort_config_static_selectorELNS0_4arch9wavefront6targetE1EEEvSN_,comdat
.Lfunc_end216:
	.size	_ZN7rocprim17ROCPRIM_400000_NS6detail17trampoline_kernelINS0_14default_configENS1_35radix_sort_onesweep_config_selectorIjN6thrust23THRUST_200600_302600_NS5tupleIffNS6_9null_typeES8_S8_S8_S8_S8_S8_S8_EEEEZZNS1_29radix_sort_onesweep_iterationIS3_Lb0ENS6_6detail15normal_iteratorINS6_10device_ptrIjEEEESG_NSD_INSE_IS9_EEEESI_jNS0_19identity_decomposerENS1_16block_id_wrapperIjLb0EEEEE10hipError_tT1_PNSt15iterator_traitsISN_E10value_typeET2_T3_PNSO_IST_E10value_typeET4_T5_PSY_SZ_PNS1_23onesweep_lookback_stateEbbT6_jjT7_P12ihipStream_tbENKUlT_T0_SN_SS_E_clISG_PjSI_PS9_EEDaS16_S17_SN_SS_EUlS16_E_NS1_11comp_targetILNS1_3genE3ELNS1_11target_archE908ELNS1_3gpuE7ELNS1_3repE0EEENS1_47radix_sort_onesweep_sort_config_static_selectorELNS0_4arch9wavefront6targetE1EEEvSN_, .Lfunc_end216-_ZN7rocprim17ROCPRIM_400000_NS6detail17trampoline_kernelINS0_14default_configENS1_35radix_sort_onesweep_config_selectorIjN6thrust23THRUST_200600_302600_NS5tupleIffNS6_9null_typeES8_S8_S8_S8_S8_S8_S8_EEEEZZNS1_29radix_sort_onesweep_iterationIS3_Lb0ENS6_6detail15normal_iteratorINS6_10device_ptrIjEEEESG_NSD_INSE_IS9_EEEESI_jNS0_19identity_decomposerENS1_16block_id_wrapperIjLb0EEEEE10hipError_tT1_PNSt15iterator_traitsISN_E10value_typeET2_T3_PNSO_IST_E10value_typeET4_T5_PSY_SZ_PNS1_23onesweep_lookback_stateEbbT6_jjT7_P12ihipStream_tbENKUlT_T0_SN_SS_E_clISG_PjSI_PS9_EEDaS16_S17_SN_SS_EUlS16_E_NS1_11comp_targetILNS1_3genE3ELNS1_11target_archE908ELNS1_3gpuE7ELNS1_3repE0EEENS1_47radix_sort_onesweep_sort_config_static_selectorELNS0_4arch9wavefront6targetE1EEEvSN_
                                        ; -- End function
	.section	.AMDGPU.csdata,"",@progbits
; Kernel info:
; codeLenInByte = 0
; NumSgprs: 4
; NumVgprs: 0
; NumAgprs: 0
; TotalNumVgprs: 0
; ScratchSize: 0
; MemoryBound: 0
; FloatMode: 240
; IeeeMode: 1
; LDSByteSize: 0 bytes/workgroup (compile time only)
; SGPRBlocks: 0
; VGPRBlocks: 0
; NumSGPRsForWavesPerEU: 4
; NumVGPRsForWavesPerEU: 1
; AccumOffset: 4
; Occupancy: 8
; WaveLimiterHint : 0
; COMPUTE_PGM_RSRC2:SCRATCH_EN: 0
; COMPUTE_PGM_RSRC2:USER_SGPR: 6
; COMPUTE_PGM_RSRC2:TRAP_HANDLER: 0
; COMPUTE_PGM_RSRC2:TGID_X_EN: 1
; COMPUTE_PGM_RSRC2:TGID_Y_EN: 0
; COMPUTE_PGM_RSRC2:TGID_Z_EN: 0
; COMPUTE_PGM_RSRC2:TIDIG_COMP_CNT: 0
; COMPUTE_PGM_RSRC3_GFX90A:ACCUM_OFFSET: 0
; COMPUTE_PGM_RSRC3_GFX90A:TG_SPLIT: 0
	.section	.text._ZN7rocprim17ROCPRIM_400000_NS6detail17trampoline_kernelINS0_14default_configENS1_35radix_sort_onesweep_config_selectorIjN6thrust23THRUST_200600_302600_NS5tupleIffNS6_9null_typeES8_S8_S8_S8_S8_S8_S8_EEEEZZNS1_29radix_sort_onesweep_iterationIS3_Lb0ENS6_6detail15normal_iteratorINS6_10device_ptrIjEEEESG_NSD_INSE_IS9_EEEESI_jNS0_19identity_decomposerENS1_16block_id_wrapperIjLb0EEEEE10hipError_tT1_PNSt15iterator_traitsISN_E10value_typeET2_T3_PNSO_IST_E10value_typeET4_T5_PSY_SZ_PNS1_23onesweep_lookback_stateEbbT6_jjT7_P12ihipStream_tbENKUlT_T0_SN_SS_E_clISG_PjSI_PS9_EEDaS16_S17_SN_SS_EUlS16_E_NS1_11comp_targetILNS1_3genE10ELNS1_11target_archE1201ELNS1_3gpuE5ELNS1_3repE0EEENS1_47radix_sort_onesweep_sort_config_static_selectorELNS0_4arch9wavefront6targetE1EEEvSN_,"axG",@progbits,_ZN7rocprim17ROCPRIM_400000_NS6detail17trampoline_kernelINS0_14default_configENS1_35radix_sort_onesweep_config_selectorIjN6thrust23THRUST_200600_302600_NS5tupleIffNS6_9null_typeES8_S8_S8_S8_S8_S8_S8_EEEEZZNS1_29radix_sort_onesweep_iterationIS3_Lb0ENS6_6detail15normal_iteratorINS6_10device_ptrIjEEEESG_NSD_INSE_IS9_EEEESI_jNS0_19identity_decomposerENS1_16block_id_wrapperIjLb0EEEEE10hipError_tT1_PNSt15iterator_traitsISN_E10value_typeET2_T3_PNSO_IST_E10value_typeET4_T5_PSY_SZ_PNS1_23onesweep_lookback_stateEbbT6_jjT7_P12ihipStream_tbENKUlT_T0_SN_SS_E_clISG_PjSI_PS9_EEDaS16_S17_SN_SS_EUlS16_E_NS1_11comp_targetILNS1_3genE10ELNS1_11target_archE1201ELNS1_3gpuE5ELNS1_3repE0EEENS1_47radix_sort_onesweep_sort_config_static_selectorELNS0_4arch9wavefront6targetE1EEEvSN_,comdat
	.protected	_ZN7rocprim17ROCPRIM_400000_NS6detail17trampoline_kernelINS0_14default_configENS1_35radix_sort_onesweep_config_selectorIjN6thrust23THRUST_200600_302600_NS5tupleIffNS6_9null_typeES8_S8_S8_S8_S8_S8_S8_EEEEZZNS1_29radix_sort_onesweep_iterationIS3_Lb0ENS6_6detail15normal_iteratorINS6_10device_ptrIjEEEESG_NSD_INSE_IS9_EEEESI_jNS0_19identity_decomposerENS1_16block_id_wrapperIjLb0EEEEE10hipError_tT1_PNSt15iterator_traitsISN_E10value_typeET2_T3_PNSO_IST_E10value_typeET4_T5_PSY_SZ_PNS1_23onesweep_lookback_stateEbbT6_jjT7_P12ihipStream_tbENKUlT_T0_SN_SS_E_clISG_PjSI_PS9_EEDaS16_S17_SN_SS_EUlS16_E_NS1_11comp_targetILNS1_3genE10ELNS1_11target_archE1201ELNS1_3gpuE5ELNS1_3repE0EEENS1_47radix_sort_onesweep_sort_config_static_selectorELNS0_4arch9wavefront6targetE1EEEvSN_ ; -- Begin function _ZN7rocprim17ROCPRIM_400000_NS6detail17trampoline_kernelINS0_14default_configENS1_35radix_sort_onesweep_config_selectorIjN6thrust23THRUST_200600_302600_NS5tupleIffNS6_9null_typeES8_S8_S8_S8_S8_S8_S8_EEEEZZNS1_29radix_sort_onesweep_iterationIS3_Lb0ENS6_6detail15normal_iteratorINS6_10device_ptrIjEEEESG_NSD_INSE_IS9_EEEESI_jNS0_19identity_decomposerENS1_16block_id_wrapperIjLb0EEEEE10hipError_tT1_PNSt15iterator_traitsISN_E10value_typeET2_T3_PNSO_IST_E10value_typeET4_T5_PSY_SZ_PNS1_23onesweep_lookback_stateEbbT6_jjT7_P12ihipStream_tbENKUlT_T0_SN_SS_E_clISG_PjSI_PS9_EEDaS16_S17_SN_SS_EUlS16_E_NS1_11comp_targetILNS1_3genE10ELNS1_11target_archE1201ELNS1_3gpuE5ELNS1_3repE0EEENS1_47radix_sort_onesweep_sort_config_static_selectorELNS0_4arch9wavefront6targetE1EEEvSN_
	.globl	_ZN7rocprim17ROCPRIM_400000_NS6detail17trampoline_kernelINS0_14default_configENS1_35radix_sort_onesweep_config_selectorIjN6thrust23THRUST_200600_302600_NS5tupleIffNS6_9null_typeES8_S8_S8_S8_S8_S8_S8_EEEEZZNS1_29radix_sort_onesweep_iterationIS3_Lb0ENS6_6detail15normal_iteratorINS6_10device_ptrIjEEEESG_NSD_INSE_IS9_EEEESI_jNS0_19identity_decomposerENS1_16block_id_wrapperIjLb0EEEEE10hipError_tT1_PNSt15iterator_traitsISN_E10value_typeET2_T3_PNSO_IST_E10value_typeET4_T5_PSY_SZ_PNS1_23onesweep_lookback_stateEbbT6_jjT7_P12ihipStream_tbENKUlT_T0_SN_SS_E_clISG_PjSI_PS9_EEDaS16_S17_SN_SS_EUlS16_E_NS1_11comp_targetILNS1_3genE10ELNS1_11target_archE1201ELNS1_3gpuE5ELNS1_3repE0EEENS1_47radix_sort_onesweep_sort_config_static_selectorELNS0_4arch9wavefront6targetE1EEEvSN_
	.p2align	8
	.type	_ZN7rocprim17ROCPRIM_400000_NS6detail17trampoline_kernelINS0_14default_configENS1_35radix_sort_onesweep_config_selectorIjN6thrust23THRUST_200600_302600_NS5tupleIffNS6_9null_typeES8_S8_S8_S8_S8_S8_S8_EEEEZZNS1_29radix_sort_onesweep_iterationIS3_Lb0ENS6_6detail15normal_iteratorINS6_10device_ptrIjEEEESG_NSD_INSE_IS9_EEEESI_jNS0_19identity_decomposerENS1_16block_id_wrapperIjLb0EEEEE10hipError_tT1_PNSt15iterator_traitsISN_E10value_typeET2_T3_PNSO_IST_E10value_typeET4_T5_PSY_SZ_PNS1_23onesweep_lookback_stateEbbT6_jjT7_P12ihipStream_tbENKUlT_T0_SN_SS_E_clISG_PjSI_PS9_EEDaS16_S17_SN_SS_EUlS16_E_NS1_11comp_targetILNS1_3genE10ELNS1_11target_archE1201ELNS1_3gpuE5ELNS1_3repE0EEENS1_47radix_sort_onesweep_sort_config_static_selectorELNS0_4arch9wavefront6targetE1EEEvSN_,@function
_ZN7rocprim17ROCPRIM_400000_NS6detail17trampoline_kernelINS0_14default_configENS1_35radix_sort_onesweep_config_selectorIjN6thrust23THRUST_200600_302600_NS5tupleIffNS6_9null_typeES8_S8_S8_S8_S8_S8_S8_EEEEZZNS1_29radix_sort_onesweep_iterationIS3_Lb0ENS6_6detail15normal_iteratorINS6_10device_ptrIjEEEESG_NSD_INSE_IS9_EEEESI_jNS0_19identity_decomposerENS1_16block_id_wrapperIjLb0EEEEE10hipError_tT1_PNSt15iterator_traitsISN_E10value_typeET2_T3_PNSO_IST_E10value_typeET4_T5_PSY_SZ_PNS1_23onesweep_lookback_stateEbbT6_jjT7_P12ihipStream_tbENKUlT_T0_SN_SS_E_clISG_PjSI_PS9_EEDaS16_S17_SN_SS_EUlS16_E_NS1_11comp_targetILNS1_3genE10ELNS1_11target_archE1201ELNS1_3gpuE5ELNS1_3repE0EEENS1_47radix_sort_onesweep_sort_config_static_selectorELNS0_4arch9wavefront6targetE1EEEvSN_: ; @_ZN7rocprim17ROCPRIM_400000_NS6detail17trampoline_kernelINS0_14default_configENS1_35radix_sort_onesweep_config_selectorIjN6thrust23THRUST_200600_302600_NS5tupleIffNS6_9null_typeES8_S8_S8_S8_S8_S8_S8_EEEEZZNS1_29radix_sort_onesweep_iterationIS3_Lb0ENS6_6detail15normal_iteratorINS6_10device_ptrIjEEEESG_NSD_INSE_IS9_EEEESI_jNS0_19identity_decomposerENS1_16block_id_wrapperIjLb0EEEEE10hipError_tT1_PNSt15iterator_traitsISN_E10value_typeET2_T3_PNSO_IST_E10value_typeET4_T5_PSY_SZ_PNS1_23onesweep_lookback_stateEbbT6_jjT7_P12ihipStream_tbENKUlT_T0_SN_SS_E_clISG_PjSI_PS9_EEDaS16_S17_SN_SS_EUlS16_E_NS1_11comp_targetILNS1_3genE10ELNS1_11target_archE1201ELNS1_3gpuE5ELNS1_3repE0EEENS1_47radix_sort_onesweep_sort_config_static_selectorELNS0_4arch9wavefront6targetE1EEEvSN_
; %bb.0:
	.section	.rodata,"a",@progbits
	.p2align	6, 0x0
	.amdhsa_kernel _ZN7rocprim17ROCPRIM_400000_NS6detail17trampoline_kernelINS0_14default_configENS1_35radix_sort_onesweep_config_selectorIjN6thrust23THRUST_200600_302600_NS5tupleIffNS6_9null_typeES8_S8_S8_S8_S8_S8_S8_EEEEZZNS1_29radix_sort_onesweep_iterationIS3_Lb0ENS6_6detail15normal_iteratorINS6_10device_ptrIjEEEESG_NSD_INSE_IS9_EEEESI_jNS0_19identity_decomposerENS1_16block_id_wrapperIjLb0EEEEE10hipError_tT1_PNSt15iterator_traitsISN_E10value_typeET2_T3_PNSO_IST_E10value_typeET4_T5_PSY_SZ_PNS1_23onesweep_lookback_stateEbbT6_jjT7_P12ihipStream_tbENKUlT_T0_SN_SS_E_clISG_PjSI_PS9_EEDaS16_S17_SN_SS_EUlS16_E_NS1_11comp_targetILNS1_3genE10ELNS1_11target_archE1201ELNS1_3gpuE5ELNS1_3repE0EEENS1_47radix_sort_onesweep_sort_config_static_selectorELNS0_4arch9wavefront6targetE1EEEvSN_
		.amdhsa_group_segment_fixed_size 0
		.amdhsa_private_segment_fixed_size 0
		.amdhsa_kernarg_size 88
		.amdhsa_user_sgpr_count 6
		.amdhsa_user_sgpr_private_segment_buffer 1
		.amdhsa_user_sgpr_dispatch_ptr 0
		.amdhsa_user_sgpr_queue_ptr 0
		.amdhsa_user_sgpr_kernarg_segment_ptr 1
		.amdhsa_user_sgpr_dispatch_id 0
		.amdhsa_user_sgpr_flat_scratch_init 0
		.amdhsa_user_sgpr_kernarg_preload_length 0
		.amdhsa_user_sgpr_kernarg_preload_offset 0
		.amdhsa_user_sgpr_private_segment_size 0
		.amdhsa_uses_dynamic_stack 0
		.amdhsa_system_sgpr_private_segment_wavefront_offset 0
		.amdhsa_system_sgpr_workgroup_id_x 1
		.amdhsa_system_sgpr_workgroup_id_y 0
		.amdhsa_system_sgpr_workgroup_id_z 0
		.amdhsa_system_sgpr_workgroup_info 0
		.amdhsa_system_vgpr_workitem_id 0
		.amdhsa_next_free_vgpr 1
		.amdhsa_next_free_sgpr 0
		.amdhsa_accum_offset 4
		.amdhsa_reserve_vcc 0
		.amdhsa_reserve_flat_scratch 0
		.amdhsa_float_round_mode_32 0
		.amdhsa_float_round_mode_16_64 0
		.amdhsa_float_denorm_mode_32 3
		.amdhsa_float_denorm_mode_16_64 3
		.amdhsa_dx10_clamp 1
		.amdhsa_ieee_mode 1
		.amdhsa_fp16_overflow 0
		.amdhsa_tg_split 0
		.amdhsa_exception_fp_ieee_invalid_op 0
		.amdhsa_exception_fp_denorm_src 0
		.amdhsa_exception_fp_ieee_div_zero 0
		.amdhsa_exception_fp_ieee_overflow 0
		.amdhsa_exception_fp_ieee_underflow 0
		.amdhsa_exception_fp_ieee_inexact 0
		.amdhsa_exception_int_div_zero 0
	.end_amdhsa_kernel
	.section	.text._ZN7rocprim17ROCPRIM_400000_NS6detail17trampoline_kernelINS0_14default_configENS1_35radix_sort_onesweep_config_selectorIjN6thrust23THRUST_200600_302600_NS5tupleIffNS6_9null_typeES8_S8_S8_S8_S8_S8_S8_EEEEZZNS1_29radix_sort_onesweep_iterationIS3_Lb0ENS6_6detail15normal_iteratorINS6_10device_ptrIjEEEESG_NSD_INSE_IS9_EEEESI_jNS0_19identity_decomposerENS1_16block_id_wrapperIjLb0EEEEE10hipError_tT1_PNSt15iterator_traitsISN_E10value_typeET2_T3_PNSO_IST_E10value_typeET4_T5_PSY_SZ_PNS1_23onesweep_lookback_stateEbbT6_jjT7_P12ihipStream_tbENKUlT_T0_SN_SS_E_clISG_PjSI_PS9_EEDaS16_S17_SN_SS_EUlS16_E_NS1_11comp_targetILNS1_3genE10ELNS1_11target_archE1201ELNS1_3gpuE5ELNS1_3repE0EEENS1_47radix_sort_onesweep_sort_config_static_selectorELNS0_4arch9wavefront6targetE1EEEvSN_,"axG",@progbits,_ZN7rocprim17ROCPRIM_400000_NS6detail17trampoline_kernelINS0_14default_configENS1_35radix_sort_onesweep_config_selectorIjN6thrust23THRUST_200600_302600_NS5tupleIffNS6_9null_typeES8_S8_S8_S8_S8_S8_S8_EEEEZZNS1_29radix_sort_onesweep_iterationIS3_Lb0ENS6_6detail15normal_iteratorINS6_10device_ptrIjEEEESG_NSD_INSE_IS9_EEEESI_jNS0_19identity_decomposerENS1_16block_id_wrapperIjLb0EEEEE10hipError_tT1_PNSt15iterator_traitsISN_E10value_typeET2_T3_PNSO_IST_E10value_typeET4_T5_PSY_SZ_PNS1_23onesweep_lookback_stateEbbT6_jjT7_P12ihipStream_tbENKUlT_T0_SN_SS_E_clISG_PjSI_PS9_EEDaS16_S17_SN_SS_EUlS16_E_NS1_11comp_targetILNS1_3genE10ELNS1_11target_archE1201ELNS1_3gpuE5ELNS1_3repE0EEENS1_47radix_sort_onesweep_sort_config_static_selectorELNS0_4arch9wavefront6targetE1EEEvSN_,comdat
.Lfunc_end217:
	.size	_ZN7rocprim17ROCPRIM_400000_NS6detail17trampoline_kernelINS0_14default_configENS1_35radix_sort_onesweep_config_selectorIjN6thrust23THRUST_200600_302600_NS5tupleIffNS6_9null_typeES8_S8_S8_S8_S8_S8_S8_EEEEZZNS1_29radix_sort_onesweep_iterationIS3_Lb0ENS6_6detail15normal_iteratorINS6_10device_ptrIjEEEESG_NSD_INSE_IS9_EEEESI_jNS0_19identity_decomposerENS1_16block_id_wrapperIjLb0EEEEE10hipError_tT1_PNSt15iterator_traitsISN_E10value_typeET2_T3_PNSO_IST_E10value_typeET4_T5_PSY_SZ_PNS1_23onesweep_lookback_stateEbbT6_jjT7_P12ihipStream_tbENKUlT_T0_SN_SS_E_clISG_PjSI_PS9_EEDaS16_S17_SN_SS_EUlS16_E_NS1_11comp_targetILNS1_3genE10ELNS1_11target_archE1201ELNS1_3gpuE5ELNS1_3repE0EEENS1_47radix_sort_onesweep_sort_config_static_selectorELNS0_4arch9wavefront6targetE1EEEvSN_, .Lfunc_end217-_ZN7rocprim17ROCPRIM_400000_NS6detail17trampoline_kernelINS0_14default_configENS1_35radix_sort_onesweep_config_selectorIjN6thrust23THRUST_200600_302600_NS5tupleIffNS6_9null_typeES8_S8_S8_S8_S8_S8_S8_EEEEZZNS1_29radix_sort_onesweep_iterationIS3_Lb0ENS6_6detail15normal_iteratorINS6_10device_ptrIjEEEESG_NSD_INSE_IS9_EEEESI_jNS0_19identity_decomposerENS1_16block_id_wrapperIjLb0EEEEE10hipError_tT1_PNSt15iterator_traitsISN_E10value_typeET2_T3_PNSO_IST_E10value_typeET4_T5_PSY_SZ_PNS1_23onesweep_lookback_stateEbbT6_jjT7_P12ihipStream_tbENKUlT_T0_SN_SS_E_clISG_PjSI_PS9_EEDaS16_S17_SN_SS_EUlS16_E_NS1_11comp_targetILNS1_3genE10ELNS1_11target_archE1201ELNS1_3gpuE5ELNS1_3repE0EEENS1_47radix_sort_onesweep_sort_config_static_selectorELNS0_4arch9wavefront6targetE1EEEvSN_
                                        ; -- End function
	.section	.AMDGPU.csdata,"",@progbits
; Kernel info:
; codeLenInByte = 0
; NumSgprs: 4
; NumVgprs: 0
; NumAgprs: 0
; TotalNumVgprs: 0
; ScratchSize: 0
; MemoryBound: 0
; FloatMode: 240
; IeeeMode: 1
; LDSByteSize: 0 bytes/workgroup (compile time only)
; SGPRBlocks: 0
; VGPRBlocks: 0
; NumSGPRsForWavesPerEU: 4
; NumVGPRsForWavesPerEU: 1
; AccumOffset: 4
; Occupancy: 8
; WaveLimiterHint : 0
; COMPUTE_PGM_RSRC2:SCRATCH_EN: 0
; COMPUTE_PGM_RSRC2:USER_SGPR: 6
; COMPUTE_PGM_RSRC2:TRAP_HANDLER: 0
; COMPUTE_PGM_RSRC2:TGID_X_EN: 1
; COMPUTE_PGM_RSRC2:TGID_Y_EN: 0
; COMPUTE_PGM_RSRC2:TGID_Z_EN: 0
; COMPUTE_PGM_RSRC2:TIDIG_COMP_CNT: 0
; COMPUTE_PGM_RSRC3_GFX90A:ACCUM_OFFSET: 0
; COMPUTE_PGM_RSRC3_GFX90A:TG_SPLIT: 0
	.section	.text._ZN7rocprim17ROCPRIM_400000_NS6detail17trampoline_kernelINS0_14default_configENS1_35radix_sort_onesweep_config_selectorIjN6thrust23THRUST_200600_302600_NS5tupleIffNS6_9null_typeES8_S8_S8_S8_S8_S8_S8_EEEEZZNS1_29radix_sort_onesweep_iterationIS3_Lb0ENS6_6detail15normal_iteratorINS6_10device_ptrIjEEEESG_NSD_INSE_IS9_EEEESI_jNS0_19identity_decomposerENS1_16block_id_wrapperIjLb0EEEEE10hipError_tT1_PNSt15iterator_traitsISN_E10value_typeET2_T3_PNSO_IST_E10value_typeET4_T5_PSY_SZ_PNS1_23onesweep_lookback_stateEbbT6_jjT7_P12ihipStream_tbENKUlT_T0_SN_SS_E_clISG_PjSI_PS9_EEDaS16_S17_SN_SS_EUlS16_E_NS1_11comp_targetILNS1_3genE9ELNS1_11target_archE1100ELNS1_3gpuE3ELNS1_3repE0EEENS1_47radix_sort_onesweep_sort_config_static_selectorELNS0_4arch9wavefront6targetE1EEEvSN_,"axG",@progbits,_ZN7rocprim17ROCPRIM_400000_NS6detail17trampoline_kernelINS0_14default_configENS1_35radix_sort_onesweep_config_selectorIjN6thrust23THRUST_200600_302600_NS5tupleIffNS6_9null_typeES8_S8_S8_S8_S8_S8_S8_EEEEZZNS1_29radix_sort_onesweep_iterationIS3_Lb0ENS6_6detail15normal_iteratorINS6_10device_ptrIjEEEESG_NSD_INSE_IS9_EEEESI_jNS0_19identity_decomposerENS1_16block_id_wrapperIjLb0EEEEE10hipError_tT1_PNSt15iterator_traitsISN_E10value_typeET2_T3_PNSO_IST_E10value_typeET4_T5_PSY_SZ_PNS1_23onesweep_lookback_stateEbbT6_jjT7_P12ihipStream_tbENKUlT_T0_SN_SS_E_clISG_PjSI_PS9_EEDaS16_S17_SN_SS_EUlS16_E_NS1_11comp_targetILNS1_3genE9ELNS1_11target_archE1100ELNS1_3gpuE3ELNS1_3repE0EEENS1_47radix_sort_onesweep_sort_config_static_selectorELNS0_4arch9wavefront6targetE1EEEvSN_,comdat
	.protected	_ZN7rocprim17ROCPRIM_400000_NS6detail17trampoline_kernelINS0_14default_configENS1_35radix_sort_onesweep_config_selectorIjN6thrust23THRUST_200600_302600_NS5tupleIffNS6_9null_typeES8_S8_S8_S8_S8_S8_S8_EEEEZZNS1_29radix_sort_onesweep_iterationIS3_Lb0ENS6_6detail15normal_iteratorINS6_10device_ptrIjEEEESG_NSD_INSE_IS9_EEEESI_jNS0_19identity_decomposerENS1_16block_id_wrapperIjLb0EEEEE10hipError_tT1_PNSt15iterator_traitsISN_E10value_typeET2_T3_PNSO_IST_E10value_typeET4_T5_PSY_SZ_PNS1_23onesweep_lookback_stateEbbT6_jjT7_P12ihipStream_tbENKUlT_T0_SN_SS_E_clISG_PjSI_PS9_EEDaS16_S17_SN_SS_EUlS16_E_NS1_11comp_targetILNS1_3genE9ELNS1_11target_archE1100ELNS1_3gpuE3ELNS1_3repE0EEENS1_47radix_sort_onesweep_sort_config_static_selectorELNS0_4arch9wavefront6targetE1EEEvSN_ ; -- Begin function _ZN7rocprim17ROCPRIM_400000_NS6detail17trampoline_kernelINS0_14default_configENS1_35radix_sort_onesweep_config_selectorIjN6thrust23THRUST_200600_302600_NS5tupleIffNS6_9null_typeES8_S8_S8_S8_S8_S8_S8_EEEEZZNS1_29radix_sort_onesweep_iterationIS3_Lb0ENS6_6detail15normal_iteratorINS6_10device_ptrIjEEEESG_NSD_INSE_IS9_EEEESI_jNS0_19identity_decomposerENS1_16block_id_wrapperIjLb0EEEEE10hipError_tT1_PNSt15iterator_traitsISN_E10value_typeET2_T3_PNSO_IST_E10value_typeET4_T5_PSY_SZ_PNS1_23onesweep_lookback_stateEbbT6_jjT7_P12ihipStream_tbENKUlT_T0_SN_SS_E_clISG_PjSI_PS9_EEDaS16_S17_SN_SS_EUlS16_E_NS1_11comp_targetILNS1_3genE9ELNS1_11target_archE1100ELNS1_3gpuE3ELNS1_3repE0EEENS1_47radix_sort_onesweep_sort_config_static_selectorELNS0_4arch9wavefront6targetE1EEEvSN_
	.globl	_ZN7rocprim17ROCPRIM_400000_NS6detail17trampoline_kernelINS0_14default_configENS1_35radix_sort_onesweep_config_selectorIjN6thrust23THRUST_200600_302600_NS5tupleIffNS6_9null_typeES8_S8_S8_S8_S8_S8_S8_EEEEZZNS1_29radix_sort_onesweep_iterationIS3_Lb0ENS6_6detail15normal_iteratorINS6_10device_ptrIjEEEESG_NSD_INSE_IS9_EEEESI_jNS0_19identity_decomposerENS1_16block_id_wrapperIjLb0EEEEE10hipError_tT1_PNSt15iterator_traitsISN_E10value_typeET2_T3_PNSO_IST_E10value_typeET4_T5_PSY_SZ_PNS1_23onesweep_lookback_stateEbbT6_jjT7_P12ihipStream_tbENKUlT_T0_SN_SS_E_clISG_PjSI_PS9_EEDaS16_S17_SN_SS_EUlS16_E_NS1_11comp_targetILNS1_3genE9ELNS1_11target_archE1100ELNS1_3gpuE3ELNS1_3repE0EEENS1_47radix_sort_onesweep_sort_config_static_selectorELNS0_4arch9wavefront6targetE1EEEvSN_
	.p2align	8
	.type	_ZN7rocprim17ROCPRIM_400000_NS6detail17trampoline_kernelINS0_14default_configENS1_35radix_sort_onesweep_config_selectorIjN6thrust23THRUST_200600_302600_NS5tupleIffNS6_9null_typeES8_S8_S8_S8_S8_S8_S8_EEEEZZNS1_29radix_sort_onesweep_iterationIS3_Lb0ENS6_6detail15normal_iteratorINS6_10device_ptrIjEEEESG_NSD_INSE_IS9_EEEESI_jNS0_19identity_decomposerENS1_16block_id_wrapperIjLb0EEEEE10hipError_tT1_PNSt15iterator_traitsISN_E10value_typeET2_T3_PNSO_IST_E10value_typeET4_T5_PSY_SZ_PNS1_23onesweep_lookback_stateEbbT6_jjT7_P12ihipStream_tbENKUlT_T0_SN_SS_E_clISG_PjSI_PS9_EEDaS16_S17_SN_SS_EUlS16_E_NS1_11comp_targetILNS1_3genE9ELNS1_11target_archE1100ELNS1_3gpuE3ELNS1_3repE0EEENS1_47radix_sort_onesweep_sort_config_static_selectorELNS0_4arch9wavefront6targetE1EEEvSN_,@function
_ZN7rocprim17ROCPRIM_400000_NS6detail17trampoline_kernelINS0_14default_configENS1_35radix_sort_onesweep_config_selectorIjN6thrust23THRUST_200600_302600_NS5tupleIffNS6_9null_typeES8_S8_S8_S8_S8_S8_S8_EEEEZZNS1_29radix_sort_onesweep_iterationIS3_Lb0ENS6_6detail15normal_iteratorINS6_10device_ptrIjEEEESG_NSD_INSE_IS9_EEEESI_jNS0_19identity_decomposerENS1_16block_id_wrapperIjLb0EEEEE10hipError_tT1_PNSt15iterator_traitsISN_E10value_typeET2_T3_PNSO_IST_E10value_typeET4_T5_PSY_SZ_PNS1_23onesweep_lookback_stateEbbT6_jjT7_P12ihipStream_tbENKUlT_T0_SN_SS_E_clISG_PjSI_PS9_EEDaS16_S17_SN_SS_EUlS16_E_NS1_11comp_targetILNS1_3genE9ELNS1_11target_archE1100ELNS1_3gpuE3ELNS1_3repE0EEENS1_47radix_sort_onesweep_sort_config_static_selectorELNS0_4arch9wavefront6targetE1EEEvSN_: ; @_ZN7rocprim17ROCPRIM_400000_NS6detail17trampoline_kernelINS0_14default_configENS1_35radix_sort_onesweep_config_selectorIjN6thrust23THRUST_200600_302600_NS5tupleIffNS6_9null_typeES8_S8_S8_S8_S8_S8_S8_EEEEZZNS1_29radix_sort_onesweep_iterationIS3_Lb0ENS6_6detail15normal_iteratorINS6_10device_ptrIjEEEESG_NSD_INSE_IS9_EEEESI_jNS0_19identity_decomposerENS1_16block_id_wrapperIjLb0EEEEE10hipError_tT1_PNSt15iterator_traitsISN_E10value_typeET2_T3_PNSO_IST_E10value_typeET4_T5_PSY_SZ_PNS1_23onesweep_lookback_stateEbbT6_jjT7_P12ihipStream_tbENKUlT_T0_SN_SS_E_clISG_PjSI_PS9_EEDaS16_S17_SN_SS_EUlS16_E_NS1_11comp_targetILNS1_3genE9ELNS1_11target_archE1100ELNS1_3gpuE3ELNS1_3repE0EEENS1_47radix_sort_onesweep_sort_config_static_selectorELNS0_4arch9wavefront6targetE1EEEvSN_
; %bb.0:
	.section	.rodata,"a",@progbits
	.p2align	6, 0x0
	.amdhsa_kernel _ZN7rocprim17ROCPRIM_400000_NS6detail17trampoline_kernelINS0_14default_configENS1_35radix_sort_onesweep_config_selectorIjN6thrust23THRUST_200600_302600_NS5tupleIffNS6_9null_typeES8_S8_S8_S8_S8_S8_S8_EEEEZZNS1_29radix_sort_onesweep_iterationIS3_Lb0ENS6_6detail15normal_iteratorINS6_10device_ptrIjEEEESG_NSD_INSE_IS9_EEEESI_jNS0_19identity_decomposerENS1_16block_id_wrapperIjLb0EEEEE10hipError_tT1_PNSt15iterator_traitsISN_E10value_typeET2_T3_PNSO_IST_E10value_typeET4_T5_PSY_SZ_PNS1_23onesweep_lookback_stateEbbT6_jjT7_P12ihipStream_tbENKUlT_T0_SN_SS_E_clISG_PjSI_PS9_EEDaS16_S17_SN_SS_EUlS16_E_NS1_11comp_targetILNS1_3genE9ELNS1_11target_archE1100ELNS1_3gpuE3ELNS1_3repE0EEENS1_47radix_sort_onesweep_sort_config_static_selectorELNS0_4arch9wavefront6targetE1EEEvSN_
		.amdhsa_group_segment_fixed_size 0
		.amdhsa_private_segment_fixed_size 0
		.amdhsa_kernarg_size 88
		.amdhsa_user_sgpr_count 6
		.amdhsa_user_sgpr_private_segment_buffer 1
		.amdhsa_user_sgpr_dispatch_ptr 0
		.amdhsa_user_sgpr_queue_ptr 0
		.amdhsa_user_sgpr_kernarg_segment_ptr 1
		.amdhsa_user_sgpr_dispatch_id 0
		.amdhsa_user_sgpr_flat_scratch_init 0
		.amdhsa_user_sgpr_kernarg_preload_length 0
		.amdhsa_user_sgpr_kernarg_preload_offset 0
		.amdhsa_user_sgpr_private_segment_size 0
		.amdhsa_uses_dynamic_stack 0
		.amdhsa_system_sgpr_private_segment_wavefront_offset 0
		.amdhsa_system_sgpr_workgroup_id_x 1
		.amdhsa_system_sgpr_workgroup_id_y 0
		.amdhsa_system_sgpr_workgroup_id_z 0
		.amdhsa_system_sgpr_workgroup_info 0
		.amdhsa_system_vgpr_workitem_id 0
		.amdhsa_next_free_vgpr 1
		.amdhsa_next_free_sgpr 0
		.amdhsa_accum_offset 4
		.amdhsa_reserve_vcc 0
		.amdhsa_reserve_flat_scratch 0
		.amdhsa_float_round_mode_32 0
		.amdhsa_float_round_mode_16_64 0
		.amdhsa_float_denorm_mode_32 3
		.amdhsa_float_denorm_mode_16_64 3
		.amdhsa_dx10_clamp 1
		.amdhsa_ieee_mode 1
		.amdhsa_fp16_overflow 0
		.amdhsa_tg_split 0
		.amdhsa_exception_fp_ieee_invalid_op 0
		.amdhsa_exception_fp_denorm_src 0
		.amdhsa_exception_fp_ieee_div_zero 0
		.amdhsa_exception_fp_ieee_overflow 0
		.amdhsa_exception_fp_ieee_underflow 0
		.amdhsa_exception_fp_ieee_inexact 0
		.amdhsa_exception_int_div_zero 0
	.end_amdhsa_kernel
	.section	.text._ZN7rocprim17ROCPRIM_400000_NS6detail17trampoline_kernelINS0_14default_configENS1_35radix_sort_onesweep_config_selectorIjN6thrust23THRUST_200600_302600_NS5tupleIffNS6_9null_typeES8_S8_S8_S8_S8_S8_S8_EEEEZZNS1_29radix_sort_onesweep_iterationIS3_Lb0ENS6_6detail15normal_iteratorINS6_10device_ptrIjEEEESG_NSD_INSE_IS9_EEEESI_jNS0_19identity_decomposerENS1_16block_id_wrapperIjLb0EEEEE10hipError_tT1_PNSt15iterator_traitsISN_E10value_typeET2_T3_PNSO_IST_E10value_typeET4_T5_PSY_SZ_PNS1_23onesweep_lookback_stateEbbT6_jjT7_P12ihipStream_tbENKUlT_T0_SN_SS_E_clISG_PjSI_PS9_EEDaS16_S17_SN_SS_EUlS16_E_NS1_11comp_targetILNS1_3genE9ELNS1_11target_archE1100ELNS1_3gpuE3ELNS1_3repE0EEENS1_47radix_sort_onesweep_sort_config_static_selectorELNS0_4arch9wavefront6targetE1EEEvSN_,"axG",@progbits,_ZN7rocprim17ROCPRIM_400000_NS6detail17trampoline_kernelINS0_14default_configENS1_35radix_sort_onesweep_config_selectorIjN6thrust23THRUST_200600_302600_NS5tupleIffNS6_9null_typeES8_S8_S8_S8_S8_S8_S8_EEEEZZNS1_29radix_sort_onesweep_iterationIS3_Lb0ENS6_6detail15normal_iteratorINS6_10device_ptrIjEEEESG_NSD_INSE_IS9_EEEESI_jNS0_19identity_decomposerENS1_16block_id_wrapperIjLb0EEEEE10hipError_tT1_PNSt15iterator_traitsISN_E10value_typeET2_T3_PNSO_IST_E10value_typeET4_T5_PSY_SZ_PNS1_23onesweep_lookback_stateEbbT6_jjT7_P12ihipStream_tbENKUlT_T0_SN_SS_E_clISG_PjSI_PS9_EEDaS16_S17_SN_SS_EUlS16_E_NS1_11comp_targetILNS1_3genE9ELNS1_11target_archE1100ELNS1_3gpuE3ELNS1_3repE0EEENS1_47radix_sort_onesweep_sort_config_static_selectorELNS0_4arch9wavefront6targetE1EEEvSN_,comdat
.Lfunc_end218:
	.size	_ZN7rocprim17ROCPRIM_400000_NS6detail17trampoline_kernelINS0_14default_configENS1_35radix_sort_onesweep_config_selectorIjN6thrust23THRUST_200600_302600_NS5tupleIffNS6_9null_typeES8_S8_S8_S8_S8_S8_S8_EEEEZZNS1_29radix_sort_onesweep_iterationIS3_Lb0ENS6_6detail15normal_iteratorINS6_10device_ptrIjEEEESG_NSD_INSE_IS9_EEEESI_jNS0_19identity_decomposerENS1_16block_id_wrapperIjLb0EEEEE10hipError_tT1_PNSt15iterator_traitsISN_E10value_typeET2_T3_PNSO_IST_E10value_typeET4_T5_PSY_SZ_PNS1_23onesweep_lookback_stateEbbT6_jjT7_P12ihipStream_tbENKUlT_T0_SN_SS_E_clISG_PjSI_PS9_EEDaS16_S17_SN_SS_EUlS16_E_NS1_11comp_targetILNS1_3genE9ELNS1_11target_archE1100ELNS1_3gpuE3ELNS1_3repE0EEENS1_47radix_sort_onesweep_sort_config_static_selectorELNS0_4arch9wavefront6targetE1EEEvSN_, .Lfunc_end218-_ZN7rocprim17ROCPRIM_400000_NS6detail17trampoline_kernelINS0_14default_configENS1_35radix_sort_onesweep_config_selectorIjN6thrust23THRUST_200600_302600_NS5tupleIffNS6_9null_typeES8_S8_S8_S8_S8_S8_S8_EEEEZZNS1_29radix_sort_onesweep_iterationIS3_Lb0ENS6_6detail15normal_iteratorINS6_10device_ptrIjEEEESG_NSD_INSE_IS9_EEEESI_jNS0_19identity_decomposerENS1_16block_id_wrapperIjLb0EEEEE10hipError_tT1_PNSt15iterator_traitsISN_E10value_typeET2_T3_PNSO_IST_E10value_typeET4_T5_PSY_SZ_PNS1_23onesweep_lookback_stateEbbT6_jjT7_P12ihipStream_tbENKUlT_T0_SN_SS_E_clISG_PjSI_PS9_EEDaS16_S17_SN_SS_EUlS16_E_NS1_11comp_targetILNS1_3genE9ELNS1_11target_archE1100ELNS1_3gpuE3ELNS1_3repE0EEENS1_47radix_sort_onesweep_sort_config_static_selectorELNS0_4arch9wavefront6targetE1EEEvSN_
                                        ; -- End function
	.section	.AMDGPU.csdata,"",@progbits
; Kernel info:
; codeLenInByte = 0
; NumSgprs: 4
; NumVgprs: 0
; NumAgprs: 0
; TotalNumVgprs: 0
; ScratchSize: 0
; MemoryBound: 0
; FloatMode: 240
; IeeeMode: 1
; LDSByteSize: 0 bytes/workgroup (compile time only)
; SGPRBlocks: 0
; VGPRBlocks: 0
; NumSGPRsForWavesPerEU: 4
; NumVGPRsForWavesPerEU: 1
; AccumOffset: 4
; Occupancy: 8
; WaveLimiterHint : 0
; COMPUTE_PGM_RSRC2:SCRATCH_EN: 0
; COMPUTE_PGM_RSRC2:USER_SGPR: 6
; COMPUTE_PGM_RSRC2:TRAP_HANDLER: 0
; COMPUTE_PGM_RSRC2:TGID_X_EN: 1
; COMPUTE_PGM_RSRC2:TGID_Y_EN: 0
; COMPUTE_PGM_RSRC2:TGID_Z_EN: 0
; COMPUTE_PGM_RSRC2:TIDIG_COMP_CNT: 0
; COMPUTE_PGM_RSRC3_GFX90A:ACCUM_OFFSET: 0
; COMPUTE_PGM_RSRC3_GFX90A:TG_SPLIT: 0
	.section	.text._ZN7rocprim17ROCPRIM_400000_NS6detail17trampoline_kernelINS0_14default_configENS1_35radix_sort_onesweep_config_selectorIjN6thrust23THRUST_200600_302600_NS5tupleIffNS6_9null_typeES8_S8_S8_S8_S8_S8_S8_EEEEZZNS1_29radix_sort_onesweep_iterationIS3_Lb0ENS6_6detail15normal_iteratorINS6_10device_ptrIjEEEESG_NSD_INSE_IS9_EEEESI_jNS0_19identity_decomposerENS1_16block_id_wrapperIjLb0EEEEE10hipError_tT1_PNSt15iterator_traitsISN_E10value_typeET2_T3_PNSO_IST_E10value_typeET4_T5_PSY_SZ_PNS1_23onesweep_lookback_stateEbbT6_jjT7_P12ihipStream_tbENKUlT_T0_SN_SS_E_clISG_PjSI_PS9_EEDaS16_S17_SN_SS_EUlS16_E_NS1_11comp_targetILNS1_3genE8ELNS1_11target_archE1030ELNS1_3gpuE2ELNS1_3repE0EEENS1_47radix_sort_onesweep_sort_config_static_selectorELNS0_4arch9wavefront6targetE1EEEvSN_,"axG",@progbits,_ZN7rocprim17ROCPRIM_400000_NS6detail17trampoline_kernelINS0_14default_configENS1_35radix_sort_onesweep_config_selectorIjN6thrust23THRUST_200600_302600_NS5tupleIffNS6_9null_typeES8_S8_S8_S8_S8_S8_S8_EEEEZZNS1_29radix_sort_onesweep_iterationIS3_Lb0ENS6_6detail15normal_iteratorINS6_10device_ptrIjEEEESG_NSD_INSE_IS9_EEEESI_jNS0_19identity_decomposerENS1_16block_id_wrapperIjLb0EEEEE10hipError_tT1_PNSt15iterator_traitsISN_E10value_typeET2_T3_PNSO_IST_E10value_typeET4_T5_PSY_SZ_PNS1_23onesweep_lookback_stateEbbT6_jjT7_P12ihipStream_tbENKUlT_T0_SN_SS_E_clISG_PjSI_PS9_EEDaS16_S17_SN_SS_EUlS16_E_NS1_11comp_targetILNS1_3genE8ELNS1_11target_archE1030ELNS1_3gpuE2ELNS1_3repE0EEENS1_47radix_sort_onesweep_sort_config_static_selectorELNS0_4arch9wavefront6targetE1EEEvSN_,comdat
	.protected	_ZN7rocprim17ROCPRIM_400000_NS6detail17trampoline_kernelINS0_14default_configENS1_35radix_sort_onesweep_config_selectorIjN6thrust23THRUST_200600_302600_NS5tupleIffNS6_9null_typeES8_S8_S8_S8_S8_S8_S8_EEEEZZNS1_29radix_sort_onesweep_iterationIS3_Lb0ENS6_6detail15normal_iteratorINS6_10device_ptrIjEEEESG_NSD_INSE_IS9_EEEESI_jNS0_19identity_decomposerENS1_16block_id_wrapperIjLb0EEEEE10hipError_tT1_PNSt15iterator_traitsISN_E10value_typeET2_T3_PNSO_IST_E10value_typeET4_T5_PSY_SZ_PNS1_23onesweep_lookback_stateEbbT6_jjT7_P12ihipStream_tbENKUlT_T0_SN_SS_E_clISG_PjSI_PS9_EEDaS16_S17_SN_SS_EUlS16_E_NS1_11comp_targetILNS1_3genE8ELNS1_11target_archE1030ELNS1_3gpuE2ELNS1_3repE0EEENS1_47radix_sort_onesweep_sort_config_static_selectorELNS0_4arch9wavefront6targetE1EEEvSN_ ; -- Begin function _ZN7rocprim17ROCPRIM_400000_NS6detail17trampoline_kernelINS0_14default_configENS1_35radix_sort_onesweep_config_selectorIjN6thrust23THRUST_200600_302600_NS5tupleIffNS6_9null_typeES8_S8_S8_S8_S8_S8_S8_EEEEZZNS1_29radix_sort_onesweep_iterationIS3_Lb0ENS6_6detail15normal_iteratorINS6_10device_ptrIjEEEESG_NSD_INSE_IS9_EEEESI_jNS0_19identity_decomposerENS1_16block_id_wrapperIjLb0EEEEE10hipError_tT1_PNSt15iterator_traitsISN_E10value_typeET2_T3_PNSO_IST_E10value_typeET4_T5_PSY_SZ_PNS1_23onesweep_lookback_stateEbbT6_jjT7_P12ihipStream_tbENKUlT_T0_SN_SS_E_clISG_PjSI_PS9_EEDaS16_S17_SN_SS_EUlS16_E_NS1_11comp_targetILNS1_3genE8ELNS1_11target_archE1030ELNS1_3gpuE2ELNS1_3repE0EEENS1_47radix_sort_onesweep_sort_config_static_selectorELNS0_4arch9wavefront6targetE1EEEvSN_
	.globl	_ZN7rocprim17ROCPRIM_400000_NS6detail17trampoline_kernelINS0_14default_configENS1_35radix_sort_onesweep_config_selectorIjN6thrust23THRUST_200600_302600_NS5tupleIffNS6_9null_typeES8_S8_S8_S8_S8_S8_S8_EEEEZZNS1_29radix_sort_onesweep_iterationIS3_Lb0ENS6_6detail15normal_iteratorINS6_10device_ptrIjEEEESG_NSD_INSE_IS9_EEEESI_jNS0_19identity_decomposerENS1_16block_id_wrapperIjLb0EEEEE10hipError_tT1_PNSt15iterator_traitsISN_E10value_typeET2_T3_PNSO_IST_E10value_typeET4_T5_PSY_SZ_PNS1_23onesweep_lookback_stateEbbT6_jjT7_P12ihipStream_tbENKUlT_T0_SN_SS_E_clISG_PjSI_PS9_EEDaS16_S17_SN_SS_EUlS16_E_NS1_11comp_targetILNS1_3genE8ELNS1_11target_archE1030ELNS1_3gpuE2ELNS1_3repE0EEENS1_47radix_sort_onesweep_sort_config_static_selectorELNS0_4arch9wavefront6targetE1EEEvSN_
	.p2align	8
	.type	_ZN7rocprim17ROCPRIM_400000_NS6detail17trampoline_kernelINS0_14default_configENS1_35radix_sort_onesweep_config_selectorIjN6thrust23THRUST_200600_302600_NS5tupleIffNS6_9null_typeES8_S8_S8_S8_S8_S8_S8_EEEEZZNS1_29radix_sort_onesweep_iterationIS3_Lb0ENS6_6detail15normal_iteratorINS6_10device_ptrIjEEEESG_NSD_INSE_IS9_EEEESI_jNS0_19identity_decomposerENS1_16block_id_wrapperIjLb0EEEEE10hipError_tT1_PNSt15iterator_traitsISN_E10value_typeET2_T3_PNSO_IST_E10value_typeET4_T5_PSY_SZ_PNS1_23onesweep_lookback_stateEbbT6_jjT7_P12ihipStream_tbENKUlT_T0_SN_SS_E_clISG_PjSI_PS9_EEDaS16_S17_SN_SS_EUlS16_E_NS1_11comp_targetILNS1_3genE8ELNS1_11target_archE1030ELNS1_3gpuE2ELNS1_3repE0EEENS1_47radix_sort_onesweep_sort_config_static_selectorELNS0_4arch9wavefront6targetE1EEEvSN_,@function
_ZN7rocprim17ROCPRIM_400000_NS6detail17trampoline_kernelINS0_14default_configENS1_35radix_sort_onesweep_config_selectorIjN6thrust23THRUST_200600_302600_NS5tupleIffNS6_9null_typeES8_S8_S8_S8_S8_S8_S8_EEEEZZNS1_29radix_sort_onesweep_iterationIS3_Lb0ENS6_6detail15normal_iteratorINS6_10device_ptrIjEEEESG_NSD_INSE_IS9_EEEESI_jNS0_19identity_decomposerENS1_16block_id_wrapperIjLb0EEEEE10hipError_tT1_PNSt15iterator_traitsISN_E10value_typeET2_T3_PNSO_IST_E10value_typeET4_T5_PSY_SZ_PNS1_23onesweep_lookback_stateEbbT6_jjT7_P12ihipStream_tbENKUlT_T0_SN_SS_E_clISG_PjSI_PS9_EEDaS16_S17_SN_SS_EUlS16_E_NS1_11comp_targetILNS1_3genE8ELNS1_11target_archE1030ELNS1_3gpuE2ELNS1_3repE0EEENS1_47radix_sort_onesweep_sort_config_static_selectorELNS0_4arch9wavefront6targetE1EEEvSN_: ; @_ZN7rocprim17ROCPRIM_400000_NS6detail17trampoline_kernelINS0_14default_configENS1_35radix_sort_onesweep_config_selectorIjN6thrust23THRUST_200600_302600_NS5tupleIffNS6_9null_typeES8_S8_S8_S8_S8_S8_S8_EEEEZZNS1_29radix_sort_onesweep_iterationIS3_Lb0ENS6_6detail15normal_iteratorINS6_10device_ptrIjEEEESG_NSD_INSE_IS9_EEEESI_jNS0_19identity_decomposerENS1_16block_id_wrapperIjLb0EEEEE10hipError_tT1_PNSt15iterator_traitsISN_E10value_typeET2_T3_PNSO_IST_E10value_typeET4_T5_PSY_SZ_PNS1_23onesweep_lookback_stateEbbT6_jjT7_P12ihipStream_tbENKUlT_T0_SN_SS_E_clISG_PjSI_PS9_EEDaS16_S17_SN_SS_EUlS16_E_NS1_11comp_targetILNS1_3genE8ELNS1_11target_archE1030ELNS1_3gpuE2ELNS1_3repE0EEENS1_47radix_sort_onesweep_sort_config_static_selectorELNS0_4arch9wavefront6targetE1EEEvSN_
; %bb.0:
	.section	.rodata,"a",@progbits
	.p2align	6, 0x0
	.amdhsa_kernel _ZN7rocprim17ROCPRIM_400000_NS6detail17trampoline_kernelINS0_14default_configENS1_35radix_sort_onesweep_config_selectorIjN6thrust23THRUST_200600_302600_NS5tupleIffNS6_9null_typeES8_S8_S8_S8_S8_S8_S8_EEEEZZNS1_29radix_sort_onesweep_iterationIS3_Lb0ENS6_6detail15normal_iteratorINS6_10device_ptrIjEEEESG_NSD_INSE_IS9_EEEESI_jNS0_19identity_decomposerENS1_16block_id_wrapperIjLb0EEEEE10hipError_tT1_PNSt15iterator_traitsISN_E10value_typeET2_T3_PNSO_IST_E10value_typeET4_T5_PSY_SZ_PNS1_23onesweep_lookback_stateEbbT6_jjT7_P12ihipStream_tbENKUlT_T0_SN_SS_E_clISG_PjSI_PS9_EEDaS16_S17_SN_SS_EUlS16_E_NS1_11comp_targetILNS1_3genE8ELNS1_11target_archE1030ELNS1_3gpuE2ELNS1_3repE0EEENS1_47radix_sort_onesweep_sort_config_static_selectorELNS0_4arch9wavefront6targetE1EEEvSN_
		.amdhsa_group_segment_fixed_size 0
		.amdhsa_private_segment_fixed_size 0
		.amdhsa_kernarg_size 88
		.amdhsa_user_sgpr_count 6
		.amdhsa_user_sgpr_private_segment_buffer 1
		.amdhsa_user_sgpr_dispatch_ptr 0
		.amdhsa_user_sgpr_queue_ptr 0
		.amdhsa_user_sgpr_kernarg_segment_ptr 1
		.amdhsa_user_sgpr_dispatch_id 0
		.amdhsa_user_sgpr_flat_scratch_init 0
		.amdhsa_user_sgpr_kernarg_preload_length 0
		.amdhsa_user_sgpr_kernarg_preload_offset 0
		.amdhsa_user_sgpr_private_segment_size 0
		.amdhsa_uses_dynamic_stack 0
		.amdhsa_system_sgpr_private_segment_wavefront_offset 0
		.amdhsa_system_sgpr_workgroup_id_x 1
		.amdhsa_system_sgpr_workgroup_id_y 0
		.amdhsa_system_sgpr_workgroup_id_z 0
		.amdhsa_system_sgpr_workgroup_info 0
		.amdhsa_system_vgpr_workitem_id 0
		.amdhsa_next_free_vgpr 1
		.amdhsa_next_free_sgpr 0
		.amdhsa_accum_offset 4
		.amdhsa_reserve_vcc 0
		.amdhsa_reserve_flat_scratch 0
		.amdhsa_float_round_mode_32 0
		.amdhsa_float_round_mode_16_64 0
		.amdhsa_float_denorm_mode_32 3
		.amdhsa_float_denorm_mode_16_64 3
		.amdhsa_dx10_clamp 1
		.amdhsa_ieee_mode 1
		.amdhsa_fp16_overflow 0
		.amdhsa_tg_split 0
		.amdhsa_exception_fp_ieee_invalid_op 0
		.amdhsa_exception_fp_denorm_src 0
		.amdhsa_exception_fp_ieee_div_zero 0
		.amdhsa_exception_fp_ieee_overflow 0
		.amdhsa_exception_fp_ieee_underflow 0
		.amdhsa_exception_fp_ieee_inexact 0
		.amdhsa_exception_int_div_zero 0
	.end_amdhsa_kernel
	.section	.text._ZN7rocprim17ROCPRIM_400000_NS6detail17trampoline_kernelINS0_14default_configENS1_35radix_sort_onesweep_config_selectorIjN6thrust23THRUST_200600_302600_NS5tupleIffNS6_9null_typeES8_S8_S8_S8_S8_S8_S8_EEEEZZNS1_29radix_sort_onesweep_iterationIS3_Lb0ENS6_6detail15normal_iteratorINS6_10device_ptrIjEEEESG_NSD_INSE_IS9_EEEESI_jNS0_19identity_decomposerENS1_16block_id_wrapperIjLb0EEEEE10hipError_tT1_PNSt15iterator_traitsISN_E10value_typeET2_T3_PNSO_IST_E10value_typeET4_T5_PSY_SZ_PNS1_23onesweep_lookback_stateEbbT6_jjT7_P12ihipStream_tbENKUlT_T0_SN_SS_E_clISG_PjSI_PS9_EEDaS16_S17_SN_SS_EUlS16_E_NS1_11comp_targetILNS1_3genE8ELNS1_11target_archE1030ELNS1_3gpuE2ELNS1_3repE0EEENS1_47radix_sort_onesweep_sort_config_static_selectorELNS0_4arch9wavefront6targetE1EEEvSN_,"axG",@progbits,_ZN7rocprim17ROCPRIM_400000_NS6detail17trampoline_kernelINS0_14default_configENS1_35radix_sort_onesweep_config_selectorIjN6thrust23THRUST_200600_302600_NS5tupleIffNS6_9null_typeES8_S8_S8_S8_S8_S8_S8_EEEEZZNS1_29radix_sort_onesweep_iterationIS3_Lb0ENS6_6detail15normal_iteratorINS6_10device_ptrIjEEEESG_NSD_INSE_IS9_EEEESI_jNS0_19identity_decomposerENS1_16block_id_wrapperIjLb0EEEEE10hipError_tT1_PNSt15iterator_traitsISN_E10value_typeET2_T3_PNSO_IST_E10value_typeET4_T5_PSY_SZ_PNS1_23onesweep_lookback_stateEbbT6_jjT7_P12ihipStream_tbENKUlT_T0_SN_SS_E_clISG_PjSI_PS9_EEDaS16_S17_SN_SS_EUlS16_E_NS1_11comp_targetILNS1_3genE8ELNS1_11target_archE1030ELNS1_3gpuE2ELNS1_3repE0EEENS1_47radix_sort_onesweep_sort_config_static_selectorELNS0_4arch9wavefront6targetE1EEEvSN_,comdat
.Lfunc_end219:
	.size	_ZN7rocprim17ROCPRIM_400000_NS6detail17trampoline_kernelINS0_14default_configENS1_35radix_sort_onesweep_config_selectorIjN6thrust23THRUST_200600_302600_NS5tupleIffNS6_9null_typeES8_S8_S8_S8_S8_S8_S8_EEEEZZNS1_29radix_sort_onesweep_iterationIS3_Lb0ENS6_6detail15normal_iteratorINS6_10device_ptrIjEEEESG_NSD_INSE_IS9_EEEESI_jNS0_19identity_decomposerENS1_16block_id_wrapperIjLb0EEEEE10hipError_tT1_PNSt15iterator_traitsISN_E10value_typeET2_T3_PNSO_IST_E10value_typeET4_T5_PSY_SZ_PNS1_23onesweep_lookback_stateEbbT6_jjT7_P12ihipStream_tbENKUlT_T0_SN_SS_E_clISG_PjSI_PS9_EEDaS16_S17_SN_SS_EUlS16_E_NS1_11comp_targetILNS1_3genE8ELNS1_11target_archE1030ELNS1_3gpuE2ELNS1_3repE0EEENS1_47radix_sort_onesweep_sort_config_static_selectorELNS0_4arch9wavefront6targetE1EEEvSN_, .Lfunc_end219-_ZN7rocprim17ROCPRIM_400000_NS6detail17trampoline_kernelINS0_14default_configENS1_35radix_sort_onesweep_config_selectorIjN6thrust23THRUST_200600_302600_NS5tupleIffNS6_9null_typeES8_S8_S8_S8_S8_S8_S8_EEEEZZNS1_29radix_sort_onesweep_iterationIS3_Lb0ENS6_6detail15normal_iteratorINS6_10device_ptrIjEEEESG_NSD_INSE_IS9_EEEESI_jNS0_19identity_decomposerENS1_16block_id_wrapperIjLb0EEEEE10hipError_tT1_PNSt15iterator_traitsISN_E10value_typeET2_T3_PNSO_IST_E10value_typeET4_T5_PSY_SZ_PNS1_23onesweep_lookback_stateEbbT6_jjT7_P12ihipStream_tbENKUlT_T0_SN_SS_E_clISG_PjSI_PS9_EEDaS16_S17_SN_SS_EUlS16_E_NS1_11comp_targetILNS1_3genE8ELNS1_11target_archE1030ELNS1_3gpuE2ELNS1_3repE0EEENS1_47radix_sort_onesweep_sort_config_static_selectorELNS0_4arch9wavefront6targetE1EEEvSN_
                                        ; -- End function
	.section	.AMDGPU.csdata,"",@progbits
; Kernel info:
; codeLenInByte = 0
; NumSgprs: 4
; NumVgprs: 0
; NumAgprs: 0
; TotalNumVgprs: 0
; ScratchSize: 0
; MemoryBound: 0
; FloatMode: 240
; IeeeMode: 1
; LDSByteSize: 0 bytes/workgroup (compile time only)
; SGPRBlocks: 0
; VGPRBlocks: 0
; NumSGPRsForWavesPerEU: 4
; NumVGPRsForWavesPerEU: 1
; AccumOffset: 4
; Occupancy: 8
; WaveLimiterHint : 0
; COMPUTE_PGM_RSRC2:SCRATCH_EN: 0
; COMPUTE_PGM_RSRC2:USER_SGPR: 6
; COMPUTE_PGM_RSRC2:TRAP_HANDLER: 0
; COMPUTE_PGM_RSRC2:TGID_X_EN: 1
; COMPUTE_PGM_RSRC2:TGID_Y_EN: 0
; COMPUTE_PGM_RSRC2:TGID_Z_EN: 0
; COMPUTE_PGM_RSRC2:TIDIG_COMP_CNT: 0
; COMPUTE_PGM_RSRC3_GFX90A:ACCUM_OFFSET: 0
; COMPUTE_PGM_RSRC3_GFX90A:TG_SPLIT: 0
	.section	.text._ZN7rocprim17ROCPRIM_400000_NS6detail17trampoline_kernelINS0_14default_configENS1_35radix_sort_onesweep_config_selectorIjN6thrust23THRUST_200600_302600_NS5tupleIffNS6_9null_typeES8_S8_S8_S8_S8_S8_S8_EEEEZZNS1_29radix_sort_onesweep_iterationIS3_Lb0ENS6_6detail15normal_iteratorINS6_10device_ptrIjEEEESG_NSD_INSE_IS9_EEEESI_jNS0_19identity_decomposerENS1_16block_id_wrapperIjLb0EEEEE10hipError_tT1_PNSt15iterator_traitsISN_E10value_typeET2_T3_PNSO_IST_E10value_typeET4_T5_PSY_SZ_PNS1_23onesweep_lookback_stateEbbT6_jjT7_P12ihipStream_tbENKUlT_T0_SN_SS_E_clIPjSG_PS9_SI_EEDaS16_S17_SN_SS_EUlS16_E_NS1_11comp_targetILNS1_3genE0ELNS1_11target_archE4294967295ELNS1_3gpuE0ELNS1_3repE0EEENS1_47radix_sort_onesweep_sort_config_static_selectorELNS0_4arch9wavefront6targetE1EEEvSN_,"axG",@progbits,_ZN7rocprim17ROCPRIM_400000_NS6detail17trampoline_kernelINS0_14default_configENS1_35radix_sort_onesweep_config_selectorIjN6thrust23THRUST_200600_302600_NS5tupleIffNS6_9null_typeES8_S8_S8_S8_S8_S8_S8_EEEEZZNS1_29radix_sort_onesweep_iterationIS3_Lb0ENS6_6detail15normal_iteratorINS6_10device_ptrIjEEEESG_NSD_INSE_IS9_EEEESI_jNS0_19identity_decomposerENS1_16block_id_wrapperIjLb0EEEEE10hipError_tT1_PNSt15iterator_traitsISN_E10value_typeET2_T3_PNSO_IST_E10value_typeET4_T5_PSY_SZ_PNS1_23onesweep_lookback_stateEbbT6_jjT7_P12ihipStream_tbENKUlT_T0_SN_SS_E_clIPjSG_PS9_SI_EEDaS16_S17_SN_SS_EUlS16_E_NS1_11comp_targetILNS1_3genE0ELNS1_11target_archE4294967295ELNS1_3gpuE0ELNS1_3repE0EEENS1_47radix_sort_onesweep_sort_config_static_selectorELNS0_4arch9wavefront6targetE1EEEvSN_,comdat
	.protected	_ZN7rocprim17ROCPRIM_400000_NS6detail17trampoline_kernelINS0_14default_configENS1_35radix_sort_onesweep_config_selectorIjN6thrust23THRUST_200600_302600_NS5tupleIffNS6_9null_typeES8_S8_S8_S8_S8_S8_S8_EEEEZZNS1_29radix_sort_onesweep_iterationIS3_Lb0ENS6_6detail15normal_iteratorINS6_10device_ptrIjEEEESG_NSD_INSE_IS9_EEEESI_jNS0_19identity_decomposerENS1_16block_id_wrapperIjLb0EEEEE10hipError_tT1_PNSt15iterator_traitsISN_E10value_typeET2_T3_PNSO_IST_E10value_typeET4_T5_PSY_SZ_PNS1_23onesweep_lookback_stateEbbT6_jjT7_P12ihipStream_tbENKUlT_T0_SN_SS_E_clIPjSG_PS9_SI_EEDaS16_S17_SN_SS_EUlS16_E_NS1_11comp_targetILNS1_3genE0ELNS1_11target_archE4294967295ELNS1_3gpuE0ELNS1_3repE0EEENS1_47radix_sort_onesweep_sort_config_static_selectorELNS0_4arch9wavefront6targetE1EEEvSN_ ; -- Begin function _ZN7rocprim17ROCPRIM_400000_NS6detail17trampoline_kernelINS0_14default_configENS1_35radix_sort_onesweep_config_selectorIjN6thrust23THRUST_200600_302600_NS5tupleIffNS6_9null_typeES8_S8_S8_S8_S8_S8_S8_EEEEZZNS1_29radix_sort_onesweep_iterationIS3_Lb0ENS6_6detail15normal_iteratorINS6_10device_ptrIjEEEESG_NSD_INSE_IS9_EEEESI_jNS0_19identity_decomposerENS1_16block_id_wrapperIjLb0EEEEE10hipError_tT1_PNSt15iterator_traitsISN_E10value_typeET2_T3_PNSO_IST_E10value_typeET4_T5_PSY_SZ_PNS1_23onesweep_lookback_stateEbbT6_jjT7_P12ihipStream_tbENKUlT_T0_SN_SS_E_clIPjSG_PS9_SI_EEDaS16_S17_SN_SS_EUlS16_E_NS1_11comp_targetILNS1_3genE0ELNS1_11target_archE4294967295ELNS1_3gpuE0ELNS1_3repE0EEENS1_47radix_sort_onesweep_sort_config_static_selectorELNS0_4arch9wavefront6targetE1EEEvSN_
	.globl	_ZN7rocprim17ROCPRIM_400000_NS6detail17trampoline_kernelINS0_14default_configENS1_35radix_sort_onesweep_config_selectorIjN6thrust23THRUST_200600_302600_NS5tupleIffNS6_9null_typeES8_S8_S8_S8_S8_S8_S8_EEEEZZNS1_29radix_sort_onesweep_iterationIS3_Lb0ENS6_6detail15normal_iteratorINS6_10device_ptrIjEEEESG_NSD_INSE_IS9_EEEESI_jNS0_19identity_decomposerENS1_16block_id_wrapperIjLb0EEEEE10hipError_tT1_PNSt15iterator_traitsISN_E10value_typeET2_T3_PNSO_IST_E10value_typeET4_T5_PSY_SZ_PNS1_23onesweep_lookback_stateEbbT6_jjT7_P12ihipStream_tbENKUlT_T0_SN_SS_E_clIPjSG_PS9_SI_EEDaS16_S17_SN_SS_EUlS16_E_NS1_11comp_targetILNS1_3genE0ELNS1_11target_archE4294967295ELNS1_3gpuE0ELNS1_3repE0EEENS1_47radix_sort_onesweep_sort_config_static_selectorELNS0_4arch9wavefront6targetE1EEEvSN_
	.p2align	8
	.type	_ZN7rocprim17ROCPRIM_400000_NS6detail17trampoline_kernelINS0_14default_configENS1_35radix_sort_onesweep_config_selectorIjN6thrust23THRUST_200600_302600_NS5tupleIffNS6_9null_typeES8_S8_S8_S8_S8_S8_S8_EEEEZZNS1_29radix_sort_onesweep_iterationIS3_Lb0ENS6_6detail15normal_iteratorINS6_10device_ptrIjEEEESG_NSD_INSE_IS9_EEEESI_jNS0_19identity_decomposerENS1_16block_id_wrapperIjLb0EEEEE10hipError_tT1_PNSt15iterator_traitsISN_E10value_typeET2_T3_PNSO_IST_E10value_typeET4_T5_PSY_SZ_PNS1_23onesweep_lookback_stateEbbT6_jjT7_P12ihipStream_tbENKUlT_T0_SN_SS_E_clIPjSG_PS9_SI_EEDaS16_S17_SN_SS_EUlS16_E_NS1_11comp_targetILNS1_3genE0ELNS1_11target_archE4294967295ELNS1_3gpuE0ELNS1_3repE0EEENS1_47radix_sort_onesweep_sort_config_static_selectorELNS0_4arch9wavefront6targetE1EEEvSN_,@function
_ZN7rocprim17ROCPRIM_400000_NS6detail17trampoline_kernelINS0_14default_configENS1_35radix_sort_onesweep_config_selectorIjN6thrust23THRUST_200600_302600_NS5tupleIffNS6_9null_typeES8_S8_S8_S8_S8_S8_S8_EEEEZZNS1_29radix_sort_onesweep_iterationIS3_Lb0ENS6_6detail15normal_iteratorINS6_10device_ptrIjEEEESG_NSD_INSE_IS9_EEEESI_jNS0_19identity_decomposerENS1_16block_id_wrapperIjLb0EEEEE10hipError_tT1_PNSt15iterator_traitsISN_E10value_typeET2_T3_PNSO_IST_E10value_typeET4_T5_PSY_SZ_PNS1_23onesweep_lookback_stateEbbT6_jjT7_P12ihipStream_tbENKUlT_T0_SN_SS_E_clIPjSG_PS9_SI_EEDaS16_S17_SN_SS_EUlS16_E_NS1_11comp_targetILNS1_3genE0ELNS1_11target_archE4294967295ELNS1_3gpuE0ELNS1_3repE0EEENS1_47radix_sort_onesweep_sort_config_static_selectorELNS0_4arch9wavefront6targetE1EEEvSN_: ; @_ZN7rocprim17ROCPRIM_400000_NS6detail17trampoline_kernelINS0_14default_configENS1_35radix_sort_onesweep_config_selectorIjN6thrust23THRUST_200600_302600_NS5tupleIffNS6_9null_typeES8_S8_S8_S8_S8_S8_S8_EEEEZZNS1_29radix_sort_onesweep_iterationIS3_Lb0ENS6_6detail15normal_iteratorINS6_10device_ptrIjEEEESG_NSD_INSE_IS9_EEEESI_jNS0_19identity_decomposerENS1_16block_id_wrapperIjLb0EEEEE10hipError_tT1_PNSt15iterator_traitsISN_E10value_typeET2_T3_PNSO_IST_E10value_typeET4_T5_PSY_SZ_PNS1_23onesweep_lookback_stateEbbT6_jjT7_P12ihipStream_tbENKUlT_T0_SN_SS_E_clIPjSG_PS9_SI_EEDaS16_S17_SN_SS_EUlS16_E_NS1_11comp_targetILNS1_3genE0ELNS1_11target_archE4294967295ELNS1_3gpuE0ELNS1_3repE0EEENS1_47radix_sort_onesweep_sort_config_static_selectorELNS0_4arch9wavefront6targetE1EEEvSN_
; %bb.0:
	.section	.rodata,"a",@progbits
	.p2align	6, 0x0
	.amdhsa_kernel _ZN7rocprim17ROCPRIM_400000_NS6detail17trampoline_kernelINS0_14default_configENS1_35radix_sort_onesweep_config_selectorIjN6thrust23THRUST_200600_302600_NS5tupleIffNS6_9null_typeES8_S8_S8_S8_S8_S8_S8_EEEEZZNS1_29radix_sort_onesweep_iterationIS3_Lb0ENS6_6detail15normal_iteratorINS6_10device_ptrIjEEEESG_NSD_INSE_IS9_EEEESI_jNS0_19identity_decomposerENS1_16block_id_wrapperIjLb0EEEEE10hipError_tT1_PNSt15iterator_traitsISN_E10value_typeET2_T3_PNSO_IST_E10value_typeET4_T5_PSY_SZ_PNS1_23onesweep_lookback_stateEbbT6_jjT7_P12ihipStream_tbENKUlT_T0_SN_SS_E_clIPjSG_PS9_SI_EEDaS16_S17_SN_SS_EUlS16_E_NS1_11comp_targetILNS1_3genE0ELNS1_11target_archE4294967295ELNS1_3gpuE0ELNS1_3repE0EEENS1_47radix_sort_onesweep_sort_config_static_selectorELNS0_4arch9wavefront6targetE1EEEvSN_
		.amdhsa_group_segment_fixed_size 0
		.amdhsa_private_segment_fixed_size 0
		.amdhsa_kernarg_size 88
		.amdhsa_user_sgpr_count 6
		.amdhsa_user_sgpr_private_segment_buffer 1
		.amdhsa_user_sgpr_dispatch_ptr 0
		.amdhsa_user_sgpr_queue_ptr 0
		.amdhsa_user_sgpr_kernarg_segment_ptr 1
		.amdhsa_user_sgpr_dispatch_id 0
		.amdhsa_user_sgpr_flat_scratch_init 0
		.amdhsa_user_sgpr_kernarg_preload_length 0
		.amdhsa_user_sgpr_kernarg_preload_offset 0
		.amdhsa_user_sgpr_private_segment_size 0
		.amdhsa_uses_dynamic_stack 0
		.amdhsa_system_sgpr_private_segment_wavefront_offset 0
		.amdhsa_system_sgpr_workgroup_id_x 1
		.amdhsa_system_sgpr_workgroup_id_y 0
		.amdhsa_system_sgpr_workgroup_id_z 0
		.amdhsa_system_sgpr_workgroup_info 0
		.amdhsa_system_vgpr_workitem_id 0
		.amdhsa_next_free_vgpr 1
		.amdhsa_next_free_sgpr 0
		.amdhsa_accum_offset 4
		.amdhsa_reserve_vcc 0
		.amdhsa_reserve_flat_scratch 0
		.amdhsa_float_round_mode_32 0
		.amdhsa_float_round_mode_16_64 0
		.amdhsa_float_denorm_mode_32 3
		.amdhsa_float_denorm_mode_16_64 3
		.amdhsa_dx10_clamp 1
		.amdhsa_ieee_mode 1
		.amdhsa_fp16_overflow 0
		.amdhsa_tg_split 0
		.amdhsa_exception_fp_ieee_invalid_op 0
		.amdhsa_exception_fp_denorm_src 0
		.amdhsa_exception_fp_ieee_div_zero 0
		.amdhsa_exception_fp_ieee_overflow 0
		.amdhsa_exception_fp_ieee_underflow 0
		.amdhsa_exception_fp_ieee_inexact 0
		.amdhsa_exception_int_div_zero 0
	.end_amdhsa_kernel
	.section	.text._ZN7rocprim17ROCPRIM_400000_NS6detail17trampoline_kernelINS0_14default_configENS1_35radix_sort_onesweep_config_selectorIjN6thrust23THRUST_200600_302600_NS5tupleIffNS6_9null_typeES8_S8_S8_S8_S8_S8_S8_EEEEZZNS1_29radix_sort_onesweep_iterationIS3_Lb0ENS6_6detail15normal_iteratorINS6_10device_ptrIjEEEESG_NSD_INSE_IS9_EEEESI_jNS0_19identity_decomposerENS1_16block_id_wrapperIjLb0EEEEE10hipError_tT1_PNSt15iterator_traitsISN_E10value_typeET2_T3_PNSO_IST_E10value_typeET4_T5_PSY_SZ_PNS1_23onesweep_lookback_stateEbbT6_jjT7_P12ihipStream_tbENKUlT_T0_SN_SS_E_clIPjSG_PS9_SI_EEDaS16_S17_SN_SS_EUlS16_E_NS1_11comp_targetILNS1_3genE0ELNS1_11target_archE4294967295ELNS1_3gpuE0ELNS1_3repE0EEENS1_47radix_sort_onesweep_sort_config_static_selectorELNS0_4arch9wavefront6targetE1EEEvSN_,"axG",@progbits,_ZN7rocprim17ROCPRIM_400000_NS6detail17trampoline_kernelINS0_14default_configENS1_35radix_sort_onesweep_config_selectorIjN6thrust23THRUST_200600_302600_NS5tupleIffNS6_9null_typeES8_S8_S8_S8_S8_S8_S8_EEEEZZNS1_29radix_sort_onesweep_iterationIS3_Lb0ENS6_6detail15normal_iteratorINS6_10device_ptrIjEEEESG_NSD_INSE_IS9_EEEESI_jNS0_19identity_decomposerENS1_16block_id_wrapperIjLb0EEEEE10hipError_tT1_PNSt15iterator_traitsISN_E10value_typeET2_T3_PNSO_IST_E10value_typeET4_T5_PSY_SZ_PNS1_23onesweep_lookback_stateEbbT6_jjT7_P12ihipStream_tbENKUlT_T0_SN_SS_E_clIPjSG_PS9_SI_EEDaS16_S17_SN_SS_EUlS16_E_NS1_11comp_targetILNS1_3genE0ELNS1_11target_archE4294967295ELNS1_3gpuE0ELNS1_3repE0EEENS1_47radix_sort_onesweep_sort_config_static_selectorELNS0_4arch9wavefront6targetE1EEEvSN_,comdat
.Lfunc_end220:
	.size	_ZN7rocprim17ROCPRIM_400000_NS6detail17trampoline_kernelINS0_14default_configENS1_35radix_sort_onesweep_config_selectorIjN6thrust23THRUST_200600_302600_NS5tupleIffNS6_9null_typeES8_S8_S8_S8_S8_S8_S8_EEEEZZNS1_29radix_sort_onesweep_iterationIS3_Lb0ENS6_6detail15normal_iteratorINS6_10device_ptrIjEEEESG_NSD_INSE_IS9_EEEESI_jNS0_19identity_decomposerENS1_16block_id_wrapperIjLb0EEEEE10hipError_tT1_PNSt15iterator_traitsISN_E10value_typeET2_T3_PNSO_IST_E10value_typeET4_T5_PSY_SZ_PNS1_23onesweep_lookback_stateEbbT6_jjT7_P12ihipStream_tbENKUlT_T0_SN_SS_E_clIPjSG_PS9_SI_EEDaS16_S17_SN_SS_EUlS16_E_NS1_11comp_targetILNS1_3genE0ELNS1_11target_archE4294967295ELNS1_3gpuE0ELNS1_3repE0EEENS1_47radix_sort_onesweep_sort_config_static_selectorELNS0_4arch9wavefront6targetE1EEEvSN_, .Lfunc_end220-_ZN7rocprim17ROCPRIM_400000_NS6detail17trampoline_kernelINS0_14default_configENS1_35radix_sort_onesweep_config_selectorIjN6thrust23THRUST_200600_302600_NS5tupleIffNS6_9null_typeES8_S8_S8_S8_S8_S8_S8_EEEEZZNS1_29radix_sort_onesweep_iterationIS3_Lb0ENS6_6detail15normal_iteratorINS6_10device_ptrIjEEEESG_NSD_INSE_IS9_EEEESI_jNS0_19identity_decomposerENS1_16block_id_wrapperIjLb0EEEEE10hipError_tT1_PNSt15iterator_traitsISN_E10value_typeET2_T3_PNSO_IST_E10value_typeET4_T5_PSY_SZ_PNS1_23onesweep_lookback_stateEbbT6_jjT7_P12ihipStream_tbENKUlT_T0_SN_SS_E_clIPjSG_PS9_SI_EEDaS16_S17_SN_SS_EUlS16_E_NS1_11comp_targetILNS1_3genE0ELNS1_11target_archE4294967295ELNS1_3gpuE0ELNS1_3repE0EEENS1_47radix_sort_onesweep_sort_config_static_selectorELNS0_4arch9wavefront6targetE1EEEvSN_
                                        ; -- End function
	.section	.AMDGPU.csdata,"",@progbits
; Kernel info:
; codeLenInByte = 0
; NumSgprs: 4
; NumVgprs: 0
; NumAgprs: 0
; TotalNumVgprs: 0
; ScratchSize: 0
; MemoryBound: 0
; FloatMode: 240
; IeeeMode: 1
; LDSByteSize: 0 bytes/workgroup (compile time only)
; SGPRBlocks: 0
; VGPRBlocks: 0
; NumSGPRsForWavesPerEU: 4
; NumVGPRsForWavesPerEU: 1
; AccumOffset: 4
; Occupancy: 8
; WaveLimiterHint : 0
; COMPUTE_PGM_RSRC2:SCRATCH_EN: 0
; COMPUTE_PGM_RSRC2:USER_SGPR: 6
; COMPUTE_PGM_RSRC2:TRAP_HANDLER: 0
; COMPUTE_PGM_RSRC2:TGID_X_EN: 1
; COMPUTE_PGM_RSRC2:TGID_Y_EN: 0
; COMPUTE_PGM_RSRC2:TGID_Z_EN: 0
; COMPUTE_PGM_RSRC2:TIDIG_COMP_CNT: 0
; COMPUTE_PGM_RSRC3_GFX90A:ACCUM_OFFSET: 0
; COMPUTE_PGM_RSRC3_GFX90A:TG_SPLIT: 0
	.section	.text._ZN7rocprim17ROCPRIM_400000_NS6detail17trampoline_kernelINS0_14default_configENS1_35radix_sort_onesweep_config_selectorIjN6thrust23THRUST_200600_302600_NS5tupleIffNS6_9null_typeES8_S8_S8_S8_S8_S8_S8_EEEEZZNS1_29radix_sort_onesweep_iterationIS3_Lb0ENS6_6detail15normal_iteratorINS6_10device_ptrIjEEEESG_NSD_INSE_IS9_EEEESI_jNS0_19identity_decomposerENS1_16block_id_wrapperIjLb0EEEEE10hipError_tT1_PNSt15iterator_traitsISN_E10value_typeET2_T3_PNSO_IST_E10value_typeET4_T5_PSY_SZ_PNS1_23onesweep_lookback_stateEbbT6_jjT7_P12ihipStream_tbENKUlT_T0_SN_SS_E_clIPjSG_PS9_SI_EEDaS16_S17_SN_SS_EUlS16_E_NS1_11comp_targetILNS1_3genE6ELNS1_11target_archE950ELNS1_3gpuE13ELNS1_3repE0EEENS1_47radix_sort_onesweep_sort_config_static_selectorELNS0_4arch9wavefront6targetE1EEEvSN_,"axG",@progbits,_ZN7rocprim17ROCPRIM_400000_NS6detail17trampoline_kernelINS0_14default_configENS1_35radix_sort_onesweep_config_selectorIjN6thrust23THRUST_200600_302600_NS5tupleIffNS6_9null_typeES8_S8_S8_S8_S8_S8_S8_EEEEZZNS1_29radix_sort_onesweep_iterationIS3_Lb0ENS6_6detail15normal_iteratorINS6_10device_ptrIjEEEESG_NSD_INSE_IS9_EEEESI_jNS0_19identity_decomposerENS1_16block_id_wrapperIjLb0EEEEE10hipError_tT1_PNSt15iterator_traitsISN_E10value_typeET2_T3_PNSO_IST_E10value_typeET4_T5_PSY_SZ_PNS1_23onesweep_lookback_stateEbbT6_jjT7_P12ihipStream_tbENKUlT_T0_SN_SS_E_clIPjSG_PS9_SI_EEDaS16_S17_SN_SS_EUlS16_E_NS1_11comp_targetILNS1_3genE6ELNS1_11target_archE950ELNS1_3gpuE13ELNS1_3repE0EEENS1_47radix_sort_onesweep_sort_config_static_selectorELNS0_4arch9wavefront6targetE1EEEvSN_,comdat
	.protected	_ZN7rocprim17ROCPRIM_400000_NS6detail17trampoline_kernelINS0_14default_configENS1_35radix_sort_onesweep_config_selectorIjN6thrust23THRUST_200600_302600_NS5tupleIffNS6_9null_typeES8_S8_S8_S8_S8_S8_S8_EEEEZZNS1_29radix_sort_onesweep_iterationIS3_Lb0ENS6_6detail15normal_iteratorINS6_10device_ptrIjEEEESG_NSD_INSE_IS9_EEEESI_jNS0_19identity_decomposerENS1_16block_id_wrapperIjLb0EEEEE10hipError_tT1_PNSt15iterator_traitsISN_E10value_typeET2_T3_PNSO_IST_E10value_typeET4_T5_PSY_SZ_PNS1_23onesweep_lookback_stateEbbT6_jjT7_P12ihipStream_tbENKUlT_T0_SN_SS_E_clIPjSG_PS9_SI_EEDaS16_S17_SN_SS_EUlS16_E_NS1_11comp_targetILNS1_3genE6ELNS1_11target_archE950ELNS1_3gpuE13ELNS1_3repE0EEENS1_47radix_sort_onesweep_sort_config_static_selectorELNS0_4arch9wavefront6targetE1EEEvSN_ ; -- Begin function _ZN7rocprim17ROCPRIM_400000_NS6detail17trampoline_kernelINS0_14default_configENS1_35radix_sort_onesweep_config_selectorIjN6thrust23THRUST_200600_302600_NS5tupleIffNS6_9null_typeES8_S8_S8_S8_S8_S8_S8_EEEEZZNS1_29radix_sort_onesweep_iterationIS3_Lb0ENS6_6detail15normal_iteratorINS6_10device_ptrIjEEEESG_NSD_INSE_IS9_EEEESI_jNS0_19identity_decomposerENS1_16block_id_wrapperIjLb0EEEEE10hipError_tT1_PNSt15iterator_traitsISN_E10value_typeET2_T3_PNSO_IST_E10value_typeET4_T5_PSY_SZ_PNS1_23onesweep_lookback_stateEbbT6_jjT7_P12ihipStream_tbENKUlT_T0_SN_SS_E_clIPjSG_PS9_SI_EEDaS16_S17_SN_SS_EUlS16_E_NS1_11comp_targetILNS1_3genE6ELNS1_11target_archE950ELNS1_3gpuE13ELNS1_3repE0EEENS1_47radix_sort_onesweep_sort_config_static_selectorELNS0_4arch9wavefront6targetE1EEEvSN_
	.globl	_ZN7rocprim17ROCPRIM_400000_NS6detail17trampoline_kernelINS0_14default_configENS1_35radix_sort_onesweep_config_selectorIjN6thrust23THRUST_200600_302600_NS5tupleIffNS6_9null_typeES8_S8_S8_S8_S8_S8_S8_EEEEZZNS1_29radix_sort_onesweep_iterationIS3_Lb0ENS6_6detail15normal_iteratorINS6_10device_ptrIjEEEESG_NSD_INSE_IS9_EEEESI_jNS0_19identity_decomposerENS1_16block_id_wrapperIjLb0EEEEE10hipError_tT1_PNSt15iterator_traitsISN_E10value_typeET2_T3_PNSO_IST_E10value_typeET4_T5_PSY_SZ_PNS1_23onesweep_lookback_stateEbbT6_jjT7_P12ihipStream_tbENKUlT_T0_SN_SS_E_clIPjSG_PS9_SI_EEDaS16_S17_SN_SS_EUlS16_E_NS1_11comp_targetILNS1_3genE6ELNS1_11target_archE950ELNS1_3gpuE13ELNS1_3repE0EEENS1_47radix_sort_onesweep_sort_config_static_selectorELNS0_4arch9wavefront6targetE1EEEvSN_
	.p2align	8
	.type	_ZN7rocprim17ROCPRIM_400000_NS6detail17trampoline_kernelINS0_14default_configENS1_35radix_sort_onesweep_config_selectorIjN6thrust23THRUST_200600_302600_NS5tupleIffNS6_9null_typeES8_S8_S8_S8_S8_S8_S8_EEEEZZNS1_29radix_sort_onesweep_iterationIS3_Lb0ENS6_6detail15normal_iteratorINS6_10device_ptrIjEEEESG_NSD_INSE_IS9_EEEESI_jNS0_19identity_decomposerENS1_16block_id_wrapperIjLb0EEEEE10hipError_tT1_PNSt15iterator_traitsISN_E10value_typeET2_T3_PNSO_IST_E10value_typeET4_T5_PSY_SZ_PNS1_23onesweep_lookback_stateEbbT6_jjT7_P12ihipStream_tbENKUlT_T0_SN_SS_E_clIPjSG_PS9_SI_EEDaS16_S17_SN_SS_EUlS16_E_NS1_11comp_targetILNS1_3genE6ELNS1_11target_archE950ELNS1_3gpuE13ELNS1_3repE0EEENS1_47radix_sort_onesweep_sort_config_static_selectorELNS0_4arch9wavefront6targetE1EEEvSN_,@function
_ZN7rocprim17ROCPRIM_400000_NS6detail17trampoline_kernelINS0_14default_configENS1_35radix_sort_onesweep_config_selectorIjN6thrust23THRUST_200600_302600_NS5tupleIffNS6_9null_typeES8_S8_S8_S8_S8_S8_S8_EEEEZZNS1_29radix_sort_onesweep_iterationIS3_Lb0ENS6_6detail15normal_iteratorINS6_10device_ptrIjEEEESG_NSD_INSE_IS9_EEEESI_jNS0_19identity_decomposerENS1_16block_id_wrapperIjLb0EEEEE10hipError_tT1_PNSt15iterator_traitsISN_E10value_typeET2_T3_PNSO_IST_E10value_typeET4_T5_PSY_SZ_PNS1_23onesweep_lookback_stateEbbT6_jjT7_P12ihipStream_tbENKUlT_T0_SN_SS_E_clIPjSG_PS9_SI_EEDaS16_S17_SN_SS_EUlS16_E_NS1_11comp_targetILNS1_3genE6ELNS1_11target_archE950ELNS1_3gpuE13ELNS1_3repE0EEENS1_47radix_sort_onesweep_sort_config_static_selectorELNS0_4arch9wavefront6targetE1EEEvSN_: ; @_ZN7rocprim17ROCPRIM_400000_NS6detail17trampoline_kernelINS0_14default_configENS1_35radix_sort_onesweep_config_selectorIjN6thrust23THRUST_200600_302600_NS5tupleIffNS6_9null_typeES8_S8_S8_S8_S8_S8_S8_EEEEZZNS1_29radix_sort_onesweep_iterationIS3_Lb0ENS6_6detail15normal_iteratorINS6_10device_ptrIjEEEESG_NSD_INSE_IS9_EEEESI_jNS0_19identity_decomposerENS1_16block_id_wrapperIjLb0EEEEE10hipError_tT1_PNSt15iterator_traitsISN_E10value_typeET2_T3_PNSO_IST_E10value_typeET4_T5_PSY_SZ_PNS1_23onesweep_lookback_stateEbbT6_jjT7_P12ihipStream_tbENKUlT_T0_SN_SS_E_clIPjSG_PS9_SI_EEDaS16_S17_SN_SS_EUlS16_E_NS1_11comp_targetILNS1_3genE6ELNS1_11target_archE950ELNS1_3gpuE13ELNS1_3repE0EEENS1_47radix_sort_onesweep_sort_config_static_selectorELNS0_4arch9wavefront6targetE1EEEvSN_
; %bb.0:
	.section	.rodata,"a",@progbits
	.p2align	6, 0x0
	.amdhsa_kernel _ZN7rocprim17ROCPRIM_400000_NS6detail17trampoline_kernelINS0_14default_configENS1_35radix_sort_onesweep_config_selectorIjN6thrust23THRUST_200600_302600_NS5tupleIffNS6_9null_typeES8_S8_S8_S8_S8_S8_S8_EEEEZZNS1_29radix_sort_onesweep_iterationIS3_Lb0ENS6_6detail15normal_iteratorINS6_10device_ptrIjEEEESG_NSD_INSE_IS9_EEEESI_jNS0_19identity_decomposerENS1_16block_id_wrapperIjLb0EEEEE10hipError_tT1_PNSt15iterator_traitsISN_E10value_typeET2_T3_PNSO_IST_E10value_typeET4_T5_PSY_SZ_PNS1_23onesweep_lookback_stateEbbT6_jjT7_P12ihipStream_tbENKUlT_T0_SN_SS_E_clIPjSG_PS9_SI_EEDaS16_S17_SN_SS_EUlS16_E_NS1_11comp_targetILNS1_3genE6ELNS1_11target_archE950ELNS1_3gpuE13ELNS1_3repE0EEENS1_47radix_sort_onesweep_sort_config_static_selectorELNS0_4arch9wavefront6targetE1EEEvSN_
		.amdhsa_group_segment_fixed_size 0
		.amdhsa_private_segment_fixed_size 0
		.amdhsa_kernarg_size 88
		.amdhsa_user_sgpr_count 6
		.amdhsa_user_sgpr_private_segment_buffer 1
		.amdhsa_user_sgpr_dispatch_ptr 0
		.amdhsa_user_sgpr_queue_ptr 0
		.amdhsa_user_sgpr_kernarg_segment_ptr 1
		.amdhsa_user_sgpr_dispatch_id 0
		.amdhsa_user_sgpr_flat_scratch_init 0
		.amdhsa_user_sgpr_kernarg_preload_length 0
		.amdhsa_user_sgpr_kernarg_preload_offset 0
		.amdhsa_user_sgpr_private_segment_size 0
		.amdhsa_uses_dynamic_stack 0
		.amdhsa_system_sgpr_private_segment_wavefront_offset 0
		.amdhsa_system_sgpr_workgroup_id_x 1
		.amdhsa_system_sgpr_workgroup_id_y 0
		.amdhsa_system_sgpr_workgroup_id_z 0
		.amdhsa_system_sgpr_workgroup_info 0
		.amdhsa_system_vgpr_workitem_id 0
		.amdhsa_next_free_vgpr 1
		.amdhsa_next_free_sgpr 0
		.amdhsa_accum_offset 4
		.amdhsa_reserve_vcc 0
		.amdhsa_reserve_flat_scratch 0
		.amdhsa_float_round_mode_32 0
		.amdhsa_float_round_mode_16_64 0
		.amdhsa_float_denorm_mode_32 3
		.amdhsa_float_denorm_mode_16_64 3
		.amdhsa_dx10_clamp 1
		.amdhsa_ieee_mode 1
		.amdhsa_fp16_overflow 0
		.amdhsa_tg_split 0
		.amdhsa_exception_fp_ieee_invalid_op 0
		.amdhsa_exception_fp_denorm_src 0
		.amdhsa_exception_fp_ieee_div_zero 0
		.amdhsa_exception_fp_ieee_overflow 0
		.amdhsa_exception_fp_ieee_underflow 0
		.amdhsa_exception_fp_ieee_inexact 0
		.amdhsa_exception_int_div_zero 0
	.end_amdhsa_kernel
	.section	.text._ZN7rocprim17ROCPRIM_400000_NS6detail17trampoline_kernelINS0_14default_configENS1_35radix_sort_onesweep_config_selectorIjN6thrust23THRUST_200600_302600_NS5tupleIffNS6_9null_typeES8_S8_S8_S8_S8_S8_S8_EEEEZZNS1_29radix_sort_onesweep_iterationIS3_Lb0ENS6_6detail15normal_iteratorINS6_10device_ptrIjEEEESG_NSD_INSE_IS9_EEEESI_jNS0_19identity_decomposerENS1_16block_id_wrapperIjLb0EEEEE10hipError_tT1_PNSt15iterator_traitsISN_E10value_typeET2_T3_PNSO_IST_E10value_typeET4_T5_PSY_SZ_PNS1_23onesweep_lookback_stateEbbT6_jjT7_P12ihipStream_tbENKUlT_T0_SN_SS_E_clIPjSG_PS9_SI_EEDaS16_S17_SN_SS_EUlS16_E_NS1_11comp_targetILNS1_3genE6ELNS1_11target_archE950ELNS1_3gpuE13ELNS1_3repE0EEENS1_47radix_sort_onesweep_sort_config_static_selectorELNS0_4arch9wavefront6targetE1EEEvSN_,"axG",@progbits,_ZN7rocprim17ROCPRIM_400000_NS6detail17trampoline_kernelINS0_14default_configENS1_35radix_sort_onesweep_config_selectorIjN6thrust23THRUST_200600_302600_NS5tupleIffNS6_9null_typeES8_S8_S8_S8_S8_S8_S8_EEEEZZNS1_29radix_sort_onesweep_iterationIS3_Lb0ENS6_6detail15normal_iteratorINS6_10device_ptrIjEEEESG_NSD_INSE_IS9_EEEESI_jNS0_19identity_decomposerENS1_16block_id_wrapperIjLb0EEEEE10hipError_tT1_PNSt15iterator_traitsISN_E10value_typeET2_T3_PNSO_IST_E10value_typeET4_T5_PSY_SZ_PNS1_23onesweep_lookback_stateEbbT6_jjT7_P12ihipStream_tbENKUlT_T0_SN_SS_E_clIPjSG_PS9_SI_EEDaS16_S17_SN_SS_EUlS16_E_NS1_11comp_targetILNS1_3genE6ELNS1_11target_archE950ELNS1_3gpuE13ELNS1_3repE0EEENS1_47radix_sort_onesweep_sort_config_static_selectorELNS0_4arch9wavefront6targetE1EEEvSN_,comdat
.Lfunc_end221:
	.size	_ZN7rocprim17ROCPRIM_400000_NS6detail17trampoline_kernelINS0_14default_configENS1_35radix_sort_onesweep_config_selectorIjN6thrust23THRUST_200600_302600_NS5tupleIffNS6_9null_typeES8_S8_S8_S8_S8_S8_S8_EEEEZZNS1_29radix_sort_onesweep_iterationIS3_Lb0ENS6_6detail15normal_iteratorINS6_10device_ptrIjEEEESG_NSD_INSE_IS9_EEEESI_jNS0_19identity_decomposerENS1_16block_id_wrapperIjLb0EEEEE10hipError_tT1_PNSt15iterator_traitsISN_E10value_typeET2_T3_PNSO_IST_E10value_typeET4_T5_PSY_SZ_PNS1_23onesweep_lookback_stateEbbT6_jjT7_P12ihipStream_tbENKUlT_T0_SN_SS_E_clIPjSG_PS9_SI_EEDaS16_S17_SN_SS_EUlS16_E_NS1_11comp_targetILNS1_3genE6ELNS1_11target_archE950ELNS1_3gpuE13ELNS1_3repE0EEENS1_47radix_sort_onesweep_sort_config_static_selectorELNS0_4arch9wavefront6targetE1EEEvSN_, .Lfunc_end221-_ZN7rocprim17ROCPRIM_400000_NS6detail17trampoline_kernelINS0_14default_configENS1_35radix_sort_onesweep_config_selectorIjN6thrust23THRUST_200600_302600_NS5tupleIffNS6_9null_typeES8_S8_S8_S8_S8_S8_S8_EEEEZZNS1_29radix_sort_onesweep_iterationIS3_Lb0ENS6_6detail15normal_iteratorINS6_10device_ptrIjEEEESG_NSD_INSE_IS9_EEEESI_jNS0_19identity_decomposerENS1_16block_id_wrapperIjLb0EEEEE10hipError_tT1_PNSt15iterator_traitsISN_E10value_typeET2_T3_PNSO_IST_E10value_typeET4_T5_PSY_SZ_PNS1_23onesweep_lookback_stateEbbT6_jjT7_P12ihipStream_tbENKUlT_T0_SN_SS_E_clIPjSG_PS9_SI_EEDaS16_S17_SN_SS_EUlS16_E_NS1_11comp_targetILNS1_3genE6ELNS1_11target_archE950ELNS1_3gpuE13ELNS1_3repE0EEENS1_47radix_sort_onesweep_sort_config_static_selectorELNS0_4arch9wavefront6targetE1EEEvSN_
                                        ; -- End function
	.section	.AMDGPU.csdata,"",@progbits
; Kernel info:
; codeLenInByte = 0
; NumSgprs: 4
; NumVgprs: 0
; NumAgprs: 0
; TotalNumVgprs: 0
; ScratchSize: 0
; MemoryBound: 0
; FloatMode: 240
; IeeeMode: 1
; LDSByteSize: 0 bytes/workgroup (compile time only)
; SGPRBlocks: 0
; VGPRBlocks: 0
; NumSGPRsForWavesPerEU: 4
; NumVGPRsForWavesPerEU: 1
; AccumOffset: 4
; Occupancy: 8
; WaveLimiterHint : 0
; COMPUTE_PGM_RSRC2:SCRATCH_EN: 0
; COMPUTE_PGM_RSRC2:USER_SGPR: 6
; COMPUTE_PGM_RSRC2:TRAP_HANDLER: 0
; COMPUTE_PGM_RSRC2:TGID_X_EN: 1
; COMPUTE_PGM_RSRC2:TGID_Y_EN: 0
; COMPUTE_PGM_RSRC2:TGID_Z_EN: 0
; COMPUTE_PGM_RSRC2:TIDIG_COMP_CNT: 0
; COMPUTE_PGM_RSRC3_GFX90A:ACCUM_OFFSET: 0
; COMPUTE_PGM_RSRC3_GFX90A:TG_SPLIT: 0
	.section	.text._ZN7rocprim17ROCPRIM_400000_NS6detail17trampoline_kernelINS0_14default_configENS1_35radix_sort_onesweep_config_selectorIjN6thrust23THRUST_200600_302600_NS5tupleIffNS6_9null_typeES8_S8_S8_S8_S8_S8_S8_EEEEZZNS1_29radix_sort_onesweep_iterationIS3_Lb0ENS6_6detail15normal_iteratorINS6_10device_ptrIjEEEESG_NSD_INSE_IS9_EEEESI_jNS0_19identity_decomposerENS1_16block_id_wrapperIjLb0EEEEE10hipError_tT1_PNSt15iterator_traitsISN_E10value_typeET2_T3_PNSO_IST_E10value_typeET4_T5_PSY_SZ_PNS1_23onesweep_lookback_stateEbbT6_jjT7_P12ihipStream_tbENKUlT_T0_SN_SS_E_clIPjSG_PS9_SI_EEDaS16_S17_SN_SS_EUlS16_E_NS1_11comp_targetILNS1_3genE5ELNS1_11target_archE942ELNS1_3gpuE9ELNS1_3repE0EEENS1_47radix_sort_onesweep_sort_config_static_selectorELNS0_4arch9wavefront6targetE1EEEvSN_,"axG",@progbits,_ZN7rocprim17ROCPRIM_400000_NS6detail17trampoline_kernelINS0_14default_configENS1_35radix_sort_onesweep_config_selectorIjN6thrust23THRUST_200600_302600_NS5tupleIffNS6_9null_typeES8_S8_S8_S8_S8_S8_S8_EEEEZZNS1_29radix_sort_onesweep_iterationIS3_Lb0ENS6_6detail15normal_iteratorINS6_10device_ptrIjEEEESG_NSD_INSE_IS9_EEEESI_jNS0_19identity_decomposerENS1_16block_id_wrapperIjLb0EEEEE10hipError_tT1_PNSt15iterator_traitsISN_E10value_typeET2_T3_PNSO_IST_E10value_typeET4_T5_PSY_SZ_PNS1_23onesweep_lookback_stateEbbT6_jjT7_P12ihipStream_tbENKUlT_T0_SN_SS_E_clIPjSG_PS9_SI_EEDaS16_S17_SN_SS_EUlS16_E_NS1_11comp_targetILNS1_3genE5ELNS1_11target_archE942ELNS1_3gpuE9ELNS1_3repE0EEENS1_47radix_sort_onesweep_sort_config_static_selectorELNS0_4arch9wavefront6targetE1EEEvSN_,comdat
	.protected	_ZN7rocprim17ROCPRIM_400000_NS6detail17trampoline_kernelINS0_14default_configENS1_35radix_sort_onesweep_config_selectorIjN6thrust23THRUST_200600_302600_NS5tupleIffNS6_9null_typeES8_S8_S8_S8_S8_S8_S8_EEEEZZNS1_29radix_sort_onesweep_iterationIS3_Lb0ENS6_6detail15normal_iteratorINS6_10device_ptrIjEEEESG_NSD_INSE_IS9_EEEESI_jNS0_19identity_decomposerENS1_16block_id_wrapperIjLb0EEEEE10hipError_tT1_PNSt15iterator_traitsISN_E10value_typeET2_T3_PNSO_IST_E10value_typeET4_T5_PSY_SZ_PNS1_23onesweep_lookback_stateEbbT6_jjT7_P12ihipStream_tbENKUlT_T0_SN_SS_E_clIPjSG_PS9_SI_EEDaS16_S17_SN_SS_EUlS16_E_NS1_11comp_targetILNS1_3genE5ELNS1_11target_archE942ELNS1_3gpuE9ELNS1_3repE0EEENS1_47radix_sort_onesweep_sort_config_static_selectorELNS0_4arch9wavefront6targetE1EEEvSN_ ; -- Begin function _ZN7rocprim17ROCPRIM_400000_NS6detail17trampoline_kernelINS0_14default_configENS1_35radix_sort_onesweep_config_selectorIjN6thrust23THRUST_200600_302600_NS5tupleIffNS6_9null_typeES8_S8_S8_S8_S8_S8_S8_EEEEZZNS1_29radix_sort_onesweep_iterationIS3_Lb0ENS6_6detail15normal_iteratorINS6_10device_ptrIjEEEESG_NSD_INSE_IS9_EEEESI_jNS0_19identity_decomposerENS1_16block_id_wrapperIjLb0EEEEE10hipError_tT1_PNSt15iterator_traitsISN_E10value_typeET2_T3_PNSO_IST_E10value_typeET4_T5_PSY_SZ_PNS1_23onesweep_lookback_stateEbbT6_jjT7_P12ihipStream_tbENKUlT_T0_SN_SS_E_clIPjSG_PS9_SI_EEDaS16_S17_SN_SS_EUlS16_E_NS1_11comp_targetILNS1_3genE5ELNS1_11target_archE942ELNS1_3gpuE9ELNS1_3repE0EEENS1_47radix_sort_onesweep_sort_config_static_selectorELNS0_4arch9wavefront6targetE1EEEvSN_
	.globl	_ZN7rocprim17ROCPRIM_400000_NS6detail17trampoline_kernelINS0_14default_configENS1_35radix_sort_onesweep_config_selectorIjN6thrust23THRUST_200600_302600_NS5tupleIffNS6_9null_typeES8_S8_S8_S8_S8_S8_S8_EEEEZZNS1_29radix_sort_onesweep_iterationIS3_Lb0ENS6_6detail15normal_iteratorINS6_10device_ptrIjEEEESG_NSD_INSE_IS9_EEEESI_jNS0_19identity_decomposerENS1_16block_id_wrapperIjLb0EEEEE10hipError_tT1_PNSt15iterator_traitsISN_E10value_typeET2_T3_PNSO_IST_E10value_typeET4_T5_PSY_SZ_PNS1_23onesweep_lookback_stateEbbT6_jjT7_P12ihipStream_tbENKUlT_T0_SN_SS_E_clIPjSG_PS9_SI_EEDaS16_S17_SN_SS_EUlS16_E_NS1_11comp_targetILNS1_3genE5ELNS1_11target_archE942ELNS1_3gpuE9ELNS1_3repE0EEENS1_47radix_sort_onesweep_sort_config_static_selectorELNS0_4arch9wavefront6targetE1EEEvSN_
	.p2align	8
	.type	_ZN7rocprim17ROCPRIM_400000_NS6detail17trampoline_kernelINS0_14default_configENS1_35radix_sort_onesweep_config_selectorIjN6thrust23THRUST_200600_302600_NS5tupleIffNS6_9null_typeES8_S8_S8_S8_S8_S8_S8_EEEEZZNS1_29radix_sort_onesweep_iterationIS3_Lb0ENS6_6detail15normal_iteratorINS6_10device_ptrIjEEEESG_NSD_INSE_IS9_EEEESI_jNS0_19identity_decomposerENS1_16block_id_wrapperIjLb0EEEEE10hipError_tT1_PNSt15iterator_traitsISN_E10value_typeET2_T3_PNSO_IST_E10value_typeET4_T5_PSY_SZ_PNS1_23onesweep_lookback_stateEbbT6_jjT7_P12ihipStream_tbENKUlT_T0_SN_SS_E_clIPjSG_PS9_SI_EEDaS16_S17_SN_SS_EUlS16_E_NS1_11comp_targetILNS1_3genE5ELNS1_11target_archE942ELNS1_3gpuE9ELNS1_3repE0EEENS1_47radix_sort_onesweep_sort_config_static_selectorELNS0_4arch9wavefront6targetE1EEEvSN_,@function
_ZN7rocprim17ROCPRIM_400000_NS6detail17trampoline_kernelINS0_14default_configENS1_35radix_sort_onesweep_config_selectorIjN6thrust23THRUST_200600_302600_NS5tupleIffNS6_9null_typeES8_S8_S8_S8_S8_S8_S8_EEEEZZNS1_29radix_sort_onesweep_iterationIS3_Lb0ENS6_6detail15normal_iteratorINS6_10device_ptrIjEEEESG_NSD_INSE_IS9_EEEESI_jNS0_19identity_decomposerENS1_16block_id_wrapperIjLb0EEEEE10hipError_tT1_PNSt15iterator_traitsISN_E10value_typeET2_T3_PNSO_IST_E10value_typeET4_T5_PSY_SZ_PNS1_23onesweep_lookback_stateEbbT6_jjT7_P12ihipStream_tbENKUlT_T0_SN_SS_E_clIPjSG_PS9_SI_EEDaS16_S17_SN_SS_EUlS16_E_NS1_11comp_targetILNS1_3genE5ELNS1_11target_archE942ELNS1_3gpuE9ELNS1_3repE0EEENS1_47radix_sort_onesweep_sort_config_static_selectorELNS0_4arch9wavefront6targetE1EEEvSN_: ; @_ZN7rocprim17ROCPRIM_400000_NS6detail17trampoline_kernelINS0_14default_configENS1_35radix_sort_onesweep_config_selectorIjN6thrust23THRUST_200600_302600_NS5tupleIffNS6_9null_typeES8_S8_S8_S8_S8_S8_S8_EEEEZZNS1_29radix_sort_onesweep_iterationIS3_Lb0ENS6_6detail15normal_iteratorINS6_10device_ptrIjEEEESG_NSD_INSE_IS9_EEEESI_jNS0_19identity_decomposerENS1_16block_id_wrapperIjLb0EEEEE10hipError_tT1_PNSt15iterator_traitsISN_E10value_typeET2_T3_PNSO_IST_E10value_typeET4_T5_PSY_SZ_PNS1_23onesweep_lookback_stateEbbT6_jjT7_P12ihipStream_tbENKUlT_T0_SN_SS_E_clIPjSG_PS9_SI_EEDaS16_S17_SN_SS_EUlS16_E_NS1_11comp_targetILNS1_3genE5ELNS1_11target_archE942ELNS1_3gpuE9ELNS1_3repE0EEENS1_47radix_sort_onesweep_sort_config_static_selectorELNS0_4arch9wavefront6targetE1EEEvSN_
; %bb.0:
	.section	.rodata,"a",@progbits
	.p2align	6, 0x0
	.amdhsa_kernel _ZN7rocprim17ROCPRIM_400000_NS6detail17trampoline_kernelINS0_14default_configENS1_35radix_sort_onesweep_config_selectorIjN6thrust23THRUST_200600_302600_NS5tupleIffNS6_9null_typeES8_S8_S8_S8_S8_S8_S8_EEEEZZNS1_29radix_sort_onesweep_iterationIS3_Lb0ENS6_6detail15normal_iteratorINS6_10device_ptrIjEEEESG_NSD_INSE_IS9_EEEESI_jNS0_19identity_decomposerENS1_16block_id_wrapperIjLb0EEEEE10hipError_tT1_PNSt15iterator_traitsISN_E10value_typeET2_T3_PNSO_IST_E10value_typeET4_T5_PSY_SZ_PNS1_23onesweep_lookback_stateEbbT6_jjT7_P12ihipStream_tbENKUlT_T0_SN_SS_E_clIPjSG_PS9_SI_EEDaS16_S17_SN_SS_EUlS16_E_NS1_11comp_targetILNS1_3genE5ELNS1_11target_archE942ELNS1_3gpuE9ELNS1_3repE0EEENS1_47radix_sort_onesweep_sort_config_static_selectorELNS0_4arch9wavefront6targetE1EEEvSN_
		.amdhsa_group_segment_fixed_size 0
		.amdhsa_private_segment_fixed_size 0
		.amdhsa_kernarg_size 88
		.amdhsa_user_sgpr_count 6
		.amdhsa_user_sgpr_private_segment_buffer 1
		.amdhsa_user_sgpr_dispatch_ptr 0
		.amdhsa_user_sgpr_queue_ptr 0
		.amdhsa_user_sgpr_kernarg_segment_ptr 1
		.amdhsa_user_sgpr_dispatch_id 0
		.amdhsa_user_sgpr_flat_scratch_init 0
		.amdhsa_user_sgpr_kernarg_preload_length 0
		.amdhsa_user_sgpr_kernarg_preload_offset 0
		.amdhsa_user_sgpr_private_segment_size 0
		.amdhsa_uses_dynamic_stack 0
		.amdhsa_system_sgpr_private_segment_wavefront_offset 0
		.amdhsa_system_sgpr_workgroup_id_x 1
		.amdhsa_system_sgpr_workgroup_id_y 0
		.amdhsa_system_sgpr_workgroup_id_z 0
		.amdhsa_system_sgpr_workgroup_info 0
		.amdhsa_system_vgpr_workitem_id 0
		.amdhsa_next_free_vgpr 1
		.amdhsa_next_free_sgpr 0
		.amdhsa_accum_offset 4
		.amdhsa_reserve_vcc 0
		.amdhsa_reserve_flat_scratch 0
		.amdhsa_float_round_mode_32 0
		.amdhsa_float_round_mode_16_64 0
		.amdhsa_float_denorm_mode_32 3
		.amdhsa_float_denorm_mode_16_64 3
		.amdhsa_dx10_clamp 1
		.amdhsa_ieee_mode 1
		.amdhsa_fp16_overflow 0
		.amdhsa_tg_split 0
		.amdhsa_exception_fp_ieee_invalid_op 0
		.amdhsa_exception_fp_denorm_src 0
		.amdhsa_exception_fp_ieee_div_zero 0
		.amdhsa_exception_fp_ieee_overflow 0
		.amdhsa_exception_fp_ieee_underflow 0
		.amdhsa_exception_fp_ieee_inexact 0
		.amdhsa_exception_int_div_zero 0
	.end_amdhsa_kernel
	.section	.text._ZN7rocprim17ROCPRIM_400000_NS6detail17trampoline_kernelINS0_14default_configENS1_35radix_sort_onesweep_config_selectorIjN6thrust23THRUST_200600_302600_NS5tupleIffNS6_9null_typeES8_S8_S8_S8_S8_S8_S8_EEEEZZNS1_29radix_sort_onesweep_iterationIS3_Lb0ENS6_6detail15normal_iteratorINS6_10device_ptrIjEEEESG_NSD_INSE_IS9_EEEESI_jNS0_19identity_decomposerENS1_16block_id_wrapperIjLb0EEEEE10hipError_tT1_PNSt15iterator_traitsISN_E10value_typeET2_T3_PNSO_IST_E10value_typeET4_T5_PSY_SZ_PNS1_23onesweep_lookback_stateEbbT6_jjT7_P12ihipStream_tbENKUlT_T0_SN_SS_E_clIPjSG_PS9_SI_EEDaS16_S17_SN_SS_EUlS16_E_NS1_11comp_targetILNS1_3genE5ELNS1_11target_archE942ELNS1_3gpuE9ELNS1_3repE0EEENS1_47radix_sort_onesweep_sort_config_static_selectorELNS0_4arch9wavefront6targetE1EEEvSN_,"axG",@progbits,_ZN7rocprim17ROCPRIM_400000_NS6detail17trampoline_kernelINS0_14default_configENS1_35radix_sort_onesweep_config_selectorIjN6thrust23THRUST_200600_302600_NS5tupleIffNS6_9null_typeES8_S8_S8_S8_S8_S8_S8_EEEEZZNS1_29radix_sort_onesweep_iterationIS3_Lb0ENS6_6detail15normal_iteratorINS6_10device_ptrIjEEEESG_NSD_INSE_IS9_EEEESI_jNS0_19identity_decomposerENS1_16block_id_wrapperIjLb0EEEEE10hipError_tT1_PNSt15iterator_traitsISN_E10value_typeET2_T3_PNSO_IST_E10value_typeET4_T5_PSY_SZ_PNS1_23onesweep_lookback_stateEbbT6_jjT7_P12ihipStream_tbENKUlT_T0_SN_SS_E_clIPjSG_PS9_SI_EEDaS16_S17_SN_SS_EUlS16_E_NS1_11comp_targetILNS1_3genE5ELNS1_11target_archE942ELNS1_3gpuE9ELNS1_3repE0EEENS1_47radix_sort_onesweep_sort_config_static_selectorELNS0_4arch9wavefront6targetE1EEEvSN_,comdat
.Lfunc_end222:
	.size	_ZN7rocprim17ROCPRIM_400000_NS6detail17trampoline_kernelINS0_14default_configENS1_35radix_sort_onesweep_config_selectorIjN6thrust23THRUST_200600_302600_NS5tupleIffNS6_9null_typeES8_S8_S8_S8_S8_S8_S8_EEEEZZNS1_29radix_sort_onesweep_iterationIS3_Lb0ENS6_6detail15normal_iteratorINS6_10device_ptrIjEEEESG_NSD_INSE_IS9_EEEESI_jNS0_19identity_decomposerENS1_16block_id_wrapperIjLb0EEEEE10hipError_tT1_PNSt15iterator_traitsISN_E10value_typeET2_T3_PNSO_IST_E10value_typeET4_T5_PSY_SZ_PNS1_23onesweep_lookback_stateEbbT6_jjT7_P12ihipStream_tbENKUlT_T0_SN_SS_E_clIPjSG_PS9_SI_EEDaS16_S17_SN_SS_EUlS16_E_NS1_11comp_targetILNS1_3genE5ELNS1_11target_archE942ELNS1_3gpuE9ELNS1_3repE0EEENS1_47radix_sort_onesweep_sort_config_static_selectorELNS0_4arch9wavefront6targetE1EEEvSN_, .Lfunc_end222-_ZN7rocprim17ROCPRIM_400000_NS6detail17trampoline_kernelINS0_14default_configENS1_35radix_sort_onesweep_config_selectorIjN6thrust23THRUST_200600_302600_NS5tupleIffNS6_9null_typeES8_S8_S8_S8_S8_S8_S8_EEEEZZNS1_29radix_sort_onesweep_iterationIS3_Lb0ENS6_6detail15normal_iteratorINS6_10device_ptrIjEEEESG_NSD_INSE_IS9_EEEESI_jNS0_19identity_decomposerENS1_16block_id_wrapperIjLb0EEEEE10hipError_tT1_PNSt15iterator_traitsISN_E10value_typeET2_T3_PNSO_IST_E10value_typeET4_T5_PSY_SZ_PNS1_23onesweep_lookback_stateEbbT6_jjT7_P12ihipStream_tbENKUlT_T0_SN_SS_E_clIPjSG_PS9_SI_EEDaS16_S17_SN_SS_EUlS16_E_NS1_11comp_targetILNS1_3genE5ELNS1_11target_archE942ELNS1_3gpuE9ELNS1_3repE0EEENS1_47radix_sort_onesweep_sort_config_static_selectorELNS0_4arch9wavefront6targetE1EEEvSN_
                                        ; -- End function
	.section	.AMDGPU.csdata,"",@progbits
; Kernel info:
; codeLenInByte = 0
; NumSgprs: 4
; NumVgprs: 0
; NumAgprs: 0
; TotalNumVgprs: 0
; ScratchSize: 0
; MemoryBound: 0
; FloatMode: 240
; IeeeMode: 1
; LDSByteSize: 0 bytes/workgroup (compile time only)
; SGPRBlocks: 0
; VGPRBlocks: 0
; NumSGPRsForWavesPerEU: 4
; NumVGPRsForWavesPerEU: 1
; AccumOffset: 4
; Occupancy: 8
; WaveLimiterHint : 0
; COMPUTE_PGM_RSRC2:SCRATCH_EN: 0
; COMPUTE_PGM_RSRC2:USER_SGPR: 6
; COMPUTE_PGM_RSRC2:TRAP_HANDLER: 0
; COMPUTE_PGM_RSRC2:TGID_X_EN: 1
; COMPUTE_PGM_RSRC2:TGID_Y_EN: 0
; COMPUTE_PGM_RSRC2:TGID_Z_EN: 0
; COMPUTE_PGM_RSRC2:TIDIG_COMP_CNT: 0
; COMPUTE_PGM_RSRC3_GFX90A:ACCUM_OFFSET: 0
; COMPUTE_PGM_RSRC3_GFX90A:TG_SPLIT: 0
	.section	.text._ZN7rocprim17ROCPRIM_400000_NS6detail17trampoline_kernelINS0_14default_configENS1_35radix_sort_onesweep_config_selectorIjN6thrust23THRUST_200600_302600_NS5tupleIffNS6_9null_typeES8_S8_S8_S8_S8_S8_S8_EEEEZZNS1_29radix_sort_onesweep_iterationIS3_Lb0ENS6_6detail15normal_iteratorINS6_10device_ptrIjEEEESG_NSD_INSE_IS9_EEEESI_jNS0_19identity_decomposerENS1_16block_id_wrapperIjLb0EEEEE10hipError_tT1_PNSt15iterator_traitsISN_E10value_typeET2_T3_PNSO_IST_E10value_typeET4_T5_PSY_SZ_PNS1_23onesweep_lookback_stateEbbT6_jjT7_P12ihipStream_tbENKUlT_T0_SN_SS_E_clIPjSG_PS9_SI_EEDaS16_S17_SN_SS_EUlS16_E_NS1_11comp_targetILNS1_3genE2ELNS1_11target_archE906ELNS1_3gpuE6ELNS1_3repE0EEENS1_47radix_sort_onesweep_sort_config_static_selectorELNS0_4arch9wavefront6targetE1EEEvSN_,"axG",@progbits,_ZN7rocprim17ROCPRIM_400000_NS6detail17trampoline_kernelINS0_14default_configENS1_35radix_sort_onesweep_config_selectorIjN6thrust23THRUST_200600_302600_NS5tupleIffNS6_9null_typeES8_S8_S8_S8_S8_S8_S8_EEEEZZNS1_29radix_sort_onesweep_iterationIS3_Lb0ENS6_6detail15normal_iteratorINS6_10device_ptrIjEEEESG_NSD_INSE_IS9_EEEESI_jNS0_19identity_decomposerENS1_16block_id_wrapperIjLb0EEEEE10hipError_tT1_PNSt15iterator_traitsISN_E10value_typeET2_T3_PNSO_IST_E10value_typeET4_T5_PSY_SZ_PNS1_23onesweep_lookback_stateEbbT6_jjT7_P12ihipStream_tbENKUlT_T0_SN_SS_E_clIPjSG_PS9_SI_EEDaS16_S17_SN_SS_EUlS16_E_NS1_11comp_targetILNS1_3genE2ELNS1_11target_archE906ELNS1_3gpuE6ELNS1_3repE0EEENS1_47radix_sort_onesweep_sort_config_static_selectorELNS0_4arch9wavefront6targetE1EEEvSN_,comdat
	.protected	_ZN7rocprim17ROCPRIM_400000_NS6detail17trampoline_kernelINS0_14default_configENS1_35radix_sort_onesweep_config_selectorIjN6thrust23THRUST_200600_302600_NS5tupleIffNS6_9null_typeES8_S8_S8_S8_S8_S8_S8_EEEEZZNS1_29radix_sort_onesweep_iterationIS3_Lb0ENS6_6detail15normal_iteratorINS6_10device_ptrIjEEEESG_NSD_INSE_IS9_EEEESI_jNS0_19identity_decomposerENS1_16block_id_wrapperIjLb0EEEEE10hipError_tT1_PNSt15iterator_traitsISN_E10value_typeET2_T3_PNSO_IST_E10value_typeET4_T5_PSY_SZ_PNS1_23onesweep_lookback_stateEbbT6_jjT7_P12ihipStream_tbENKUlT_T0_SN_SS_E_clIPjSG_PS9_SI_EEDaS16_S17_SN_SS_EUlS16_E_NS1_11comp_targetILNS1_3genE2ELNS1_11target_archE906ELNS1_3gpuE6ELNS1_3repE0EEENS1_47radix_sort_onesweep_sort_config_static_selectorELNS0_4arch9wavefront6targetE1EEEvSN_ ; -- Begin function _ZN7rocprim17ROCPRIM_400000_NS6detail17trampoline_kernelINS0_14default_configENS1_35radix_sort_onesweep_config_selectorIjN6thrust23THRUST_200600_302600_NS5tupleIffNS6_9null_typeES8_S8_S8_S8_S8_S8_S8_EEEEZZNS1_29radix_sort_onesweep_iterationIS3_Lb0ENS6_6detail15normal_iteratorINS6_10device_ptrIjEEEESG_NSD_INSE_IS9_EEEESI_jNS0_19identity_decomposerENS1_16block_id_wrapperIjLb0EEEEE10hipError_tT1_PNSt15iterator_traitsISN_E10value_typeET2_T3_PNSO_IST_E10value_typeET4_T5_PSY_SZ_PNS1_23onesweep_lookback_stateEbbT6_jjT7_P12ihipStream_tbENKUlT_T0_SN_SS_E_clIPjSG_PS9_SI_EEDaS16_S17_SN_SS_EUlS16_E_NS1_11comp_targetILNS1_3genE2ELNS1_11target_archE906ELNS1_3gpuE6ELNS1_3repE0EEENS1_47radix_sort_onesweep_sort_config_static_selectorELNS0_4arch9wavefront6targetE1EEEvSN_
	.globl	_ZN7rocprim17ROCPRIM_400000_NS6detail17trampoline_kernelINS0_14default_configENS1_35radix_sort_onesweep_config_selectorIjN6thrust23THRUST_200600_302600_NS5tupleIffNS6_9null_typeES8_S8_S8_S8_S8_S8_S8_EEEEZZNS1_29radix_sort_onesweep_iterationIS3_Lb0ENS6_6detail15normal_iteratorINS6_10device_ptrIjEEEESG_NSD_INSE_IS9_EEEESI_jNS0_19identity_decomposerENS1_16block_id_wrapperIjLb0EEEEE10hipError_tT1_PNSt15iterator_traitsISN_E10value_typeET2_T3_PNSO_IST_E10value_typeET4_T5_PSY_SZ_PNS1_23onesweep_lookback_stateEbbT6_jjT7_P12ihipStream_tbENKUlT_T0_SN_SS_E_clIPjSG_PS9_SI_EEDaS16_S17_SN_SS_EUlS16_E_NS1_11comp_targetILNS1_3genE2ELNS1_11target_archE906ELNS1_3gpuE6ELNS1_3repE0EEENS1_47radix_sort_onesweep_sort_config_static_selectorELNS0_4arch9wavefront6targetE1EEEvSN_
	.p2align	8
	.type	_ZN7rocprim17ROCPRIM_400000_NS6detail17trampoline_kernelINS0_14default_configENS1_35radix_sort_onesweep_config_selectorIjN6thrust23THRUST_200600_302600_NS5tupleIffNS6_9null_typeES8_S8_S8_S8_S8_S8_S8_EEEEZZNS1_29radix_sort_onesweep_iterationIS3_Lb0ENS6_6detail15normal_iteratorINS6_10device_ptrIjEEEESG_NSD_INSE_IS9_EEEESI_jNS0_19identity_decomposerENS1_16block_id_wrapperIjLb0EEEEE10hipError_tT1_PNSt15iterator_traitsISN_E10value_typeET2_T3_PNSO_IST_E10value_typeET4_T5_PSY_SZ_PNS1_23onesweep_lookback_stateEbbT6_jjT7_P12ihipStream_tbENKUlT_T0_SN_SS_E_clIPjSG_PS9_SI_EEDaS16_S17_SN_SS_EUlS16_E_NS1_11comp_targetILNS1_3genE2ELNS1_11target_archE906ELNS1_3gpuE6ELNS1_3repE0EEENS1_47radix_sort_onesweep_sort_config_static_selectorELNS0_4arch9wavefront6targetE1EEEvSN_,@function
_ZN7rocprim17ROCPRIM_400000_NS6detail17trampoline_kernelINS0_14default_configENS1_35radix_sort_onesweep_config_selectorIjN6thrust23THRUST_200600_302600_NS5tupleIffNS6_9null_typeES8_S8_S8_S8_S8_S8_S8_EEEEZZNS1_29radix_sort_onesweep_iterationIS3_Lb0ENS6_6detail15normal_iteratorINS6_10device_ptrIjEEEESG_NSD_INSE_IS9_EEEESI_jNS0_19identity_decomposerENS1_16block_id_wrapperIjLb0EEEEE10hipError_tT1_PNSt15iterator_traitsISN_E10value_typeET2_T3_PNSO_IST_E10value_typeET4_T5_PSY_SZ_PNS1_23onesweep_lookback_stateEbbT6_jjT7_P12ihipStream_tbENKUlT_T0_SN_SS_E_clIPjSG_PS9_SI_EEDaS16_S17_SN_SS_EUlS16_E_NS1_11comp_targetILNS1_3genE2ELNS1_11target_archE906ELNS1_3gpuE6ELNS1_3repE0EEENS1_47radix_sort_onesweep_sort_config_static_selectorELNS0_4arch9wavefront6targetE1EEEvSN_: ; @_ZN7rocprim17ROCPRIM_400000_NS6detail17trampoline_kernelINS0_14default_configENS1_35radix_sort_onesweep_config_selectorIjN6thrust23THRUST_200600_302600_NS5tupleIffNS6_9null_typeES8_S8_S8_S8_S8_S8_S8_EEEEZZNS1_29radix_sort_onesweep_iterationIS3_Lb0ENS6_6detail15normal_iteratorINS6_10device_ptrIjEEEESG_NSD_INSE_IS9_EEEESI_jNS0_19identity_decomposerENS1_16block_id_wrapperIjLb0EEEEE10hipError_tT1_PNSt15iterator_traitsISN_E10value_typeET2_T3_PNSO_IST_E10value_typeET4_T5_PSY_SZ_PNS1_23onesweep_lookback_stateEbbT6_jjT7_P12ihipStream_tbENKUlT_T0_SN_SS_E_clIPjSG_PS9_SI_EEDaS16_S17_SN_SS_EUlS16_E_NS1_11comp_targetILNS1_3genE2ELNS1_11target_archE906ELNS1_3gpuE6ELNS1_3repE0EEENS1_47radix_sort_onesweep_sort_config_static_selectorELNS0_4arch9wavefront6targetE1EEEvSN_
; %bb.0:
	.section	.rodata,"a",@progbits
	.p2align	6, 0x0
	.amdhsa_kernel _ZN7rocprim17ROCPRIM_400000_NS6detail17trampoline_kernelINS0_14default_configENS1_35radix_sort_onesweep_config_selectorIjN6thrust23THRUST_200600_302600_NS5tupleIffNS6_9null_typeES8_S8_S8_S8_S8_S8_S8_EEEEZZNS1_29radix_sort_onesweep_iterationIS3_Lb0ENS6_6detail15normal_iteratorINS6_10device_ptrIjEEEESG_NSD_INSE_IS9_EEEESI_jNS0_19identity_decomposerENS1_16block_id_wrapperIjLb0EEEEE10hipError_tT1_PNSt15iterator_traitsISN_E10value_typeET2_T3_PNSO_IST_E10value_typeET4_T5_PSY_SZ_PNS1_23onesweep_lookback_stateEbbT6_jjT7_P12ihipStream_tbENKUlT_T0_SN_SS_E_clIPjSG_PS9_SI_EEDaS16_S17_SN_SS_EUlS16_E_NS1_11comp_targetILNS1_3genE2ELNS1_11target_archE906ELNS1_3gpuE6ELNS1_3repE0EEENS1_47radix_sort_onesweep_sort_config_static_selectorELNS0_4arch9wavefront6targetE1EEEvSN_
		.amdhsa_group_segment_fixed_size 0
		.amdhsa_private_segment_fixed_size 0
		.amdhsa_kernarg_size 88
		.amdhsa_user_sgpr_count 6
		.amdhsa_user_sgpr_private_segment_buffer 1
		.amdhsa_user_sgpr_dispatch_ptr 0
		.amdhsa_user_sgpr_queue_ptr 0
		.amdhsa_user_sgpr_kernarg_segment_ptr 1
		.amdhsa_user_sgpr_dispatch_id 0
		.amdhsa_user_sgpr_flat_scratch_init 0
		.amdhsa_user_sgpr_kernarg_preload_length 0
		.amdhsa_user_sgpr_kernarg_preload_offset 0
		.amdhsa_user_sgpr_private_segment_size 0
		.amdhsa_uses_dynamic_stack 0
		.amdhsa_system_sgpr_private_segment_wavefront_offset 0
		.amdhsa_system_sgpr_workgroup_id_x 1
		.amdhsa_system_sgpr_workgroup_id_y 0
		.amdhsa_system_sgpr_workgroup_id_z 0
		.amdhsa_system_sgpr_workgroup_info 0
		.amdhsa_system_vgpr_workitem_id 0
		.amdhsa_next_free_vgpr 1
		.amdhsa_next_free_sgpr 0
		.amdhsa_accum_offset 4
		.amdhsa_reserve_vcc 0
		.amdhsa_reserve_flat_scratch 0
		.amdhsa_float_round_mode_32 0
		.amdhsa_float_round_mode_16_64 0
		.amdhsa_float_denorm_mode_32 3
		.amdhsa_float_denorm_mode_16_64 3
		.amdhsa_dx10_clamp 1
		.amdhsa_ieee_mode 1
		.amdhsa_fp16_overflow 0
		.amdhsa_tg_split 0
		.amdhsa_exception_fp_ieee_invalid_op 0
		.amdhsa_exception_fp_denorm_src 0
		.amdhsa_exception_fp_ieee_div_zero 0
		.amdhsa_exception_fp_ieee_overflow 0
		.amdhsa_exception_fp_ieee_underflow 0
		.amdhsa_exception_fp_ieee_inexact 0
		.amdhsa_exception_int_div_zero 0
	.end_amdhsa_kernel
	.section	.text._ZN7rocprim17ROCPRIM_400000_NS6detail17trampoline_kernelINS0_14default_configENS1_35radix_sort_onesweep_config_selectorIjN6thrust23THRUST_200600_302600_NS5tupleIffNS6_9null_typeES8_S8_S8_S8_S8_S8_S8_EEEEZZNS1_29radix_sort_onesweep_iterationIS3_Lb0ENS6_6detail15normal_iteratorINS6_10device_ptrIjEEEESG_NSD_INSE_IS9_EEEESI_jNS0_19identity_decomposerENS1_16block_id_wrapperIjLb0EEEEE10hipError_tT1_PNSt15iterator_traitsISN_E10value_typeET2_T3_PNSO_IST_E10value_typeET4_T5_PSY_SZ_PNS1_23onesweep_lookback_stateEbbT6_jjT7_P12ihipStream_tbENKUlT_T0_SN_SS_E_clIPjSG_PS9_SI_EEDaS16_S17_SN_SS_EUlS16_E_NS1_11comp_targetILNS1_3genE2ELNS1_11target_archE906ELNS1_3gpuE6ELNS1_3repE0EEENS1_47radix_sort_onesweep_sort_config_static_selectorELNS0_4arch9wavefront6targetE1EEEvSN_,"axG",@progbits,_ZN7rocprim17ROCPRIM_400000_NS6detail17trampoline_kernelINS0_14default_configENS1_35radix_sort_onesweep_config_selectorIjN6thrust23THRUST_200600_302600_NS5tupleIffNS6_9null_typeES8_S8_S8_S8_S8_S8_S8_EEEEZZNS1_29radix_sort_onesweep_iterationIS3_Lb0ENS6_6detail15normal_iteratorINS6_10device_ptrIjEEEESG_NSD_INSE_IS9_EEEESI_jNS0_19identity_decomposerENS1_16block_id_wrapperIjLb0EEEEE10hipError_tT1_PNSt15iterator_traitsISN_E10value_typeET2_T3_PNSO_IST_E10value_typeET4_T5_PSY_SZ_PNS1_23onesweep_lookback_stateEbbT6_jjT7_P12ihipStream_tbENKUlT_T0_SN_SS_E_clIPjSG_PS9_SI_EEDaS16_S17_SN_SS_EUlS16_E_NS1_11comp_targetILNS1_3genE2ELNS1_11target_archE906ELNS1_3gpuE6ELNS1_3repE0EEENS1_47radix_sort_onesweep_sort_config_static_selectorELNS0_4arch9wavefront6targetE1EEEvSN_,comdat
.Lfunc_end223:
	.size	_ZN7rocprim17ROCPRIM_400000_NS6detail17trampoline_kernelINS0_14default_configENS1_35radix_sort_onesweep_config_selectorIjN6thrust23THRUST_200600_302600_NS5tupleIffNS6_9null_typeES8_S8_S8_S8_S8_S8_S8_EEEEZZNS1_29radix_sort_onesweep_iterationIS3_Lb0ENS6_6detail15normal_iteratorINS6_10device_ptrIjEEEESG_NSD_INSE_IS9_EEEESI_jNS0_19identity_decomposerENS1_16block_id_wrapperIjLb0EEEEE10hipError_tT1_PNSt15iterator_traitsISN_E10value_typeET2_T3_PNSO_IST_E10value_typeET4_T5_PSY_SZ_PNS1_23onesweep_lookback_stateEbbT6_jjT7_P12ihipStream_tbENKUlT_T0_SN_SS_E_clIPjSG_PS9_SI_EEDaS16_S17_SN_SS_EUlS16_E_NS1_11comp_targetILNS1_3genE2ELNS1_11target_archE906ELNS1_3gpuE6ELNS1_3repE0EEENS1_47radix_sort_onesweep_sort_config_static_selectorELNS0_4arch9wavefront6targetE1EEEvSN_, .Lfunc_end223-_ZN7rocprim17ROCPRIM_400000_NS6detail17trampoline_kernelINS0_14default_configENS1_35radix_sort_onesweep_config_selectorIjN6thrust23THRUST_200600_302600_NS5tupleIffNS6_9null_typeES8_S8_S8_S8_S8_S8_S8_EEEEZZNS1_29radix_sort_onesweep_iterationIS3_Lb0ENS6_6detail15normal_iteratorINS6_10device_ptrIjEEEESG_NSD_INSE_IS9_EEEESI_jNS0_19identity_decomposerENS1_16block_id_wrapperIjLb0EEEEE10hipError_tT1_PNSt15iterator_traitsISN_E10value_typeET2_T3_PNSO_IST_E10value_typeET4_T5_PSY_SZ_PNS1_23onesweep_lookback_stateEbbT6_jjT7_P12ihipStream_tbENKUlT_T0_SN_SS_E_clIPjSG_PS9_SI_EEDaS16_S17_SN_SS_EUlS16_E_NS1_11comp_targetILNS1_3genE2ELNS1_11target_archE906ELNS1_3gpuE6ELNS1_3repE0EEENS1_47radix_sort_onesweep_sort_config_static_selectorELNS0_4arch9wavefront6targetE1EEEvSN_
                                        ; -- End function
	.section	.AMDGPU.csdata,"",@progbits
; Kernel info:
; codeLenInByte = 0
; NumSgprs: 4
; NumVgprs: 0
; NumAgprs: 0
; TotalNumVgprs: 0
; ScratchSize: 0
; MemoryBound: 0
; FloatMode: 240
; IeeeMode: 1
; LDSByteSize: 0 bytes/workgroup (compile time only)
; SGPRBlocks: 0
; VGPRBlocks: 0
; NumSGPRsForWavesPerEU: 4
; NumVGPRsForWavesPerEU: 1
; AccumOffset: 4
; Occupancy: 8
; WaveLimiterHint : 0
; COMPUTE_PGM_RSRC2:SCRATCH_EN: 0
; COMPUTE_PGM_RSRC2:USER_SGPR: 6
; COMPUTE_PGM_RSRC2:TRAP_HANDLER: 0
; COMPUTE_PGM_RSRC2:TGID_X_EN: 1
; COMPUTE_PGM_RSRC2:TGID_Y_EN: 0
; COMPUTE_PGM_RSRC2:TGID_Z_EN: 0
; COMPUTE_PGM_RSRC2:TIDIG_COMP_CNT: 0
; COMPUTE_PGM_RSRC3_GFX90A:ACCUM_OFFSET: 0
; COMPUTE_PGM_RSRC3_GFX90A:TG_SPLIT: 0
	.section	.text._ZN7rocprim17ROCPRIM_400000_NS6detail17trampoline_kernelINS0_14default_configENS1_35radix_sort_onesweep_config_selectorIjN6thrust23THRUST_200600_302600_NS5tupleIffNS6_9null_typeES8_S8_S8_S8_S8_S8_S8_EEEEZZNS1_29radix_sort_onesweep_iterationIS3_Lb0ENS6_6detail15normal_iteratorINS6_10device_ptrIjEEEESG_NSD_INSE_IS9_EEEESI_jNS0_19identity_decomposerENS1_16block_id_wrapperIjLb0EEEEE10hipError_tT1_PNSt15iterator_traitsISN_E10value_typeET2_T3_PNSO_IST_E10value_typeET4_T5_PSY_SZ_PNS1_23onesweep_lookback_stateEbbT6_jjT7_P12ihipStream_tbENKUlT_T0_SN_SS_E_clIPjSG_PS9_SI_EEDaS16_S17_SN_SS_EUlS16_E_NS1_11comp_targetILNS1_3genE4ELNS1_11target_archE910ELNS1_3gpuE8ELNS1_3repE0EEENS1_47radix_sort_onesweep_sort_config_static_selectorELNS0_4arch9wavefront6targetE1EEEvSN_,"axG",@progbits,_ZN7rocprim17ROCPRIM_400000_NS6detail17trampoline_kernelINS0_14default_configENS1_35radix_sort_onesweep_config_selectorIjN6thrust23THRUST_200600_302600_NS5tupleIffNS6_9null_typeES8_S8_S8_S8_S8_S8_S8_EEEEZZNS1_29radix_sort_onesweep_iterationIS3_Lb0ENS6_6detail15normal_iteratorINS6_10device_ptrIjEEEESG_NSD_INSE_IS9_EEEESI_jNS0_19identity_decomposerENS1_16block_id_wrapperIjLb0EEEEE10hipError_tT1_PNSt15iterator_traitsISN_E10value_typeET2_T3_PNSO_IST_E10value_typeET4_T5_PSY_SZ_PNS1_23onesweep_lookback_stateEbbT6_jjT7_P12ihipStream_tbENKUlT_T0_SN_SS_E_clIPjSG_PS9_SI_EEDaS16_S17_SN_SS_EUlS16_E_NS1_11comp_targetILNS1_3genE4ELNS1_11target_archE910ELNS1_3gpuE8ELNS1_3repE0EEENS1_47radix_sort_onesweep_sort_config_static_selectorELNS0_4arch9wavefront6targetE1EEEvSN_,comdat
	.protected	_ZN7rocprim17ROCPRIM_400000_NS6detail17trampoline_kernelINS0_14default_configENS1_35radix_sort_onesweep_config_selectorIjN6thrust23THRUST_200600_302600_NS5tupleIffNS6_9null_typeES8_S8_S8_S8_S8_S8_S8_EEEEZZNS1_29radix_sort_onesweep_iterationIS3_Lb0ENS6_6detail15normal_iteratorINS6_10device_ptrIjEEEESG_NSD_INSE_IS9_EEEESI_jNS0_19identity_decomposerENS1_16block_id_wrapperIjLb0EEEEE10hipError_tT1_PNSt15iterator_traitsISN_E10value_typeET2_T3_PNSO_IST_E10value_typeET4_T5_PSY_SZ_PNS1_23onesweep_lookback_stateEbbT6_jjT7_P12ihipStream_tbENKUlT_T0_SN_SS_E_clIPjSG_PS9_SI_EEDaS16_S17_SN_SS_EUlS16_E_NS1_11comp_targetILNS1_3genE4ELNS1_11target_archE910ELNS1_3gpuE8ELNS1_3repE0EEENS1_47radix_sort_onesweep_sort_config_static_selectorELNS0_4arch9wavefront6targetE1EEEvSN_ ; -- Begin function _ZN7rocprim17ROCPRIM_400000_NS6detail17trampoline_kernelINS0_14default_configENS1_35radix_sort_onesweep_config_selectorIjN6thrust23THRUST_200600_302600_NS5tupleIffNS6_9null_typeES8_S8_S8_S8_S8_S8_S8_EEEEZZNS1_29radix_sort_onesweep_iterationIS3_Lb0ENS6_6detail15normal_iteratorINS6_10device_ptrIjEEEESG_NSD_INSE_IS9_EEEESI_jNS0_19identity_decomposerENS1_16block_id_wrapperIjLb0EEEEE10hipError_tT1_PNSt15iterator_traitsISN_E10value_typeET2_T3_PNSO_IST_E10value_typeET4_T5_PSY_SZ_PNS1_23onesweep_lookback_stateEbbT6_jjT7_P12ihipStream_tbENKUlT_T0_SN_SS_E_clIPjSG_PS9_SI_EEDaS16_S17_SN_SS_EUlS16_E_NS1_11comp_targetILNS1_3genE4ELNS1_11target_archE910ELNS1_3gpuE8ELNS1_3repE0EEENS1_47radix_sort_onesweep_sort_config_static_selectorELNS0_4arch9wavefront6targetE1EEEvSN_
	.globl	_ZN7rocprim17ROCPRIM_400000_NS6detail17trampoline_kernelINS0_14default_configENS1_35radix_sort_onesweep_config_selectorIjN6thrust23THRUST_200600_302600_NS5tupleIffNS6_9null_typeES8_S8_S8_S8_S8_S8_S8_EEEEZZNS1_29radix_sort_onesweep_iterationIS3_Lb0ENS6_6detail15normal_iteratorINS6_10device_ptrIjEEEESG_NSD_INSE_IS9_EEEESI_jNS0_19identity_decomposerENS1_16block_id_wrapperIjLb0EEEEE10hipError_tT1_PNSt15iterator_traitsISN_E10value_typeET2_T3_PNSO_IST_E10value_typeET4_T5_PSY_SZ_PNS1_23onesweep_lookback_stateEbbT6_jjT7_P12ihipStream_tbENKUlT_T0_SN_SS_E_clIPjSG_PS9_SI_EEDaS16_S17_SN_SS_EUlS16_E_NS1_11comp_targetILNS1_3genE4ELNS1_11target_archE910ELNS1_3gpuE8ELNS1_3repE0EEENS1_47radix_sort_onesweep_sort_config_static_selectorELNS0_4arch9wavefront6targetE1EEEvSN_
	.p2align	8
	.type	_ZN7rocprim17ROCPRIM_400000_NS6detail17trampoline_kernelINS0_14default_configENS1_35radix_sort_onesweep_config_selectorIjN6thrust23THRUST_200600_302600_NS5tupleIffNS6_9null_typeES8_S8_S8_S8_S8_S8_S8_EEEEZZNS1_29radix_sort_onesweep_iterationIS3_Lb0ENS6_6detail15normal_iteratorINS6_10device_ptrIjEEEESG_NSD_INSE_IS9_EEEESI_jNS0_19identity_decomposerENS1_16block_id_wrapperIjLb0EEEEE10hipError_tT1_PNSt15iterator_traitsISN_E10value_typeET2_T3_PNSO_IST_E10value_typeET4_T5_PSY_SZ_PNS1_23onesweep_lookback_stateEbbT6_jjT7_P12ihipStream_tbENKUlT_T0_SN_SS_E_clIPjSG_PS9_SI_EEDaS16_S17_SN_SS_EUlS16_E_NS1_11comp_targetILNS1_3genE4ELNS1_11target_archE910ELNS1_3gpuE8ELNS1_3repE0EEENS1_47radix_sort_onesweep_sort_config_static_selectorELNS0_4arch9wavefront6targetE1EEEvSN_,@function
_ZN7rocprim17ROCPRIM_400000_NS6detail17trampoline_kernelINS0_14default_configENS1_35radix_sort_onesweep_config_selectorIjN6thrust23THRUST_200600_302600_NS5tupleIffNS6_9null_typeES8_S8_S8_S8_S8_S8_S8_EEEEZZNS1_29radix_sort_onesweep_iterationIS3_Lb0ENS6_6detail15normal_iteratorINS6_10device_ptrIjEEEESG_NSD_INSE_IS9_EEEESI_jNS0_19identity_decomposerENS1_16block_id_wrapperIjLb0EEEEE10hipError_tT1_PNSt15iterator_traitsISN_E10value_typeET2_T3_PNSO_IST_E10value_typeET4_T5_PSY_SZ_PNS1_23onesweep_lookback_stateEbbT6_jjT7_P12ihipStream_tbENKUlT_T0_SN_SS_E_clIPjSG_PS9_SI_EEDaS16_S17_SN_SS_EUlS16_E_NS1_11comp_targetILNS1_3genE4ELNS1_11target_archE910ELNS1_3gpuE8ELNS1_3repE0EEENS1_47radix_sort_onesweep_sort_config_static_selectorELNS0_4arch9wavefront6targetE1EEEvSN_: ; @_ZN7rocprim17ROCPRIM_400000_NS6detail17trampoline_kernelINS0_14default_configENS1_35radix_sort_onesweep_config_selectorIjN6thrust23THRUST_200600_302600_NS5tupleIffNS6_9null_typeES8_S8_S8_S8_S8_S8_S8_EEEEZZNS1_29radix_sort_onesweep_iterationIS3_Lb0ENS6_6detail15normal_iteratorINS6_10device_ptrIjEEEESG_NSD_INSE_IS9_EEEESI_jNS0_19identity_decomposerENS1_16block_id_wrapperIjLb0EEEEE10hipError_tT1_PNSt15iterator_traitsISN_E10value_typeET2_T3_PNSO_IST_E10value_typeET4_T5_PSY_SZ_PNS1_23onesweep_lookback_stateEbbT6_jjT7_P12ihipStream_tbENKUlT_T0_SN_SS_E_clIPjSG_PS9_SI_EEDaS16_S17_SN_SS_EUlS16_E_NS1_11comp_targetILNS1_3genE4ELNS1_11target_archE910ELNS1_3gpuE8ELNS1_3repE0EEENS1_47radix_sort_onesweep_sort_config_static_selectorELNS0_4arch9wavefront6targetE1EEEvSN_
; %bb.0:
	s_load_dwordx8 s[40:47], s[4:5], 0x0
	s_load_dwordx4 s[52:55], s[4:5], 0x44
	s_load_dwordx4 s[48:51], s[4:5], 0x28
	s_load_dwordx2 s[56:57], s[4:5], 0x38
	v_mbcnt_lo_u32_b32 v1, -1, 0
	s_waitcnt lgkmcnt(0)
	s_cmp_ge_u32 s6, s54
	s_cbranch_scc0 .LBB224_95
; %bb.1:
	s_load_dword s0, s[4:5], 0x20
	s_lshl_b32 s1, s54, 13
	s_lshl_b32 s54, s6, 13
	s_mov_b32 s55, 0
	v_and_b32_e32 v18, 0x3ff, v0
	s_waitcnt lgkmcnt(0)
	s_sub_i32 s7, s0, s1
	s_lshl_b64 s[0:1], s[54:55], 2
	v_mbcnt_hi_u32_b32 v6, -1, v1
	s_add_u32 s0, s40, s0
	v_and_b32_e32 v22, 63, v6
	v_lshlrev_b32_e32 v2, 4, v18
	s_addc_u32 s1, s41, s1
	v_and_b32_e32 v19, 0x1c00, v2
	v_lshlrev_b32_e32 v2, 2, v22
	v_mov_b32_e32 v3, s1
	v_add_co_u32_e32 v2, vcc, s0, v2
	v_addc_co_u32_e32 v3, vcc, 0, v3, vcc
	v_lshlrev_b32_e32 v4, 2, v19
	v_add_co_u32_e32 v2, vcc, v2, v4
	v_or_b32_e32 v4, v22, v19
	v_addc_co_u32_e32 v3, vcc, 0, v3, vcc
	v_cmp_gt_u32_e64 s[30:31], s7, v4
	v_mov_b32_e32 v23, -1
	v_mov_b32_e32 v24, -1
	s_and_saveexec_b64 s[0:1], s[30:31]
	s_cbranch_execz .LBB224_3
; %bb.2:
	global_load_dword v24, v[2:3], off
.LBB224_3:
	s_or_b64 exec, exec, s[0:1]
	v_or_b32_e32 v5, 64, v4
	v_cmp_gt_u32_e64 s[28:29], s7, v5
	v_mov_b32_e32 v25, -1
	s_and_saveexec_b64 s[0:1], s[28:29]
	s_cbranch_execz .LBB224_5
; %bb.4:
	global_load_dword v25, v[2:3], off offset:256
.LBB224_5:
	s_or_b64 exec, exec, s[0:1]
	v_or_b32_e32 v5, 0x80, v4
	v_cmp_gt_u32_e64 s[26:27], s7, v5
	s_and_saveexec_b64 s[0:1], s[26:27]
	s_cbranch_execz .LBB224_7
; %bb.6:
	global_load_dword v23, v[2:3], off offset:512
.LBB224_7:
	s_or_b64 exec, exec, s[0:1]
	v_or_b32_e32 v5, 0xc0, v4
	v_cmp_gt_u32_e64 s[24:25], s7, v5
	v_mov_b32_e32 v26, -1
	v_mov_b32_e32 v27, -1
	s_and_saveexec_b64 s[0:1], s[24:25]
	s_cbranch_execz .LBB224_9
; %bb.8:
	global_load_dword v27, v[2:3], off offset:768
.LBB224_9:
	s_or_b64 exec, exec, s[0:1]
	v_or_b32_e32 v5, 0x100, v4
	v_cmp_gt_u32_e64 s[22:23], s7, v5
	s_and_saveexec_b64 s[0:1], s[22:23]
	s_cbranch_execz .LBB224_11
; %bb.10:
	global_load_dword v26, v[2:3], off offset:1024
.LBB224_11:
	s_or_b64 exec, exec, s[0:1]
	v_or_b32_e32 v5, 0x140, v4
	v_cmp_gt_u32_e64 s[20:21], s7, v5
	v_mov_b32_e32 v28, -1
	;; [unrolled: 18-line block ×3, first 2 shown]
	v_mov_b32_e32 v31, -1
	s_and_saveexec_b64 s[0:1], s[16:17]
	s_cbranch_execz .LBB224_17
; %bb.16:
	global_load_dword v31, v[2:3], off offset:1792
.LBB224_17:
	s_or_b64 exec, exec, s[0:1]
	v_or_b32_e32 v5, 0x200, v4
	v_cmp_gt_u32_e32 vcc, s7, v5
	s_and_saveexec_b64 s[0:1], vcc
	s_cbranch_execz .LBB224_19
; %bb.18:
	global_load_dword v30, v[2:3], off offset:2048
.LBB224_19:
	s_or_b64 exec, exec, s[0:1]
	v_or_b32_e32 v5, 0x240, v4
	v_cmp_gt_u32_e64 s[14:15], s7, v5
	v_mov_b32_e32 v32, -1
	v_mov_b32_e32 v33, -1
	s_and_saveexec_b64 s[0:1], s[14:15]
	s_cbranch_execz .LBB224_21
; %bb.20:
	global_load_dword v33, v[2:3], off offset:2304
.LBB224_21:
	s_or_b64 exec, exec, s[0:1]
	v_or_b32_e32 v5, 0x280, v4
	v_cmp_gt_u32_e64 s[12:13], s7, v5
	s_and_saveexec_b64 s[0:1], s[12:13]
	s_cbranch_execz .LBB224_23
; %bb.22:
	global_load_dword v32, v[2:3], off offset:2560
.LBB224_23:
	s_or_b64 exec, exec, s[0:1]
	v_or_b32_e32 v5, 0x2c0, v4
	v_cmp_gt_u32_e64 s[10:11], s7, v5
	v_mov_b32_e32 v34, -1
	v_mov_b32_e32 v35, -1
	s_and_saveexec_b64 s[0:1], s[10:11]
	s_cbranch_execz .LBB224_25
; %bb.24:
	global_load_dword v35, v[2:3], off offset:2816
.LBB224_25:
	s_or_b64 exec, exec, s[0:1]
	v_or_b32_e32 v5, 0x300, v4
	v_cmp_gt_u32_e64 s[8:9], s7, v5
	s_and_saveexec_b64 s[0:1], s[8:9]
	;; [unrolled: 18-line block ×3, first 2 shown]
	s_cbranch_execz .LBB224_31
; %bb.30:
	global_load_dword v36, v[2:3], off offset:3584
.LBB224_31:
	s_or_b64 exec, exec, s[0:1]
	v_or_b32_e32 v4, 0x3c0, v4
	v_cmp_gt_u32_e64 s[0:1], s7, v4
	v_mov_b32_e32 v38, -1
	s_and_saveexec_b64 s[34:35], s[0:1]
	s_cbranch_execz .LBB224_33
; %bb.32:
	global_load_dword v38, v[2:3], off offset:3840
.LBB224_33:
	s_or_b64 exec, exec, s[34:35]
	s_load_dword s34, s[4:5], 0x64
	s_load_dword s33, s[4:5], 0x58
	s_add_u32 s35, s4, 0x58
	s_addc_u32 s38, s5, 0
	v_mov_b32_e32 v2, 0
	s_waitcnt lgkmcnt(0)
	s_lshr_b32 s39, s34, 16
	s_cmp_lt_u32 s6, s33
	s_cselect_b32 s34, 12, 18
	s_add_u32 s34, s35, s34
	s_addc_u32 s35, s38, 0
	global_load_ushort v4, v2, s[34:35]
	s_lshl_b32 s34, -1, s53
	s_waitcnt vmcnt(1)
	v_lshrrev_b32_e32 v8, s52, v24
	s_not_b32 s66, s34
	v_and_b32_e32 v8, s66, v8
	v_and_b32_e32 v10, 1, v8
	v_bfe_u32 v3, v0, 10, 10
	v_bfe_u32 v5, v0, 20, 10
	v_add_co_u32_e64 v11, s[34:35], -1, v10
	v_mad_u32_u24 v5, v5, s39, v3
	v_lshlrev_b32_e32 v3, 30, v8
	v_addc_co_u32_e64 v12, s[34:35], 0, -1, s[34:35]
	v_cmp_ne_u32_e64 s[34:35], 0, v10
	v_cmp_gt_i64_e64 s[38:39], 0, v[2:3]
	v_not_b32_e32 v10, v3
	v_lshlrev_b32_e32 v3, 29, v8
	v_xor_b32_e32 v12, s35, v12
	v_xor_b32_e32 v11, s34, v11
	v_ashrrev_i32_e32 v10, 31, v10
	v_cmp_gt_i64_e64 s[34:35], 0, v[2:3]
	v_not_b32_e32 v13, v3
	v_lshlrev_b32_e32 v3, 28, v8
	v_and_b32_e32 v12, exec_hi, v12
	v_and_b32_e32 v11, exec_lo, v11
	v_xor_b32_e32 v14, s39, v10
	v_xor_b32_e32 v10, s38, v10
	v_ashrrev_i32_e32 v13, 31, v13
	v_cmp_gt_i64_e64 s[38:39], 0, v[2:3]
	v_not_b32_e32 v15, v3
	v_lshlrev_b32_e32 v3, 27, v8
	v_and_b32_e32 v12, v12, v14
	v_and_b32_e32 v10, v11, v10
	v_xor_b32_e32 v11, s35, v13
	v_xor_b32_e32 v13, s34, v13
	v_ashrrev_i32_e32 v14, 31, v15
	v_cmp_gt_i64_e64 s[34:35], 0, v[2:3]
	v_not_b32_e32 v15, v3
	v_lshlrev_b32_e32 v3, 26, v8
	v_and_b32_e32 v11, v12, v11
	v_and_b32_e32 v10, v10, v13
	;; [unrolled: 8-line block ×3, first 2 shown]
	v_xor_b32_e32 v12, s35, v14
	v_xor_b32_e32 v13, s34, v14
	v_ashrrev_i32_e32 v14, 31, v15
	v_cmp_gt_i64_e64 s[34:35], 0, v[2:3]
	v_not_b32_e32 v15, v3
	v_lshlrev_b32_e32 v3, 24, v8
	v_lshl_add_u32 v9, v8, 3, v8
	v_and_b32_e32 v8, v11, v12
	v_and_b32_e32 v10, v10, v13
	v_xor_b32_e32 v11, s39, v14
	v_xor_b32_e32 v12, s38, v14
	v_ashrrev_i32_e32 v13, 31, v15
	v_cmp_gt_i64_e64 s[38:39], 0, v[2:3]
	v_not_b32_e32 v3, v3
	v_and_b32_e32 v8, v8, v11
	v_and_b32_e32 v10, v10, v12
	v_xor_b32_e32 v11, s35, v13
	v_xor_b32_e32 v12, s34, v13
	v_ashrrev_i32_e32 v3, 31, v3
	v_and_b32_e32 v8, v8, v11
	v_and_b32_e32 v10, v10, v12
	v_mul_u32_u24_e32 v7, 5, v18
	v_lshlrev_b32_e32 v7, 2, v7
	ds_write2_b32 v7, v2, v2 offset0:8 offset1:9
	ds_write2_b32 v7, v2, v2 offset0:10 offset1:11
	ds_write_b32 v7, v2 offset:48
	s_waitcnt lgkmcnt(0)
	s_barrier
	s_waitcnt lgkmcnt(0)
	; wave barrier
	s_waitcnt vmcnt(0)
	v_mad_u64_u32 v[4:5], s[34:35], v5, v4, v[18:19]
	v_lshrrev_b32_e32 v21, 6, v4
	v_xor_b32_e32 v4, s39, v3
	v_xor_b32_e32 v3, s38, v3
	v_and_b32_e32 v5, v8, v4
	v_and_b32_e32 v4, v10, v3
	v_mbcnt_lo_u32_b32 v3, v4, 0
	v_mbcnt_hi_u32_b32 v8, v5, v3
	v_cmp_eq_u32_e64 s[34:35], 0, v8
	v_cmp_ne_u64_e64 s[38:39], 0, v[4:5]
	v_add_lshl_u32 v12, v21, v9, 2
	s_and_b64 s[38:39], s[38:39], s[34:35]
	s_and_saveexec_b64 s[34:35], s[38:39]
	s_cbranch_execz .LBB224_35
; %bb.34:
	v_bcnt_u32_b32 v3, v4, 0
	v_bcnt_u32_b32 v3, v5, v3
	ds_write_b32 v12, v3 offset:32
.LBB224_35:
	s_or_b64 exec, exec, s[34:35]
	v_lshrrev_b32_e32 v3, s52, v25
	v_and_b32_e32 v4, s66, v3
	v_lshl_add_u32 v3, v4, 3, v4
	v_add_lshl_u32 v13, v21, v3, 2
	v_and_b32_e32 v3, 1, v4
	v_add_co_u32_e64 v5, s[34:35], -1, v3
	v_addc_co_u32_e64 v10, s[34:35], 0, -1, s[34:35]
	v_cmp_ne_u32_e64 s[34:35], 0, v3
	v_xor_b32_e32 v3, s35, v10
	v_and_b32_e32 v10, exec_hi, v3
	v_lshlrev_b32_e32 v3, 30, v4
	v_xor_b32_e32 v5, s34, v5
	v_cmp_gt_i64_e64 s[34:35], 0, v[2:3]
	v_not_b32_e32 v3, v3
	v_ashrrev_i32_e32 v3, 31, v3
	v_and_b32_e32 v5, exec_lo, v5
	v_xor_b32_e32 v11, s35, v3
	v_xor_b32_e32 v3, s34, v3
	v_and_b32_e32 v5, v5, v3
	v_lshlrev_b32_e32 v3, 29, v4
	v_cmp_gt_i64_e64 s[34:35], 0, v[2:3]
	v_not_b32_e32 v3, v3
	v_ashrrev_i32_e32 v3, 31, v3
	v_and_b32_e32 v10, v10, v11
	v_xor_b32_e32 v11, s35, v3
	v_xor_b32_e32 v3, s34, v3
	v_and_b32_e32 v5, v5, v3
	v_lshlrev_b32_e32 v3, 28, v4
	v_cmp_gt_i64_e64 s[34:35], 0, v[2:3]
	v_not_b32_e32 v3, v3
	v_ashrrev_i32_e32 v3, 31, v3
	v_and_b32_e32 v10, v10, v11
	;; [unrolled: 8-line block ×5, first 2 shown]
	v_xor_b32_e32 v11, s35, v3
	v_xor_b32_e32 v3, s34, v3
	v_and_b32_e32 v5, v5, v3
	v_lshlrev_b32_e32 v3, 24, v4
	v_cmp_gt_i64_e64 s[34:35], 0, v[2:3]
	v_not_b32_e32 v2, v3
	v_ashrrev_i32_e32 v2, 31, v2
	v_xor_b32_e32 v3, s35, v2
	v_xor_b32_e32 v2, s34, v2
	; wave barrier
	ds_read_b32 v9, v13 offset:32
	v_and_b32_e32 v10, v10, v11
	v_and_b32_e32 v2, v5, v2
	;; [unrolled: 1-line block ×3, first 2 shown]
	v_mbcnt_lo_u32_b32 v4, v2, 0
	v_mbcnt_hi_u32_b32 v10, v3, v4
	v_cmp_eq_u32_e64 s[34:35], 0, v10
	v_cmp_ne_u64_e64 s[38:39], 0, v[2:3]
	s_and_b64 s[38:39], s[38:39], s[34:35]
	; wave barrier
	s_and_saveexec_b64 s[34:35], s[38:39]
	s_cbranch_execz .LBB224_37
; %bb.36:
	v_bcnt_u32_b32 v2, v2, 0
	v_bcnt_u32_b32 v2, v3, v2
	s_waitcnt lgkmcnt(0)
	v_add_u32_e32 v2, v9, v2
	ds_write_b32 v13, v2 offset:32
.LBB224_37:
	s_or_b64 exec, exec, s[34:35]
	v_lshrrev_b32_e32 v2, s52, v23
	v_and_b32_e32 v4, s66, v2
	v_and_b32_e32 v3, 1, v4
	v_add_co_u32_e64 v5, s[34:35], -1, v3
	v_addc_co_u32_e64 v14, s[34:35], 0, -1, s[34:35]
	v_cmp_ne_u32_e64 s[34:35], 0, v3
	v_lshl_add_u32 v2, v4, 3, v4
	v_xor_b32_e32 v3, s35, v14
	v_add_lshl_u32 v16, v21, v2, 2
	v_mov_b32_e32 v2, 0
	v_and_b32_e32 v14, exec_hi, v3
	v_lshlrev_b32_e32 v3, 30, v4
	v_xor_b32_e32 v5, s34, v5
	v_cmp_gt_i64_e64 s[34:35], 0, v[2:3]
	v_not_b32_e32 v3, v3
	v_ashrrev_i32_e32 v3, 31, v3
	v_and_b32_e32 v5, exec_lo, v5
	v_xor_b32_e32 v15, s35, v3
	v_xor_b32_e32 v3, s34, v3
	v_and_b32_e32 v5, v5, v3
	v_lshlrev_b32_e32 v3, 29, v4
	v_cmp_gt_i64_e64 s[34:35], 0, v[2:3]
	v_not_b32_e32 v3, v3
	v_ashrrev_i32_e32 v3, 31, v3
	v_and_b32_e32 v14, v14, v15
	v_xor_b32_e32 v15, s35, v3
	v_xor_b32_e32 v3, s34, v3
	v_and_b32_e32 v5, v5, v3
	v_lshlrev_b32_e32 v3, 28, v4
	v_cmp_gt_i64_e64 s[34:35], 0, v[2:3]
	v_not_b32_e32 v3, v3
	v_ashrrev_i32_e32 v3, 31, v3
	v_and_b32_e32 v14, v14, v15
	;; [unrolled: 8-line block ×5, first 2 shown]
	v_xor_b32_e32 v15, s35, v3
	v_xor_b32_e32 v3, s34, v3
	v_and_b32_e32 v14, v14, v15
	v_and_b32_e32 v15, v5, v3
	v_lshlrev_b32_e32 v3, 24, v4
	v_cmp_gt_i64_e64 s[34:35], 0, v[2:3]
	v_not_b32_e32 v3, v3
	v_ashrrev_i32_e32 v3, 31, v3
	v_xor_b32_e32 v4, s35, v3
	v_xor_b32_e32 v3, s34, v3
	; wave barrier
	ds_read_b32 v11, v16 offset:32
	v_and_b32_e32 v5, v14, v4
	v_and_b32_e32 v4, v15, v3
	v_mbcnt_lo_u32_b32 v3, v4, 0
	v_mbcnt_hi_u32_b32 v14, v5, v3
	v_cmp_eq_u32_e64 s[34:35], 0, v14
	v_cmp_ne_u64_e64 s[38:39], 0, v[4:5]
	s_and_b64 s[38:39], s[38:39], s[34:35]
	; wave barrier
	s_and_saveexec_b64 s[34:35], s[38:39]
	s_cbranch_execz .LBB224_39
; %bb.38:
	v_bcnt_u32_b32 v3, v4, 0
	v_bcnt_u32_b32 v3, v5, v3
	s_waitcnt lgkmcnt(0)
	v_add_u32_e32 v3, v11, v3
	ds_write_b32 v16, v3 offset:32
.LBB224_39:
	s_or_b64 exec, exec, s[34:35]
	v_lshrrev_b32_e32 v3, s52, v27
	v_and_b32_e32 v4, s66, v3
	v_lshl_add_u32 v3, v4, 3, v4
	v_add_lshl_u32 v39, v21, v3, 2
	v_and_b32_e32 v3, 1, v4
	v_add_co_u32_e64 v5, s[34:35], -1, v3
	v_addc_co_u32_e64 v17, s[34:35], 0, -1, s[34:35]
	v_cmp_ne_u32_e64 s[34:35], 0, v3
	v_xor_b32_e32 v3, s35, v17
	v_and_b32_e32 v17, exec_hi, v3
	v_lshlrev_b32_e32 v3, 30, v4
	v_xor_b32_e32 v5, s34, v5
	v_cmp_gt_i64_e64 s[34:35], 0, v[2:3]
	v_not_b32_e32 v3, v3
	v_ashrrev_i32_e32 v3, 31, v3
	v_and_b32_e32 v5, exec_lo, v5
	v_xor_b32_e32 v20, s35, v3
	v_xor_b32_e32 v3, s34, v3
	v_and_b32_e32 v5, v5, v3
	v_lshlrev_b32_e32 v3, 29, v4
	v_cmp_gt_i64_e64 s[34:35], 0, v[2:3]
	v_not_b32_e32 v3, v3
	v_ashrrev_i32_e32 v3, 31, v3
	v_and_b32_e32 v17, v17, v20
	v_xor_b32_e32 v20, s35, v3
	v_xor_b32_e32 v3, s34, v3
	v_and_b32_e32 v5, v5, v3
	v_lshlrev_b32_e32 v3, 28, v4
	v_cmp_gt_i64_e64 s[34:35], 0, v[2:3]
	v_not_b32_e32 v3, v3
	v_ashrrev_i32_e32 v3, 31, v3
	v_and_b32_e32 v17, v17, v20
	v_xor_b32_e32 v20, s35, v3
	v_xor_b32_e32 v3, s34, v3
	v_and_b32_e32 v5, v5, v3
	v_lshlrev_b32_e32 v3, 27, v4
	v_cmp_gt_i64_e64 s[34:35], 0, v[2:3]
	v_not_b32_e32 v3, v3
	v_ashrrev_i32_e32 v3, 31, v3
	v_and_b32_e32 v17, v17, v20
	v_xor_b32_e32 v20, s35, v3
	v_xor_b32_e32 v3, s34, v3
	v_and_b32_e32 v5, v5, v3
	v_lshlrev_b32_e32 v3, 26, v4
	v_cmp_gt_i64_e64 s[34:35], 0, v[2:3]
	v_not_b32_e32 v3, v3
	v_ashrrev_i32_e32 v3, 31, v3
	v_and_b32_e32 v17, v17, v20
	v_xor_b32_e32 v20, s35, v3
	v_xor_b32_e32 v3, s34, v3
	v_and_b32_e32 v5, v5, v3
	v_lshlrev_b32_e32 v3, 25, v4
	v_cmp_gt_i64_e64 s[34:35], 0, v[2:3]
	v_not_b32_e32 v3, v3
	v_ashrrev_i32_e32 v3, 31, v3
	v_and_b32_e32 v17, v17, v20
	v_xor_b32_e32 v20, s35, v3
	v_xor_b32_e32 v3, s34, v3
	v_and_b32_e32 v5, v5, v3
	v_lshlrev_b32_e32 v3, 24, v4
	v_cmp_gt_i64_e64 s[34:35], 0, v[2:3]
	v_not_b32_e32 v2, v3
	v_ashrrev_i32_e32 v2, 31, v2
	v_xor_b32_e32 v3, s35, v2
	v_xor_b32_e32 v2, s34, v2
	; wave barrier
	ds_read_b32 v15, v39 offset:32
	v_and_b32_e32 v17, v17, v20
	v_and_b32_e32 v2, v5, v2
	;; [unrolled: 1-line block ×3, first 2 shown]
	v_mbcnt_lo_u32_b32 v4, v2, 0
	v_mbcnt_hi_u32_b32 v17, v3, v4
	v_cmp_eq_u32_e64 s[34:35], 0, v17
	v_cmp_ne_u64_e64 s[38:39], 0, v[2:3]
	s_and_b64 s[38:39], s[38:39], s[34:35]
	; wave barrier
	s_and_saveexec_b64 s[34:35], s[38:39]
	s_cbranch_execz .LBB224_41
; %bb.40:
	v_bcnt_u32_b32 v2, v2, 0
	v_bcnt_u32_b32 v2, v3, v2
	s_waitcnt lgkmcnt(0)
	v_add_u32_e32 v2, v15, v2
	ds_write_b32 v39, v2 offset:32
.LBB224_41:
	s_or_b64 exec, exec, s[34:35]
	v_lshrrev_b32_e32 v2, s52, v26
	v_and_b32_e32 v4, s66, v2
	v_and_b32_e32 v3, 1, v4
	v_add_co_u32_e64 v5, s[34:35], -1, v3
	v_addc_co_u32_e64 v40, s[34:35], 0, -1, s[34:35]
	v_cmp_ne_u32_e64 s[34:35], 0, v3
	v_lshl_add_u32 v2, v4, 3, v4
	v_xor_b32_e32 v3, s35, v40
	v_add_lshl_u32 v42, v21, v2, 2
	v_mov_b32_e32 v2, 0
	v_and_b32_e32 v40, exec_hi, v3
	v_lshlrev_b32_e32 v3, 30, v4
	v_xor_b32_e32 v5, s34, v5
	v_cmp_gt_i64_e64 s[34:35], 0, v[2:3]
	v_not_b32_e32 v3, v3
	v_ashrrev_i32_e32 v3, 31, v3
	v_and_b32_e32 v5, exec_lo, v5
	v_xor_b32_e32 v41, s35, v3
	v_xor_b32_e32 v3, s34, v3
	v_and_b32_e32 v5, v5, v3
	v_lshlrev_b32_e32 v3, 29, v4
	v_cmp_gt_i64_e64 s[34:35], 0, v[2:3]
	v_not_b32_e32 v3, v3
	v_ashrrev_i32_e32 v3, 31, v3
	v_and_b32_e32 v40, v40, v41
	v_xor_b32_e32 v41, s35, v3
	v_xor_b32_e32 v3, s34, v3
	v_and_b32_e32 v5, v5, v3
	v_lshlrev_b32_e32 v3, 28, v4
	v_cmp_gt_i64_e64 s[34:35], 0, v[2:3]
	v_not_b32_e32 v3, v3
	v_ashrrev_i32_e32 v3, 31, v3
	v_and_b32_e32 v40, v40, v41
	;; [unrolled: 8-line block ×5, first 2 shown]
	v_xor_b32_e32 v41, s35, v3
	v_xor_b32_e32 v3, s34, v3
	v_and_b32_e32 v40, v40, v41
	v_and_b32_e32 v41, v5, v3
	v_lshlrev_b32_e32 v3, 24, v4
	v_cmp_gt_i64_e64 s[34:35], 0, v[2:3]
	v_not_b32_e32 v3, v3
	v_ashrrev_i32_e32 v3, 31, v3
	v_xor_b32_e32 v4, s35, v3
	v_xor_b32_e32 v3, s34, v3
	; wave barrier
	ds_read_b32 v20, v42 offset:32
	v_and_b32_e32 v5, v40, v4
	v_and_b32_e32 v4, v41, v3
	v_mbcnt_lo_u32_b32 v3, v4, 0
	v_mbcnt_hi_u32_b32 v40, v5, v3
	v_cmp_eq_u32_e64 s[34:35], 0, v40
	v_cmp_ne_u64_e64 s[38:39], 0, v[4:5]
	s_and_b64 s[38:39], s[38:39], s[34:35]
	; wave barrier
	s_and_saveexec_b64 s[34:35], s[38:39]
	s_cbranch_execz .LBB224_43
; %bb.42:
	v_bcnt_u32_b32 v3, v4, 0
	v_bcnt_u32_b32 v3, v5, v3
	s_waitcnt lgkmcnt(0)
	v_add_u32_e32 v3, v20, v3
	ds_write_b32 v42, v3 offset:32
.LBB224_43:
	s_or_b64 exec, exec, s[34:35]
	v_lshrrev_b32_e32 v3, s52, v29
	v_and_b32_e32 v4, s66, v3
	v_lshl_add_u32 v3, v4, 3, v4
	v_add_lshl_u32 v45, v21, v3, 2
	v_and_b32_e32 v3, 1, v4
	v_add_co_u32_e64 v5, s[34:35], -1, v3
	v_addc_co_u32_e64 v43, s[34:35], 0, -1, s[34:35]
	v_cmp_ne_u32_e64 s[34:35], 0, v3
	v_xor_b32_e32 v3, s35, v43
	v_and_b32_e32 v43, exec_hi, v3
	v_lshlrev_b32_e32 v3, 30, v4
	v_xor_b32_e32 v5, s34, v5
	v_cmp_gt_i64_e64 s[34:35], 0, v[2:3]
	v_not_b32_e32 v3, v3
	v_ashrrev_i32_e32 v3, 31, v3
	v_and_b32_e32 v5, exec_lo, v5
	v_xor_b32_e32 v44, s35, v3
	v_xor_b32_e32 v3, s34, v3
	v_and_b32_e32 v5, v5, v3
	v_lshlrev_b32_e32 v3, 29, v4
	v_cmp_gt_i64_e64 s[34:35], 0, v[2:3]
	v_not_b32_e32 v3, v3
	v_ashrrev_i32_e32 v3, 31, v3
	v_and_b32_e32 v43, v43, v44
	v_xor_b32_e32 v44, s35, v3
	v_xor_b32_e32 v3, s34, v3
	v_and_b32_e32 v5, v5, v3
	v_lshlrev_b32_e32 v3, 28, v4
	v_cmp_gt_i64_e64 s[34:35], 0, v[2:3]
	v_not_b32_e32 v3, v3
	v_ashrrev_i32_e32 v3, 31, v3
	v_and_b32_e32 v43, v43, v44
	;; [unrolled: 8-line block ×5, first 2 shown]
	v_xor_b32_e32 v44, s35, v3
	v_xor_b32_e32 v3, s34, v3
	v_and_b32_e32 v5, v5, v3
	v_lshlrev_b32_e32 v3, 24, v4
	v_cmp_gt_i64_e64 s[34:35], 0, v[2:3]
	v_not_b32_e32 v2, v3
	v_ashrrev_i32_e32 v2, 31, v2
	v_xor_b32_e32 v3, s35, v2
	v_xor_b32_e32 v2, s34, v2
	; wave barrier
	ds_read_b32 v41, v45 offset:32
	v_and_b32_e32 v43, v43, v44
	v_and_b32_e32 v2, v5, v2
	;; [unrolled: 1-line block ×3, first 2 shown]
	v_mbcnt_lo_u32_b32 v4, v2, 0
	v_mbcnt_hi_u32_b32 v43, v3, v4
	v_cmp_eq_u32_e64 s[34:35], 0, v43
	v_cmp_ne_u64_e64 s[38:39], 0, v[2:3]
	s_and_b64 s[38:39], s[38:39], s[34:35]
	; wave barrier
	s_and_saveexec_b64 s[34:35], s[38:39]
	s_cbranch_execz .LBB224_45
; %bb.44:
	v_bcnt_u32_b32 v2, v2, 0
	v_bcnt_u32_b32 v2, v3, v2
	s_waitcnt lgkmcnt(0)
	v_add_u32_e32 v2, v41, v2
	ds_write_b32 v45, v2 offset:32
.LBB224_45:
	s_or_b64 exec, exec, s[34:35]
	v_lshrrev_b32_e32 v2, s52, v28
	v_and_b32_e32 v4, s66, v2
	v_and_b32_e32 v3, 1, v4
	v_add_co_u32_e64 v5, s[34:35], -1, v3
	v_addc_co_u32_e64 v46, s[34:35], 0, -1, s[34:35]
	v_cmp_ne_u32_e64 s[34:35], 0, v3
	v_lshl_add_u32 v2, v4, 3, v4
	v_xor_b32_e32 v3, s35, v46
	v_add_lshl_u32 v48, v21, v2, 2
	v_mov_b32_e32 v2, 0
	v_and_b32_e32 v46, exec_hi, v3
	v_lshlrev_b32_e32 v3, 30, v4
	v_xor_b32_e32 v5, s34, v5
	v_cmp_gt_i64_e64 s[34:35], 0, v[2:3]
	v_not_b32_e32 v3, v3
	v_ashrrev_i32_e32 v3, 31, v3
	v_and_b32_e32 v5, exec_lo, v5
	v_xor_b32_e32 v47, s35, v3
	v_xor_b32_e32 v3, s34, v3
	v_and_b32_e32 v5, v5, v3
	v_lshlrev_b32_e32 v3, 29, v4
	v_cmp_gt_i64_e64 s[34:35], 0, v[2:3]
	v_not_b32_e32 v3, v3
	v_ashrrev_i32_e32 v3, 31, v3
	v_and_b32_e32 v46, v46, v47
	v_xor_b32_e32 v47, s35, v3
	v_xor_b32_e32 v3, s34, v3
	v_and_b32_e32 v5, v5, v3
	v_lshlrev_b32_e32 v3, 28, v4
	v_cmp_gt_i64_e64 s[34:35], 0, v[2:3]
	v_not_b32_e32 v3, v3
	v_ashrrev_i32_e32 v3, 31, v3
	v_and_b32_e32 v46, v46, v47
	;; [unrolled: 8-line block ×5, first 2 shown]
	v_xor_b32_e32 v47, s35, v3
	v_xor_b32_e32 v3, s34, v3
	v_and_b32_e32 v46, v46, v47
	v_and_b32_e32 v47, v5, v3
	v_lshlrev_b32_e32 v3, 24, v4
	v_cmp_gt_i64_e64 s[34:35], 0, v[2:3]
	v_not_b32_e32 v3, v3
	v_ashrrev_i32_e32 v3, 31, v3
	v_xor_b32_e32 v4, s35, v3
	v_xor_b32_e32 v3, s34, v3
	; wave barrier
	ds_read_b32 v44, v48 offset:32
	v_and_b32_e32 v5, v46, v4
	v_and_b32_e32 v4, v47, v3
	v_mbcnt_lo_u32_b32 v3, v4, 0
	v_mbcnt_hi_u32_b32 v46, v5, v3
	v_cmp_eq_u32_e64 s[34:35], 0, v46
	v_cmp_ne_u64_e64 s[38:39], 0, v[4:5]
	s_and_b64 s[38:39], s[38:39], s[34:35]
	; wave barrier
	s_and_saveexec_b64 s[34:35], s[38:39]
	s_cbranch_execz .LBB224_47
; %bb.46:
	v_bcnt_u32_b32 v3, v4, 0
	v_bcnt_u32_b32 v3, v5, v3
	s_waitcnt lgkmcnt(0)
	v_add_u32_e32 v3, v44, v3
	ds_write_b32 v48, v3 offset:32
.LBB224_47:
	s_or_b64 exec, exec, s[34:35]
	v_lshrrev_b32_e32 v3, s52, v31
	v_and_b32_e32 v4, s66, v3
	v_lshl_add_u32 v3, v4, 3, v4
	v_add_lshl_u32 v51, v21, v3, 2
	v_and_b32_e32 v3, 1, v4
	v_add_co_u32_e64 v5, s[34:35], -1, v3
	v_addc_co_u32_e64 v49, s[34:35], 0, -1, s[34:35]
	v_cmp_ne_u32_e64 s[34:35], 0, v3
	v_xor_b32_e32 v3, s35, v49
	v_and_b32_e32 v49, exec_hi, v3
	v_lshlrev_b32_e32 v3, 30, v4
	v_xor_b32_e32 v5, s34, v5
	v_cmp_gt_i64_e64 s[34:35], 0, v[2:3]
	v_not_b32_e32 v3, v3
	v_ashrrev_i32_e32 v3, 31, v3
	v_and_b32_e32 v5, exec_lo, v5
	v_xor_b32_e32 v50, s35, v3
	v_xor_b32_e32 v3, s34, v3
	v_and_b32_e32 v5, v5, v3
	v_lshlrev_b32_e32 v3, 29, v4
	v_cmp_gt_i64_e64 s[34:35], 0, v[2:3]
	v_not_b32_e32 v3, v3
	v_ashrrev_i32_e32 v3, 31, v3
	v_and_b32_e32 v49, v49, v50
	v_xor_b32_e32 v50, s35, v3
	v_xor_b32_e32 v3, s34, v3
	v_and_b32_e32 v5, v5, v3
	v_lshlrev_b32_e32 v3, 28, v4
	v_cmp_gt_i64_e64 s[34:35], 0, v[2:3]
	v_not_b32_e32 v3, v3
	v_ashrrev_i32_e32 v3, 31, v3
	v_and_b32_e32 v49, v49, v50
	;; [unrolled: 8-line block ×5, first 2 shown]
	v_xor_b32_e32 v50, s35, v3
	v_xor_b32_e32 v3, s34, v3
	v_and_b32_e32 v5, v5, v3
	v_lshlrev_b32_e32 v3, 24, v4
	v_cmp_gt_i64_e64 s[34:35], 0, v[2:3]
	v_not_b32_e32 v2, v3
	v_ashrrev_i32_e32 v2, 31, v2
	v_xor_b32_e32 v3, s35, v2
	v_xor_b32_e32 v2, s34, v2
	; wave barrier
	ds_read_b32 v47, v51 offset:32
	v_and_b32_e32 v49, v49, v50
	v_and_b32_e32 v2, v5, v2
	;; [unrolled: 1-line block ×3, first 2 shown]
	v_mbcnt_lo_u32_b32 v4, v2, 0
	v_mbcnt_hi_u32_b32 v49, v3, v4
	v_cmp_eq_u32_e64 s[34:35], 0, v49
	v_cmp_ne_u64_e64 s[38:39], 0, v[2:3]
	s_and_b64 s[38:39], s[38:39], s[34:35]
	; wave barrier
	s_and_saveexec_b64 s[34:35], s[38:39]
	s_cbranch_execz .LBB224_49
; %bb.48:
	v_bcnt_u32_b32 v2, v2, 0
	v_bcnt_u32_b32 v2, v3, v2
	s_waitcnt lgkmcnt(0)
	v_add_u32_e32 v2, v47, v2
	ds_write_b32 v51, v2 offset:32
.LBB224_49:
	s_or_b64 exec, exec, s[34:35]
	v_lshrrev_b32_e32 v2, s52, v30
	v_and_b32_e32 v4, s66, v2
	v_and_b32_e32 v3, 1, v4
	v_add_co_u32_e64 v5, s[34:35], -1, v3
	v_addc_co_u32_e64 v52, s[34:35], 0, -1, s[34:35]
	v_cmp_ne_u32_e64 s[34:35], 0, v3
	v_lshl_add_u32 v2, v4, 3, v4
	v_xor_b32_e32 v3, s35, v52
	v_add_lshl_u32 v54, v21, v2, 2
	v_mov_b32_e32 v2, 0
	v_and_b32_e32 v52, exec_hi, v3
	v_lshlrev_b32_e32 v3, 30, v4
	v_xor_b32_e32 v5, s34, v5
	v_cmp_gt_i64_e64 s[34:35], 0, v[2:3]
	v_not_b32_e32 v3, v3
	v_ashrrev_i32_e32 v3, 31, v3
	v_and_b32_e32 v5, exec_lo, v5
	v_xor_b32_e32 v53, s35, v3
	v_xor_b32_e32 v3, s34, v3
	v_and_b32_e32 v5, v5, v3
	v_lshlrev_b32_e32 v3, 29, v4
	v_cmp_gt_i64_e64 s[34:35], 0, v[2:3]
	v_not_b32_e32 v3, v3
	v_ashrrev_i32_e32 v3, 31, v3
	v_and_b32_e32 v52, v52, v53
	v_xor_b32_e32 v53, s35, v3
	v_xor_b32_e32 v3, s34, v3
	v_and_b32_e32 v5, v5, v3
	v_lshlrev_b32_e32 v3, 28, v4
	v_cmp_gt_i64_e64 s[34:35], 0, v[2:3]
	v_not_b32_e32 v3, v3
	v_ashrrev_i32_e32 v3, 31, v3
	v_and_b32_e32 v52, v52, v53
	;; [unrolled: 8-line block ×5, first 2 shown]
	v_xor_b32_e32 v53, s35, v3
	v_xor_b32_e32 v3, s34, v3
	v_and_b32_e32 v52, v52, v53
	v_and_b32_e32 v53, v5, v3
	v_lshlrev_b32_e32 v3, 24, v4
	v_cmp_gt_i64_e64 s[34:35], 0, v[2:3]
	v_not_b32_e32 v3, v3
	v_ashrrev_i32_e32 v3, 31, v3
	v_xor_b32_e32 v4, s35, v3
	v_xor_b32_e32 v3, s34, v3
	; wave barrier
	ds_read_b32 v50, v54 offset:32
	v_and_b32_e32 v5, v52, v4
	v_and_b32_e32 v4, v53, v3
	v_mbcnt_lo_u32_b32 v3, v4, 0
	v_mbcnt_hi_u32_b32 v52, v5, v3
	v_cmp_eq_u32_e64 s[34:35], 0, v52
	v_cmp_ne_u64_e64 s[38:39], 0, v[4:5]
	s_and_b64 s[38:39], s[38:39], s[34:35]
	; wave barrier
	s_and_saveexec_b64 s[34:35], s[38:39]
	s_cbranch_execz .LBB224_51
; %bb.50:
	v_bcnt_u32_b32 v3, v4, 0
	v_bcnt_u32_b32 v3, v5, v3
	s_waitcnt lgkmcnt(0)
	v_add_u32_e32 v3, v50, v3
	ds_write_b32 v54, v3 offset:32
.LBB224_51:
	s_or_b64 exec, exec, s[34:35]
	v_lshrrev_b32_e32 v3, s52, v33
	v_and_b32_e32 v4, s66, v3
	v_lshl_add_u32 v3, v4, 3, v4
	v_add_lshl_u32 v57, v21, v3, 2
	v_and_b32_e32 v3, 1, v4
	v_add_co_u32_e64 v5, s[34:35], -1, v3
	v_addc_co_u32_e64 v55, s[34:35], 0, -1, s[34:35]
	v_cmp_ne_u32_e64 s[34:35], 0, v3
	v_xor_b32_e32 v3, s35, v55
	v_and_b32_e32 v55, exec_hi, v3
	v_lshlrev_b32_e32 v3, 30, v4
	v_xor_b32_e32 v5, s34, v5
	v_cmp_gt_i64_e64 s[34:35], 0, v[2:3]
	v_not_b32_e32 v3, v3
	v_ashrrev_i32_e32 v3, 31, v3
	v_and_b32_e32 v5, exec_lo, v5
	v_xor_b32_e32 v56, s35, v3
	v_xor_b32_e32 v3, s34, v3
	v_and_b32_e32 v5, v5, v3
	v_lshlrev_b32_e32 v3, 29, v4
	v_cmp_gt_i64_e64 s[34:35], 0, v[2:3]
	v_not_b32_e32 v3, v3
	v_ashrrev_i32_e32 v3, 31, v3
	v_and_b32_e32 v55, v55, v56
	v_xor_b32_e32 v56, s35, v3
	v_xor_b32_e32 v3, s34, v3
	v_and_b32_e32 v5, v5, v3
	v_lshlrev_b32_e32 v3, 28, v4
	v_cmp_gt_i64_e64 s[34:35], 0, v[2:3]
	v_not_b32_e32 v3, v3
	v_ashrrev_i32_e32 v3, 31, v3
	v_and_b32_e32 v55, v55, v56
	;; [unrolled: 8-line block ×5, first 2 shown]
	v_xor_b32_e32 v56, s35, v3
	v_xor_b32_e32 v3, s34, v3
	v_and_b32_e32 v5, v5, v3
	v_lshlrev_b32_e32 v3, 24, v4
	v_cmp_gt_i64_e64 s[34:35], 0, v[2:3]
	v_not_b32_e32 v2, v3
	v_ashrrev_i32_e32 v2, 31, v2
	v_xor_b32_e32 v3, s35, v2
	v_xor_b32_e32 v2, s34, v2
	; wave barrier
	ds_read_b32 v53, v57 offset:32
	v_and_b32_e32 v55, v55, v56
	v_and_b32_e32 v2, v5, v2
	;; [unrolled: 1-line block ×3, first 2 shown]
	v_mbcnt_lo_u32_b32 v4, v2, 0
	v_mbcnt_hi_u32_b32 v55, v3, v4
	v_cmp_eq_u32_e64 s[34:35], 0, v55
	v_cmp_ne_u64_e64 s[38:39], 0, v[2:3]
	s_and_b64 s[38:39], s[38:39], s[34:35]
	; wave barrier
	s_and_saveexec_b64 s[34:35], s[38:39]
	s_cbranch_execz .LBB224_53
; %bb.52:
	v_bcnt_u32_b32 v2, v2, 0
	v_bcnt_u32_b32 v2, v3, v2
	s_waitcnt lgkmcnt(0)
	v_add_u32_e32 v2, v53, v2
	ds_write_b32 v57, v2 offset:32
.LBB224_53:
	s_or_b64 exec, exec, s[34:35]
	v_lshrrev_b32_e32 v2, s52, v32
	v_and_b32_e32 v4, s66, v2
	v_and_b32_e32 v3, 1, v4
	v_add_co_u32_e64 v5, s[34:35], -1, v3
	v_addc_co_u32_e64 v58, s[34:35], 0, -1, s[34:35]
	v_cmp_ne_u32_e64 s[34:35], 0, v3
	v_lshl_add_u32 v2, v4, 3, v4
	v_xor_b32_e32 v3, s35, v58
	v_add_lshl_u32 v60, v21, v2, 2
	v_mov_b32_e32 v2, 0
	v_and_b32_e32 v58, exec_hi, v3
	v_lshlrev_b32_e32 v3, 30, v4
	v_xor_b32_e32 v5, s34, v5
	v_cmp_gt_i64_e64 s[34:35], 0, v[2:3]
	v_not_b32_e32 v3, v3
	v_ashrrev_i32_e32 v3, 31, v3
	v_and_b32_e32 v5, exec_lo, v5
	v_xor_b32_e32 v59, s35, v3
	v_xor_b32_e32 v3, s34, v3
	v_and_b32_e32 v5, v5, v3
	v_lshlrev_b32_e32 v3, 29, v4
	v_cmp_gt_i64_e64 s[34:35], 0, v[2:3]
	v_not_b32_e32 v3, v3
	v_ashrrev_i32_e32 v3, 31, v3
	v_and_b32_e32 v58, v58, v59
	v_xor_b32_e32 v59, s35, v3
	v_xor_b32_e32 v3, s34, v3
	v_and_b32_e32 v5, v5, v3
	v_lshlrev_b32_e32 v3, 28, v4
	v_cmp_gt_i64_e64 s[34:35], 0, v[2:3]
	v_not_b32_e32 v3, v3
	v_ashrrev_i32_e32 v3, 31, v3
	v_and_b32_e32 v58, v58, v59
	;; [unrolled: 8-line block ×5, first 2 shown]
	v_xor_b32_e32 v59, s35, v3
	v_xor_b32_e32 v3, s34, v3
	v_and_b32_e32 v58, v58, v59
	v_and_b32_e32 v59, v5, v3
	v_lshlrev_b32_e32 v3, 24, v4
	v_cmp_gt_i64_e64 s[34:35], 0, v[2:3]
	v_not_b32_e32 v3, v3
	v_ashrrev_i32_e32 v3, 31, v3
	v_xor_b32_e32 v4, s35, v3
	v_xor_b32_e32 v3, s34, v3
	; wave barrier
	ds_read_b32 v56, v60 offset:32
	v_and_b32_e32 v5, v58, v4
	v_and_b32_e32 v4, v59, v3
	v_mbcnt_lo_u32_b32 v3, v4, 0
	v_mbcnt_hi_u32_b32 v58, v5, v3
	v_cmp_eq_u32_e64 s[34:35], 0, v58
	v_cmp_ne_u64_e64 s[38:39], 0, v[4:5]
	s_and_b64 s[38:39], s[38:39], s[34:35]
	; wave barrier
	s_and_saveexec_b64 s[34:35], s[38:39]
	s_cbranch_execz .LBB224_55
; %bb.54:
	v_bcnt_u32_b32 v3, v4, 0
	v_bcnt_u32_b32 v3, v5, v3
	s_waitcnt lgkmcnt(0)
	v_add_u32_e32 v3, v56, v3
	ds_write_b32 v60, v3 offset:32
.LBB224_55:
	s_or_b64 exec, exec, s[34:35]
	v_lshrrev_b32_e32 v3, s52, v35
	v_and_b32_e32 v4, s66, v3
	v_lshl_add_u32 v3, v4, 3, v4
	v_add_lshl_u32 v61, v21, v3, 2
	v_and_b32_e32 v3, 1, v4
	v_add_co_u32_e64 v5, s[34:35], -1, v3
	v_addc_co_u32_e64 v62, s[34:35], 0, -1, s[34:35]
	v_cmp_ne_u32_e64 s[34:35], 0, v3
	v_xor_b32_e32 v3, s35, v62
	v_and_b32_e32 v62, exec_hi, v3
	v_lshlrev_b32_e32 v3, 30, v4
	v_xor_b32_e32 v5, s34, v5
	v_cmp_gt_i64_e64 s[34:35], 0, v[2:3]
	v_not_b32_e32 v3, v3
	v_ashrrev_i32_e32 v3, 31, v3
	v_and_b32_e32 v5, exec_lo, v5
	v_xor_b32_e32 v63, s35, v3
	v_xor_b32_e32 v3, s34, v3
	v_and_b32_e32 v5, v5, v3
	v_lshlrev_b32_e32 v3, 29, v4
	v_cmp_gt_i64_e64 s[34:35], 0, v[2:3]
	v_not_b32_e32 v3, v3
	v_ashrrev_i32_e32 v3, 31, v3
	v_and_b32_e32 v62, v62, v63
	v_xor_b32_e32 v63, s35, v3
	v_xor_b32_e32 v3, s34, v3
	v_and_b32_e32 v5, v5, v3
	v_lshlrev_b32_e32 v3, 28, v4
	v_cmp_gt_i64_e64 s[34:35], 0, v[2:3]
	v_not_b32_e32 v3, v3
	v_ashrrev_i32_e32 v3, 31, v3
	v_and_b32_e32 v62, v62, v63
	;; [unrolled: 8-line block ×5, first 2 shown]
	v_xor_b32_e32 v63, s35, v3
	v_xor_b32_e32 v3, s34, v3
	v_and_b32_e32 v5, v5, v3
	v_lshlrev_b32_e32 v3, 24, v4
	v_cmp_gt_i64_e64 s[34:35], 0, v[2:3]
	v_not_b32_e32 v2, v3
	v_ashrrev_i32_e32 v2, 31, v2
	v_xor_b32_e32 v3, s35, v2
	v_xor_b32_e32 v2, s34, v2
	; wave barrier
	ds_read_b32 v59, v61 offset:32
	v_and_b32_e32 v62, v62, v63
	v_and_b32_e32 v2, v5, v2
	;; [unrolled: 1-line block ×3, first 2 shown]
	v_mbcnt_lo_u32_b32 v4, v2, 0
	v_mbcnt_hi_u32_b32 v65, v3, v4
	v_cmp_eq_u32_e64 s[34:35], 0, v65
	v_cmp_ne_u64_e64 s[38:39], 0, v[2:3]
	s_and_b64 s[38:39], s[38:39], s[34:35]
	; wave barrier
	s_and_saveexec_b64 s[34:35], s[38:39]
	s_cbranch_execz .LBB224_57
; %bb.56:
	v_bcnt_u32_b32 v2, v2, 0
	v_bcnt_u32_b32 v2, v3, v2
	s_waitcnt lgkmcnt(0)
	v_add_u32_e32 v2, v59, v2
	ds_write_b32 v61, v2 offset:32
.LBB224_57:
	s_or_b64 exec, exec, s[34:35]
	v_lshrrev_b32_e32 v2, s52, v34
	v_and_b32_e32 v4, s66, v2
	v_and_b32_e32 v3, 1, v4
	v_add_co_u32_e64 v5, s[34:35], -1, v3
	v_addc_co_u32_e64 v63, s[34:35], 0, -1, s[34:35]
	v_cmp_ne_u32_e64 s[34:35], 0, v3
	v_lshl_add_u32 v2, v4, 3, v4
	v_xor_b32_e32 v3, s35, v63
	v_add_lshl_u32 v62, v21, v2, 2
	v_mov_b32_e32 v2, 0
	v_and_b32_e32 v63, exec_hi, v3
	v_lshlrev_b32_e32 v3, 30, v4
	v_xor_b32_e32 v5, s34, v5
	v_cmp_gt_i64_e64 s[34:35], 0, v[2:3]
	v_not_b32_e32 v3, v3
	v_ashrrev_i32_e32 v3, 31, v3
	v_and_b32_e32 v5, exec_lo, v5
	v_xor_b32_e32 v66, s35, v3
	v_xor_b32_e32 v3, s34, v3
	v_and_b32_e32 v5, v5, v3
	v_lshlrev_b32_e32 v3, 29, v4
	v_cmp_gt_i64_e64 s[34:35], 0, v[2:3]
	v_not_b32_e32 v3, v3
	v_ashrrev_i32_e32 v3, 31, v3
	v_and_b32_e32 v63, v63, v66
	v_xor_b32_e32 v66, s35, v3
	v_xor_b32_e32 v3, s34, v3
	v_and_b32_e32 v5, v5, v3
	v_lshlrev_b32_e32 v3, 28, v4
	v_cmp_gt_i64_e64 s[34:35], 0, v[2:3]
	v_not_b32_e32 v3, v3
	v_ashrrev_i32_e32 v3, 31, v3
	v_and_b32_e32 v63, v63, v66
	;; [unrolled: 8-line block ×5, first 2 shown]
	v_xor_b32_e32 v66, s35, v3
	v_xor_b32_e32 v3, s34, v3
	v_and_b32_e32 v63, v63, v66
	v_and_b32_e32 v66, v5, v3
	v_lshlrev_b32_e32 v3, 24, v4
	v_cmp_gt_i64_e64 s[34:35], 0, v[2:3]
	v_not_b32_e32 v3, v3
	v_ashrrev_i32_e32 v3, 31, v3
	v_xor_b32_e32 v4, s35, v3
	v_xor_b32_e32 v3, s34, v3
	; wave barrier
	ds_read_b32 v64, v62 offset:32
	v_and_b32_e32 v5, v63, v4
	v_and_b32_e32 v4, v66, v3
	v_mbcnt_lo_u32_b32 v3, v4, 0
	v_mbcnt_hi_u32_b32 v66, v5, v3
	v_cmp_eq_u32_e64 s[34:35], 0, v66
	v_cmp_ne_u64_e64 s[38:39], 0, v[4:5]
	s_and_b64 s[38:39], s[38:39], s[34:35]
	; wave barrier
	s_and_saveexec_b64 s[34:35], s[38:39]
	s_cbranch_execz .LBB224_59
; %bb.58:
	v_bcnt_u32_b32 v3, v4, 0
	v_bcnt_u32_b32 v3, v5, v3
	s_waitcnt lgkmcnt(0)
	v_add_u32_e32 v3, v64, v3
	ds_write_b32 v62, v3 offset:32
.LBB224_59:
	s_or_b64 exec, exec, s[34:35]
	v_lshrrev_b32_e32 v3, s52, v37
	v_and_b32_e32 v4, s66, v3
	v_lshl_add_u32 v3, v4, 3, v4
	v_add_lshl_u32 v69, v21, v3, 2
	v_and_b32_e32 v3, 1, v4
	v_add_co_u32_e64 v5, s[34:35], -1, v3
	v_addc_co_u32_e64 v67, s[34:35], 0, -1, s[34:35]
	v_cmp_ne_u32_e64 s[34:35], 0, v3
	v_xor_b32_e32 v3, s35, v67
	v_and_b32_e32 v67, exec_hi, v3
	v_lshlrev_b32_e32 v3, 30, v4
	v_xor_b32_e32 v5, s34, v5
	v_cmp_gt_i64_e64 s[34:35], 0, v[2:3]
	v_not_b32_e32 v3, v3
	v_ashrrev_i32_e32 v3, 31, v3
	v_and_b32_e32 v5, exec_lo, v5
	v_xor_b32_e32 v68, s35, v3
	v_xor_b32_e32 v3, s34, v3
	v_and_b32_e32 v5, v5, v3
	v_lshlrev_b32_e32 v3, 29, v4
	v_cmp_gt_i64_e64 s[34:35], 0, v[2:3]
	v_not_b32_e32 v3, v3
	v_ashrrev_i32_e32 v3, 31, v3
	v_and_b32_e32 v67, v67, v68
	v_xor_b32_e32 v68, s35, v3
	v_xor_b32_e32 v3, s34, v3
	v_and_b32_e32 v5, v5, v3
	v_lshlrev_b32_e32 v3, 28, v4
	v_cmp_gt_i64_e64 s[34:35], 0, v[2:3]
	v_not_b32_e32 v3, v3
	v_ashrrev_i32_e32 v3, 31, v3
	v_and_b32_e32 v67, v67, v68
	;; [unrolled: 8-line block ×5, first 2 shown]
	v_xor_b32_e32 v68, s35, v3
	v_xor_b32_e32 v3, s34, v3
	v_and_b32_e32 v5, v5, v3
	v_lshlrev_b32_e32 v3, 24, v4
	v_cmp_gt_i64_e64 s[34:35], 0, v[2:3]
	v_not_b32_e32 v2, v3
	v_ashrrev_i32_e32 v2, 31, v2
	v_xor_b32_e32 v3, s35, v2
	v_xor_b32_e32 v2, s34, v2
	; wave barrier
	ds_read_b32 v63, v69 offset:32
	v_and_b32_e32 v67, v67, v68
	v_and_b32_e32 v2, v5, v2
	;; [unrolled: 1-line block ×3, first 2 shown]
	v_mbcnt_lo_u32_b32 v4, v2, 0
	v_mbcnt_hi_u32_b32 v67, v3, v4
	v_cmp_eq_u32_e64 s[34:35], 0, v67
	v_cmp_ne_u64_e64 s[38:39], 0, v[2:3]
	s_and_b64 s[38:39], s[38:39], s[34:35]
	; wave barrier
	s_and_saveexec_b64 s[34:35], s[38:39]
	s_cbranch_execz .LBB224_61
; %bb.60:
	v_bcnt_u32_b32 v2, v2, 0
	v_bcnt_u32_b32 v2, v3, v2
	s_waitcnt lgkmcnt(0)
	v_add_u32_e32 v2, v63, v2
	ds_write_b32 v69, v2 offset:32
.LBB224_61:
	s_or_b64 exec, exec, s[34:35]
	v_lshrrev_b32_e32 v2, s52, v36
	v_and_b32_e32 v4, s66, v2
	v_and_b32_e32 v3, 1, v4
	v_add_co_u32_e64 v5, s[34:35], -1, v3
	v_addc_co_u32_e64 v70, s[34:35], 0, -1, s[34:35]
	v_cmp_ne_u32_e64 s[34:35], 0, v3
	v_lshl_add_u32 v2, v4, 3, v4
	v_xor_b32_e32 v3, s35, v70
	v_add_lshl_u32 v71, v21, v2, 2
	v_mov_b32_e32 v2, 0
	v_and_b32_e32 v70, exec_hi, v3
	v_lshlrev_b32_e32 v3, 30, v4
	v_xor_b32_e32 v5, s34, v5
	v_cmp_gt_i64_e64 s[34:35], 0, v[2:3]
	v_not_b32_e32 v3, v3
	v_ashrrev_i32_e32 v3, 31, v3
	v_and_b32_e32 v5, exec_lo, v5
	v_xor_b32_e32 v72, s35, v3
	v_xor_b32_e32 v3, s34, v3
	v_and_b32_e32 v5, v5, v3
	v_lshlrev_b32_e32 v3, 29, v4
	v_cmp_gt_i64_e64 s[34:35], 0, v[2:3]
	v_not_b32_e32 v3, v3
	v_ashrrev_i32_e32 v3, 31, v3
	v_and_b32_e32 v70, v70, v72
	v_xor_b32_e32 v72, s35, v3
	v_xor_b32_e32 v3, s34, v3
	v_and_b32_e32 v5, v5, v3
	v_lshlrev_b32_e32 v3, 28, v4
	v_cmp_gt_i64_e64 s[34:35], 0, v[2:3]
	v_not_b32_e32 v3, v3
	v_ashrrev_i32_e32 v3, 31, v3
	v_and_b32_e32 v70, v70, v72
	;; [unrolled: 8-line block ×5, first 2 shown]
	v_xor_b32_e32 v72, s35, v3
	v_xor_b32_e32 v3, s34, v3
	v_and_b32_e32 v70, v70, v72
	v_and_b32_e32 v72, v5, v3
	v_lshlrev_b32_e32 v3, 24, v4
	v_cmp_gt_i64_e64 s[34:35], 0, v[2:3]
	v_not_b32_e32 v3, v3
	v_ashrrev_i32_e32 v3, 31, v3
	v_xor_b32_e32 v4, s35, v3
	v_xor_b32_e32 v3, s34, v3
	; wave barrier
	ds_read_b32 v68, v71 offset:32
	v_and_b32_e32 v5, v70, v4
	v_and_b32_e32 v4, v72, v3
	v_mbcnt_lo_u32_b32 v3, v4, 0
	v_mbcnt_hi_u32_b32 v70, v5, v3
	v_cmp_eq_u32_e64 s[34:35], 0, v70
	v_cmp_ne_u64_e64 s[38:39], 0, v[4:5]
	s_and_b64 s[38:39], s[38:39], s[34:35]
	; wave barrier
	s_and_saveexec_b64 s[34:35], s[38:39]
	s_cbranch_execz .LBB224_63
; %bb.62:
	v_bcnt_u32_b32 v3, v4, 0
	v_bcnt_u32_b32 v3, v5, v3
	s_waitcnt lgkmcnt(0)
	v_add_u32_e32 v3, v68, v3
	ds_write_b32 v71, v3 offset:32
.LBB224_63:
	s_or_b64 exec, exec, s[34:35]
	v_lshrrev_b32_e32 v3, s52, v38
	v_and_b32_e32 v4, s66, v3
	v_lshl_add_u32 v3, v4, 3, v4
	v_add_lshl_u32 v74, v21, v3, 2
	v_and_b32_e32 v3, 1, v4
	v_add_co_u32_e64 v5, s[34:35], -1, v3
	v_addc_co_u32_e64 v72, s[34:35], 0, -1, s[34:35]
	v_cmp_ne_u32_e64 s[34:35], 0, v3
	v_xor_b32_e32 v3, s35, v72
	v_and_b32_e32 v72, exec_hi, v3
	v_lshlrev_b32_e32 v3, 30, v4
	v_xor_b32_e32 v5, s34, v5
	v_cmp_gt_i64_e64 s[34:35], 0, v[2:3]
	v_not_b32_e32 v3, v3
	v_ashrrev_i32_e32 v3, 31, v3
	v_and_b32_e32 v5, exec_lo, v5
	v_xor_b32_e32 v73, s35, v3
	v_xor_b32_e32 v3, s34, v3
	v_and_b32_e32 v5, v5, v3
	v_lshlrev_b32_e32 v3, 29, v4
	v_cmp_gt_i64_e64 s[34:35], 0, v[2:3]
	v_not_b32_e32 v3, v3
	v_ashrrev_i32_e32 v3, 31, v3
	v_and_b32_e32 v72, v72, v73
	v_xor_b32_e32 v73, s35, v3
	v_xor_b32_e32 v3, s34, v3
	v_and_b32_e32 v5, v5, v3
	v_lshlrev_b32_e32 v3, 28, v4
	v_cmp_gt_i64_e64 s[34:35], 0, v[2:3]
	v_not_b32_e32 v3, v3
	v_ashrrev_i32_e32 v3, 31, v3
	v_and_b32_e32 v72, v72, v73
	;; [unrolled: 8-line block ×5, first 2 shown]
	v_xor_b32_e32 v73, s35, v3
	v_xor_b32_e32 v3, s34, v3
	v_and_b32_e32 v5, v5, v3
	v_lshlrev_b32_e32 v3, 24, v4
	v_cmp_gt_i64_e64 s[34:35], 0, v[2:3]
	v_not_b32_e32 v2, v3
	v_ashrrev_i32_e32 v2, 31, v2
	v_xor_b32_e32 v3, s35, v2
	v_xor_b32_e32 v2, s34, v2
	; wave barrier
	ds_read_b32 v21, v74 offset:32
	v_and_b32_e32 v72, v72, v73
	v_and_b32_e32 v2, v5, v2
	;; [unrolled: 1-line block ×3, first 2 shown]
	v_mbcnt_lo_u32_b32 v4, v2, 0
	v_mbcnt_hi_u32_b32 v73, v3, v4
	v_cmp_eq_u32_e64 s[34:35], 0, v73
	v_cmp_ne_u64_e64 s[38:39], 0, v[2:3]
	v_add_u32_e32 v75, 32, v7
	s_and_b64 s[38:39], s[38:39], s[34:35]
	; wave barrier
	s_and_saveexec_b64 s[34:35], s[38:39]
	s_cbranch_execz .LBB224_65
; %bb.64:
	v_bcnt_u32_b32 v2, v2, 0
	v_bcnt_u32_b32 v2, v3, v2
	s_waitcnt lgkmcnt(0)
	v_add_u32_e32 v2, v21, v2
	ds_write_b32 v74, v2 offset:32
.LBB224_65:
	s_or_b64 exec, exec, s[34:35]
	; wave barrier
	s_waitcnt lgkmcnt(0)
	s_barrier
	ds_read2_b32 v[4:5], v7 offset0:8 offset1:9
	ds_read2_b32 v[2:3], v75 offset0:2 offset1:3
	ds_read_b32 v72, v75 offset:16
	s_waitcnt lgkmcnt(1)
	v_add3_u32 v76, v5, v4, v2
	s_waitcnt lgkmcnt(0)
	v_add3_u32 v72, v76, v3, v72
	v_and_b32_e32 v76, 15, v6
	v_cmp_ne_u32_e64 s[34:35], 0, v76
	v_mov_b32_dpp v77, v72 row_shr:1 row_mask:0xf bank_mask:0xf
	v_cndmask_b32_e64 v77, 0, v77, s[34:35]
	v_add_u32_e32 v72, v77, v72
	v_cmp_lt_u32_e64 s[34:35], 1, v76
	s_nop 0
	v_mov_b32_dpp v77, v72 row_shr:2 row_mask:0xf bank_mask:0xf
	v_cndmask_b32_e64 v77, 0, v77, s[34:35]
	v_add_u32_e32 v72, v72, v77
	v_cmp_lt_u32_e64 s[34:35], 3, v76
	s_nop 0
	;; [unrolled: 5-line block ×3, first 2 shown]
	v_mov_b32_dpp v77, v72 row_shr:8 row_mask:0xf bank_mask:0xf
	v_cndmask_b32_e64 v76, 0, v77, s[34:35]
	v_add_u32_e32 v72, v72, v76
	v_bfe_i32 v77, v6, 4, 1
	v_cmp_lt_u32_e64 s[34:35], 31, v6
	v_mov_b32_dpp v76, v72 row_bcast:15 row_mask:0xf bank_mask:0xf
	v_and_b32_e32 v76, v77, v76
	v_add_u32_e32 v72, v72, v76
	v_lshrrev_b32_e32 v77, 6, v18
	s_nop 0
	v_mov_b32_dpp v76, v72 row_bcast:31 row_mask:0xf bank_mask:0xf
	v_cndmask_b32_e64 v76, 0, v76, s[34:35]
	v_add_u32_e32 v76, v72, v76
	v_and_b32_e32 v72, 0x3c0, v18
	v_min_u32_e32 v72, 0x1c0, v72
	v_or_b32_e32 v72, 63, v72
	v_cmp_eq_u32_e64 s[34:35], v72, v18
	s_and_saveexec_b64 s[38:39], s[34:35]
	s_cbranch_execz .LBB224_67
; %bb.66:
	v_lshlrev_b32_e32 v72, 2, v77
	ds_write_b32 v72, v76
.LBB224_67:
	s_or_b64 exec, exec, s[38:39]
	v_cmp_gt_u32_e64 s[34:35], 8, v18
	v_lshlrev_b32_e32 v72, 2, v18
	s_waitcnt lgkmcnt(0)
	s_barrier
	s_and_saveexec_b64 s[58:59], s[34:35]
	s_cbranch_execz .LBB224_69
; %bb.68:
	ds_read_b32 v78, v72
	v_and_b32_e32 v79, 7, v6
	v_cmp_ne_u32_e64 s[34:35], 0, v79
	v_cmp_lt_u32_e64 s[38:39], 1, v79
	s_waitcnt lgkmcnt(0)
	v_mov_b32_dpp v80, v78 row_shr:1 row_mask:0xf bank_mask:0xf
	v_cndmask_b32_e64 v80, 0, v80, s[34:35]
	v_add_u32_e32 v78, v80, v78
	v_cmp_lt_u32_e64 s[34:35], 3, v79
	s_nop 0
	v_mov_b32_dpp v80, v78 row_shr:2 row_mask:0xf bank_mask:0xf
	v_cndmask_b32_e64 v80, 0, v80, s[38:39]
	v_add_u32_e32 v78, v78, v80
	s_nop 1
	v_mov_b32_dpp v80, v78 row_shr:4 row_mask:0xf bank_mask:0xf
	v_cndmask_b32_e64 v79, 0, v80, s[34:35]
	v_add_u32_e32 v78, v78, v79
	ds_write_b32 v72, v78
.LBB224_69:
	s_or_b64 exec, exec, s[58:59]
	v_cmp_lt_u32_e64 s[34:35], 63, v18
	v_mov_b32_e32 v78, 0
	s_waitcnt lgkmcnt(0)
	s_barrier
	s_and_saveexec_b64 s[38:39], s[34:35]
	s_cbranch_execz .LBB224_71
; %bb.70:
	v_lshl_add_u32 v77, v77, 2, -4
	ds_read_b32 v78, v77
.LBB224_71:
	s_or_b64 exec, exec, s[38:39]
	v_add_u32_e32 v77, -1, v6
	v_and_b32_e32 v79, 64, v6
	v_cmp_lt_i32_e64 s[34:35], v77, v79
	v_cndmask_b32_e64 v77, v77, v6, s[34:35]
	s_waitcnt lgkmcnt(0)
	v_add_u32_e32 v76, v78, v76
	v_lshlrev_b32_e32 v77, 2, v77
	ds_bpermute_b32 v76, v77, v76
	v_cmp_eq_u32_e64 s[34:35], 0, v6
	s_waitcnt lgkmcnt(0)
	v_cndmask_b32_e64 v6, v76, v78, s[34:35]
	v_cmp_ne_u32_e64 s[34:35], 0, v18
	v_cndmask_b32_e64 v6, 0, v6, s[34:35]
	v_add_u32_e32 v4, v6, v4
	v_add_u32_e32 v5, v4, v5
	;; [unrolled: 1-line block ×4, first 2 shown]
	ds_write2_b32 v7, v6, v4 offset0:8 offset1:9
	ds_write2_b32 v75, v5, v2 offset0:2 offset1:3
	ds_write_b32 v75, v3 offset:16
	s_waitcnt lgkmcnt(0)
	s_barrier
	ds_read_b32 v76, v12 offset:32
	ds_read_b32 v12, v13 offset:32
	;; [unrolled: 1-line block ×16, first 2 shown]
	s_movk_i32 s34, 0x100
	v_cmp_gt_u32_e64 s[34:35], s34, v18
                                        ; implicit-def: $vgpr54
                                        ; implicit-def: $vgpr57
	s_and_saveexec_b64 s[58:59], s[34:35]
	s_cbranch_execz .LBB224_75
; %bb.72:
	v_mul_u32_u24_e32 v2, 9, v18
	v_lshlrev_b32_e32 v3, 2, v2
	ds_read_b32 v54, v3 offset:32
	s_movk_i32 s38, 0xff
	v_cmp_ne_u32_e64 s[38:39], s38, v18
	v_mov_b32_e32 v2, 0x2000
	s_and_saveexec_b64 s[60:61], s[38:39]
	s_cbranch_execz .LBB224_74
; %bb.73:
	ds_read_b32 v2, v3 offset:68
.LBB224_74:
	s_or_b64 exec, exec, s[60:61]
	s_waitcnt lgkmcnt(0)
	v_sub_u32_e32 v57, v2, v54
.LBB224_75:
	s_or_b64 exec, exec, s[58:59]
	s_waitcnt lgkmcnt(0)
	s_barrier
	s_and_saveexec_b64 s[58:59], s[34:35]
	s_cbranch_execz .LBB224_85
; %bb.76:
	v_lshl_or_b32 v2, s6, 8, v18
	v_mov_b32_e32 v3, 0
	v_lshlrev_b64 v[4:5], 2, v[2:3]
	v_mov_b32_e32 v39, s57
	v_add_co_u32_e64 v4, s[38:39], s56, v4
	v_addc_co_u32_e64 v5, s[38:39], v39, v5, s[38:39]
	v_or_b32_e32 v2, 2.0, v57
	s_mov_b64 s[60:61], 0
	s_brev_b32 s67, 1
	s_mov_b32 s68, s6
	v_mov_b32_e32 v60, 0
	global_store_dword v[4:5], v2, off
                                        ; implicit-def: $sgpr38_sgpr39
	s_branch .LBB224_78
.LBB224_77:                             ;   in Loop: Header=BB224_78 Depth=1
	s_or_b64 exec, exec, s[62:63]
	v_and_b32_e32 v6, 0x3fffffff, v71
	v_add_u32_e32 v60, v6, v60
	v_cmp_eq_u32_e64 s[38:39], s67, v2
	s_and_b64 s[62:63], exec, s[38:39]
	s_or_b64 s[60:61], s[62:63], s[60:61]
	s_andn2_b64 exec, exec, s[60:61]
	s_cbranch_execz .LBB224_84
.LBB224_78:                             ; =>This Loop Header: Depth=1
                                        ;     Child Loop BB224_81 Depth 2
	s_or_b64 s[38:39], s[38:39], exec
	s_cmp_eq_u32 s68, 0
	s_cbranch_scc1 .LBB224_83
; %bb.79:                               ;   in Loop: Header=BB224_78 Depth=1
	s_add_i32 s68, s68, -1
	v_lshl_or_b32 v2, s68, 8, v18
	v_lshlrev_b64 v[6:7], 2, v[2:3]
	v_add_co_u32_e64 v6, s[38:39], s56, v6
	v_addc_co_u32_e64 v7, s[38:39], v39, v7, s[38:39]
	global_load_dword v71, v[6:7], off glc
	s_waitcnt vmcnt(0)
	v_and_b32_e32 v2, -2.0, v71
	v_cmp_eq_u32_e64 s[38:39], 0, v2
	s_and_saveexec_b64 s[62:63], s[38:39]
	s_cbranch_execz .LBB224_77
; %bb.80:                               ;   in Loop: Header=BB224_78 Depth=1
	s_mov_b64 s[64:65], 0
.LBB224_81:                             ;   Parent Loop BB224_78 Depth=1
                                        ; =>  This Inner Loop Header: Depth=2
	global_load_dword v71, v[6:7], off glc
	s_waitcnt vmcnt(0)
	v_and_b32_e32 v2, -2.0, v71
	v_cmp_ne_u32_e64 s[38:39], 0, v2
	s_or_b64 s[64:65], s[38:39], s[64:65]
	s_andn2_b64 exec, exec, s[64:65]
	s_cbranch_execnz .LBB224_81
; %bb.82:                               ;   in Loop: Header=BB224_78 Depth=1
	s_or_b64 exec, exec, s[64:65]
	s_branch .LBB224_77
.LBB224_83:                             ;   in Loop: Header=BB224_78 Depth=1
                                        ; implicit-def: $sgpr68
	s_and_b64 s[62:63], exec, s[38:39]
	s_or_b64 s[60:61], s[62:63], s[60:61]
	s_andn2_b64 exec, exec, s[60:61]
	s_cbranch_execnz .LBB224_78
.LBB224_84:
	s_or_b64 exec, exec, s[60:61]
	v_add_u32_e32 v2, v60, v57
	v_or_b32_e32 v2, 0x80000000, v2
	global_store_dword v[4:5], v2, off
	global_load_dword v2, v72, s[48:49]
	v_sub_u32_e32 v3, v60, v54
	s_waitcnt vmcnt(0)
	v_add_u32_e32 v2, v3, v2
	ds_write_b32 v72, v2
.LBB224_85:
	s_or_b64 exec, exec, s[58:59]
	v_add_u32_e32 v60, v76, v8
	s_movk_i32 s60, 0x400
	v_add_u32_e32 v39, 0x400, v72
	v_add3_u32 v61, v73, v61, v21
	v_add3_u32 v62, v70, v62, v68
	;; [unrolled: 1-line block ×15, first 2 shown]
	s_mov_b32 s61, 0
	v_mov_b32_e32 v21, 0
	s_movk_i32 s62, 0x200
	s_movk_i32 s63, 0x600
	s_mov_b32 s64, 0
	s_mov_b32 s65, 0
                                        ; implicit-def: $vgpr2_vgpr3_vgpr4_vgpr5_vgpr6_vgpr7_vgpr8_vgpr9_vgpr10_vgpr11_vgpr12_vgpr13_vgpr14_vgpr15_vgpr16_vgpr17
	s_branch .LBB224_87
.LBB224_86:                             ;   in Loop: Header=BB224_87 Depth=1
	s_or_b64 exec, exec, s[58:59]
	s_addk_i32 s65, 0x800
	s_addk_i32 s64, 0xf800
	s_add_i32 s61, s61, 4
	s_cmpk_eq_i32 s64, 0xe000
	s_barrier
	s_cbranch_scc1 .LBB224_96
.LBB224_87:                             ; =>This Inner Loop Header: Depth=1
	v_add_u32_e32 v20, s64, v60
	v_min_u32_e32 v20, 0x800, v20
	v_lshlrev_b32_e32 v20, 2, v20
	ds_write_b32 v20, v24 offset:1024
	v_add_u32_e32 v20, s64, v71
	v_min_u32_e32 v20, 0x800, v20
	v_lshlrev_b32_e32 v20, 2, v20
	ds_write_b32 v20, v25 offset:1024
	;; [unrolled: 4-line block ×15, first 2 shown]
	v_add_u32_e32 v20, s64, v61
	v_min_u32_e32 v20, 0x800, v20
	v_add_u32_e32 v40, s65, v18
	v_lshlrev_b32_e32 v20, 2, v20
	v_cmp_gt_u32_e64 s[38:39], s7, v40
	ds_write_b32 v20, v38 offset:1024
	s_waitcnt lgkmcnt(0)
	s_barrier
	s_and_saveexec_b64 s[58:59], s[38:39]
	s_cbranch_execz .LBB224_89
; %bb.88:                               ;   in Loop: Header=BB224_87 Depth=1
	ds_read_b32 v41, v72 offset:1024
	v_mov_b32_e32 v45, s43
	s_waitcnt lgkmcnt(0)
	v_lshrrev_b32_e32 v20, s52, v41
	v_and_b32_e32 v44, s66, v20
	v_lshlrev_b32_e32 v20, 2, v44
	ds_read_b32 v20, v20
	s_waitcnt lgkmcnt(0)
	v_add_u32_e32 v20, v40, v20
	v_lshlrev_b64 v[42:43], 2, v[20:21]
	v_add_co_u32_e64 v42, s[38:39], s42, v42
	v_addc_co_u32_e64 v43, s[38:39], v45, v43, s[38:39]
	global_store_dword v[42:43], v41, off
	s_set_gpr_idx_on s61, gpr_idx(DST)
	v_mov_b32_e32 v2, v44
	s_set_gpr_idx_off
.LBB224_89:                             ;   in Loop: Header=BB224_87 Depth=1
	s_or_b64 exec, exec, s[58:59]
	v_add_u32_e32 v20, 0x200, v40
	v_cmp_gt_u32_e64 s[38:39], s7, v20
	s_and_saveexec_b64 s[58:59], s[38:39]
	s_cbranch_execz .LBB224_91
; %bb.90:                               ;   in Loop: Header=BB224_87 Depth=1
	ds_read_b32 v41, v39 offset:2048
	v_mov_b32_e32 v45, s43
	s_add_i32 s67, s61, 1
	s_waitcnt lgkmcnt(0)
	v_lshrrev_b32_e32 v20, s52, v41
	v_and_b32_e32 v44, s66, v20
	v_lshlrev_b32_e32 v20, 2, v44
	ds_read_b32 v20, v20
	s_waitcnt lgkmcnt(0)
	v_add3_u32 v20, v40, v20, s62
	v_lshlrev_b64 v[42:43], 2, v[20:21]
	v_add_co_u32_e64 v42, s[38:39], s42, v42
	v_addc_co_u32_e64 v43, s[38:39], v45, v43, s[38:39]
	global_store_dword v[42:43], v41, off
	s_set_gpr_idx_on s67, gpr_idx(DST)
	v_mov_b32_e32 v2, v44
	s_set_gpr_idx_off
.LBB224_91:                             ;   in Loop: Header=BB224_87 Depth=1
	s_or_b64 exec, exec, s[58:59]
	v_add_u32_e32 v20, 0x400, v40
	v_cmp_gt_u32_e64 s[38:39], s7, v20
	s_and_saveexec_b64 s[58:59], s[38:39]
	s_cbranch_execz .LBB224_93
; %bb.92:                               ;   in Loop: Header=BB224_87 Depth=1
	ds_read_b32 v41, v39 offset:4096
	v_mov_b32_e32 v45, s43
	s_add_i32 s67, s61, 2
	s_waitcnt lgkmcnt(0)
	v_lshrrev_b32_e32 v20, s52, v41
	v_and_b32_e32 v44, s66, v20
	v_lshlrev_b32_e32 v20, 2, v44
	ds_read_b32 v20, v20
	s_waitcnt lgkmcnt(0)
	v_add3_u32 v20, v40, v20, s60
	v_lshlrev_b64 v[42:43], 2, v[20:21]
	v_add_co_u32_e64 v42, s[38:39], s42, v42
	v_addc_co_u32_e64 v43, s[38:39], v45, v43, s[38:39]
	global_store_dword v[42:43], v41, off
	s_set_gpr_idx_on s67, gpr_idx(DST)
	v_mov_b32_e32 v2, v44
	s_set_gpr_idx_off
.LBB224_93:                             ;   in Loop: Header=BB224_87 Depth=1
	s_or_b64 exec, exec, s[58:59]
	v_add_u32_e32 v20, 0x600, v40
	v_cmp_gt_u32_e64 s[38:39], s7, v20
	s_and_saveexec_b64 s[58:59], s[38:39]
	s_cbranch_execz .LBB224_86
; %bb.94:                               ;   in Loop: Header=BB224_87 Depth=1
	ds_read_b32 v42, v39 offset:6144
	v_mov_b32_e32 v44, s43
	s_add_i32 s67, s61, 3
	s_waitcnt lgkmcnt(0)
	v_lshrrev_b32_e32 v20, s52, v42
	v_and_b32_e32 v43, s66, v20
	v_lshlrev_b32_e32 v20, 2, v43
	ds_read_b32 v20, v20
	s_waitcnt lgkmcnt(0)
	v_add3_u32 v20, v40, v20, s63
	v_lshlrev_b64 v[40:41], 2, v[20:21]
	v_add_co_u32_e64 v40, s[38:39], s42, v40
	v_addc_co_u32_e64 v41, s[38:39], v44, v41, s[38:39]
	global_store_dword v[40:41], v42, off
	s_set_gpr_idx_on s67, gpr_idx(DST)
	v_mov_b32_e32 v2, v43
	s_set_gpr_idx_off
	s_branch .LBB224_86
.LBB224_95:
	s_mov_b64 s[2:3], 0
                                        ; implicit-def: $vgpr2
                                        ; implicit-def: $vgpr18
	s_cbranch_execnz .LBB224_137
	s_branch .LBB224_196
.LBB224_96:
	s_lshl_b64 s[38:39], s[54:55], 3
	s_add_u32 s38, s44, s38
	s_addc_u32 s39, s45, s39
	v_lshlrev_b32_e32 v20, 3, v22
	v_mov_b32_e32 v21, s39
	v_add_co_u32_e64 v20, s[38:39], s38, v20
	v_addc_co_u32_e64 v21, s[38:39], 0, v21, s[38:39]
	v_lshlrev_b32_e32 v19, 3, v19
	v_add_co_u32_e64 v40, s[38:39], v20, v19
	v_addc_co_u32_e64 v41, s[38:39], 0, v21, s[38:39]
	v_mov_b32_e32 v20, 0
	v_mov_b32_e32 v22, 0
	;; [unrolled: 1-line block ×3, first 2 shown]
	s_and_saveexec_b64 s[38:39], s[30:31]
	s_cbranch_execz .LBB224_98
; %bb.97:
	global_load_dwordx2 v[22:23], v[40:41], off
.LBB224_98:
	s_or_b64 exec, exec, s[38:39]
	v_mov_b32_e32 v21, 0
	s_and_saveexec_b64 s[30:31], s[28:29]
	s_cbranch_execz .LBB224_100
; %bb.99:
	global_load_dwordx2 v[20:21], v[40:41], off offset:512
.LBB224_100:
	s_or_b64 exec, exec, s[30:31]
	v_mov_b32_e32 v24, 0
	v_mov_b32_e32 v26, 0
	v_mov_b32_e32 v27, 0
	s_and_saveexec_b64 s[28:29], s[26:27]
	s_cbranch_execz .LBB224_102
; %bb.101:
	global_load_dwordx2 v[26:27], v[40:41], off offset:1024
.LBB224_102:
	s_or_b64 exec, exec, s[28:29]
	v_mov_b32_e32 v25, 0
	s_and_saveexec_b64 s[26:27], s[24:25]
	s_cbranch_execz .LBB224_104
; %bb.103:
	global_load_dwordx2 v[24:25], v[40:41], off offset:1536
.LBB224_104:
	s_or_b64 exec, exec, s[26:27]
	v_mov_b32_e32 v28, 0
	v_mov_b32_e32 v30, 0
	v_mov_b32_e32 v31, 0
	s_and_saveexec_b64 s[24:25], s[22:23]
	s_cbranch_execz .LBB224_106
; %bb.105:
	global_load_dwordx2 v[30:31], v[40:41], off offset:2048
.LBB224_106:
	;; [unrolled: 16-line block ×3, first 2 shown]
	s_or_b64 exec, exec, s[20:21]
	v_mov_b32_e32 v33, 0
	s_and_saveexec_b64 s[18:19], s[16:17]
	s_cbranch_execz .LBB224_112
; %bb.111:
	global_load_dwordx2 v[32:33], v[40:41], off offset:3584
.LBB224_112:
	s_or_b64 exec, exec, s[18:19]
	v_mov_b32_e32 v36, 0
	v_mov_b32_e32 v38, 0
	;; [unrolled: 1-line block ×3, first 2 shown]
	s_and_saveexec_b64 s[16:17], vcc
	s_cbranch_execz .LBB224_114
; %bb.113:
	v_add_co_u32_e32 v38, vcc, 0x1000, v40
	v_addc_co_u32_e32 v39, vcc, 0, v41, vcc
	global_load_dwordx2 v[38:39], v[38:39], off
.LBB224_114:
	s_or_b64 exec, exec, s[16:17]
	v_mov_b32_e32 v37, 0
	s_and_saveexec_b64 s[16:17], s[14:15]
	s_cbranch_execz .LBB224_116
; %bb.115:
	v_add_co_u32_e32 v36, vcc, 0x1000, v40
	v_addc_co_u32_e32 v37, vcc, 0, v41, vcc
	global_load_dwordx2 v[36:37], v[36:37], off offset:512
.LBB224_116:
	s_or_b64 exec, exec, s[16:17]
	v_mov_b32_e32 v42, 0
	v_mov_b32_e32 v44, 0
	v_mov_b32_e32 v45, 0
	s_and_saveexec_b64 s[14:15], s[12:13]
	s_cbranch_execz .LBB224_118
; %bb.117:
	v_add_co_u32_e32 v44, vcc, 0x1000, v40
	v_addc_co_u32_e32 v45, vcc, 0, v41, vcc
	global_load_dwordx2 v[44:45], v[44:45], off offset:1024
.LBB224_118:
	s_or_b64 exec, exec, s[14:15]
	v_mov_b32_e32 v43, 0
	s_and_saveexec_b64 s[12:13], s[10:11]
	s_cbranch_execz .LBB224_120
; %bb.119:
	v_add_co_u32_e32 v42, vcc, 0x1000, v40
	v_addc_co_u32_e32 v43, vcc, 0, v41, vcc
	global_load_dwordx2 v[42:43], v[42:43], off offset:1536
.LBB224_120:
	s_or_b64 exec, exec, s[12:13]
	v_mov_b32_e32 v46, 0
	v_mov_b32_e32 v48, 0
	v_mov_b32_e32 v49, 0
	s_and_saveexec_b64 s[10:11], s[8:9]
	s_cbranch_execz .LBB224_122
; %bb.121:
	v_add_co_u32_e32 v48, vcc, 0x1000, v40
	v_addc_co_u32_e32 v49, vcc, 0, v41, vcc
	global_load_dwordx2 v[48:49], v[48:49], off offset:2048
.LBB224_122:
	;; [unrolled: 20-line block ×3, first 2 shown]
	s_or_b64 exec, exec, s[8:9]
	s_mov_b32 s8, 0
	v_mov_b32_e32 v51, 0
	s_and_saveexec_b64 s[2:3], s[0:1]
	s_cbranch_execz .LBB224_128
; %bb.127:
	v_add_co_u32_e32 v40, vcc, 0x1000, v40
	v_addc_co_u32_e32 v41, vcc, 0, v41, vcc
	global_load_dwordx2 v[50:51], v[40:41], off offset:3584
.LBB224_128:
	s_or_b64 exec, exec, s[2:3]
	v_lshlrev_b32_e32 v19, 3, v18
	v_add_u32_e32 v72, 0x400, v19
	v_mov_b32_e32 v41, 0
	s_movk_i32 s2, 0x200
	s_mov_b32 s3, 0
	v_mov_b32_e32 v73, v18
	s_waitcnt vmcnt(0)
	s_branch .LBB224_130
.LBB224_129:                            ;   in Loop: Header=BB224_130 Depth=1
	s_or_b64 exec, exec, s[0:1]
	s_addk_i32 s3, 0xfc00
	s_add_i32 s8, s8, 2
	s_cmpk_eq_i32 s3, 0xe000
	v_add_u32_e32 v73, 0x400, v73
	s_barrier
	s_cbranch_scc1 .LBB224_134
.LBB224_130:                            ; =>This Inner Loop Header: Depth=1
	v_add_u32_e32 v40, s3, v60
	v_min_u32_e32 v40, 0x400, v40
	v_lshlrev_b32_e32 v40, 3, v40
	ds_write_b64 v40, v[22:23] offset:1024
	v_add_u32_e32 v40, s3, v71
	v_min_u32_e32 v40, 0x400, v40
	v_lshlrev_b32_e32 v40, 3, v40
	ds_write_b64 v40, v[20:21] offset:1024
	;; [unrolled: 4-line block ×15, first 2 shown]
	v_add_u32_e32 v40, s3, v61
	v_min_u32_e32 v40, 0x400, v40
	v_lshlrev_b32_e32 v40, 3, v40
	v_cmp_gt_u32_e32 vcc, s7, v73
	ds_write_b64 v40, v[50:51] offset:1024
	s_waitcnt lgkmcnt(0)
	s_barrier
	s_and_saveexec_b64 s[0:1], vcc
	s_cbranch_execz .LBB224_132
; %bb.131:                              ;   in Loop: Header=BB224_130 Depth=1
	s_set_gpr_idx_on s8, gpr_idx(SRC0)
	v_mov_b32_e32 v40, v2
	s_set_gpr_idx_off
	v_lshlrev_b32_e32 v40, 2, v40
	ds_read_b32 v40, v40
	ds_read_b64 v[74:75], v19 offset:1024
	v_mov_b32_e32 v78, s47
	s_waitcnt lgkmcnt(1)
	v_add_u32_e32 v40, v73, v40
	v_lshlrev_b64 v[76:77], 3, v[40:41]
	v_add_co_u32_e32 v76, vcc, s46, v76
	v_addc_co_u32_e32 v77, vcc, v78, v77, vcc
	s_waitcnt lgkmcnt(0)
	global_store_dwordx2 v[76:77], v[74:75], off
.LBB224_132:                            ;   in Loop: Header=BB224_130 Depth=1
	s_or_b64 exec, exec, s[0:1]
	v_add_u32_e32 v40, 0x200, v73
	v_cmp_gt_u32_e32 vcc, s7, v40
	s_and_saveexec_b64 s[0:1], vcc
	s_cbranch_execz .LBB224_129
; %bb.133:                              ;   in Loop: Header=BB224_130 Depth=1
	s_add_i32 s9, s8, 1
	s_set_gpr_idx_on s9, gpr_idx(SRC0)
	v_mov_b32_e32 v40, v2
	s_set_gpr_idx_off
	v_lshlrev_b32_e32 v40, 2, v40
	ds_read_b32 v40, v40
	ds_read_b64 v[74:75], v72 offset:4096
	v_mov_b32_e32 v78, s47
	s_waitcnt lgkmcnt(1)
	v_add3_u32 v40, v73, v40, s2
	v_lshlrev_b64 v[76:77], 3, v[40:41]
	v_add_co_u32_e32 v76, vcc, s46, v76
	v_addc_co_u32_e32 v77, vcc, v78, v77, vcc
	s_waitcnt lgkmcnt(0)
	global_store_dwordx2 v[76:77], v[74:75], off
	s_branch .LBB224_129
.LBB224_134:
	s_add_i32 s33, s33, -1
	s_cmp_eq_u32 s33, s6
	s_cselect_b64 s[0:1], -1, 0
	s_and_b64 s[8:9], s[34:35], s[0:1]
	s_mov_b64 s[0:1], 0
	s_mov_b64 s[2:3], 0
                                        ; implicit-def: $vgpr2
	s_and_saveexec_b64 s[10:11], s[8:9]
	s_xor_b64 s[8:9], exec, s[10:11]
; %bb.135:
	s_mov_b64 s[2:3], exec
	v_add_u32_e32 v2, v54, v57
; %bb.136:
	s_or_b64 exec, exec, s[8:9]
	s_and_b64 vcc, exec, s[0:1]
	s_cbranch_vccz .LBB224_196
.LBB224_137:
	v_and_b32_e32 v18, 0x3ff, v0
	s_lshl_b32 s8, s6, 13
	s_mov_b32 s9, 0
	v_mbcnt_hi_u32_b32 v4, -1, v1
	s_lshl_b64 s[0:1], s[8:9], 2
	v_and_b32_e32 v20, 63, v4
	v_lshlrev_b32_e32 v1, 4, v18
	s_add_u32 s0, s40, s0
	v_and_b32_e32 v19, 0x1c00, v1
	v_lshlrev_b32_e32 v1, 2, v20
	v_add_co_u32_e32 v1, vcc, s0, v1
	s_load_dword s7, s[4:5], 0x58
	s_load_dword s0, s[4:5], 0x64
	s_addc_u32 s1, s41, s1
	v_mov_b32_e32 v3, s1
	s_add_u32 s1, s4, 0x58
	v_addc_co_u32_e32 v3, vcc, 0, v3, vcc
	v_lshlrev_b32_e32 v5, 2, v19
	s_addc_u32 s4, s5, 0
	s_waitcnt lgkmcnt(0)
	s_lshr_b32 s5, s0, 16
	v_add_co_u32_e32 v6, vcc, v1, v5
	s_cmp_lt_u32 s6, s7
	v_addc_co_u32_e32 v7, vcc, 0, v3, vcc
	s_cselect_b32 s0, 12, 18
	global_load_dword v21, v[6:7], off
	s_add_u32 s0, s1, s0
	v_mov_b32_e32 v2, 0
	s_addc_u32 s1, s4, 0
	global_load_ushort v1, v2, s[0:1]
	v_mul_u32_u24_e32 v5, 5, v18
	v_lshlrev_b32_e32 v5, 2, v5
	ds_write2_b32 v5, v2, v2 offset0:8 offset1:9
	ds_write2_b32 v5, v2, v2 offset0:10 offset1:11
	ds_write_b32 v5, v2 offset:48
	global_load_dword v22, v[6:7], off offset:256
	global_load_dword v23, v[6:7], off offset:512
	;; [unrolled: 1-line block ×15, first 2 shown]
	v_bfe_u32 v3, v0, 10, 10
	v_bfe_u32 v0, v0, 20, 10
	s_lshl_b32 s0, -1, s53
	v_mad_u32_u24 v0, v0, s5, v3
	s_not_b32 s16, s0
	s_waitcnt lgkmcnt(0)
	s_barrier
	s_waitcnt lgkmcnt(0)
	; wave barrier
	s_waitcnt vmcnt(16)
	v_lshrrev_b32_e32 v3, s52, v21
	v_and_b32_e32 v6, s16, v3
	v_and_b32_e32 v8, 1, v6
	v_lshlrev_b32_e32 v3, 30, v6
	s_waitcnt vmcnt(15)
	v_mad_u64_u32 v[0:1], s[0:1], v0, v1, v[18:19]
	v_add_co_u32_e32 v1, vcc, -1, v8
	v_addc_co_u32_e64 v9, s[0:1], 0, -1, vcc
	v_cmp_ne_u32_e32 vcc, 0, v8
	v_cmp_gt_i64_e64 s[0:1], 0, v[2:3]
	v_not_b32_e32 v8, v3
	v_lshlrev_b32_e32 v3, 29, v6
	v_lshl_add_u32 v7, v6, 3, v6
	v_lshrrev_b32_e32 v16, 6, v0
	v_xor_b32_e32 v0, vcc_hi, v9
	v_xor_b32_e32 v1, vcc_lo, v1
	v_ashrrev_i32_e32 v8, 31, v8
	v_not_b32_e32 v10, v3
	v_cmp_gt_i64_e32 vcc, 0, v[2:3]
	v_lshlrev_b32_e32 v3, 28, v6
	v_add_lshl_u32 v9, v16, v7, 2
	v_and_b32_e32 v0, exec_hi, v0
	v_and_b32_e32 v1, exec_lo, v1
	v_xor_b32_e32 v7, s1, v8
	v_xor_b32_e32 v8, s0, v8
	v_ashrrev_i32_e32 v10, 31, v10
	v_and_b32_e32 v0, v0, v7
	v_and_b32_e32 v1, v1, v8
	v_xor_b32_e32 v7, vcc_hi, v10
	v_xor_b32_e32 v8, vcc_lo, v10
	v_cmp_gt_i64_e32 vcc, 0, v[2:3]
	v_not_b32_e32 v3, v3
	v_ashrrev_i32_e32 v3, 31, v3
	v_and_b32_e32 v0, v0, v7
	v_and_b32_e32 v1, v1, v8
	v_xor_b32_e32 v7, vcc_hi, v3
	v_xor_b32_e32 v3, vcc_lo, v3
	v_and_b32_e32 v1, v1, v3
	v_lshlrev_b32_e32 v3, 27, v6
	v_cmp_gt_i64_e32 vcc, 0, v[2:3]
	v_not_b32_e32 v3, v3
	v_ashrrev_i32_e32 v3, 31, v3
	v_and_b32_e32 v0, v0, v7
	v_xor_b32_e32 v7, vcc_hi, v3
	v_xor_b32_e32 v3, vcc_lo, v3
	v_and_b32_e32 v1, v1, v3
	v_lshlrev_b32_e32 v3, 26, v6
	v_cmp_gt_i64_e32 vcc, 0, v[2:3]
	v_not_b32_e32 v3, v3
	v_ashrrev_i32_e32 v3, 31, v3
	;; [unrolled: 8-line block ×3, first 2 shown]
	v_and_b32_e32 v0, v0, v7
	v_xor_b32_e32 v7, vcc_hi, v3
	v_xor_b32_e32 v3, vcc_lo, v3
	v_and_b32_e32 v0, v0, v7
	v_and_b32_e32 v7, v1, v3
	v_lshlrev_b32_e32 v3, 24, v6
	v_not_b32_e32 v1, v3
	v_cmp_gt_i64_e32 vcc, 0, v[2:3]
	v_ashrrev_i32_e32 v1, 31, v1
	v_xor_b32_e32 v3, vcc_hi, v1
	v_xor_b32_e32 v6, vcc_lo, v1
	v_and_b32_e32 v1, v0, v3
	v_and_b32_e32 v0, v7, v6
	v_mbcnt_lo_u32_b32 v3, v0, 0
	v_mbcnt_hi_u32_b32 v6, v1, v3
	v_cmp_eq_u32_e32 vcc, 0, v6
	v_cmp_ne_u64_e64 s[0:1], 0, v[0:1]
	s_and_b64 s[4:5], s[0:1], vcc
	s_and_saveexec_b64 s[0:1], s[4:5]
	s_cbranch_execz .LBB224_139
; %bb.138:
	v_bcnt_u32_b32 v0, v0, 0
	v_bcnt_u32_b32 v0, v1, v0
	ds_write_b32 v9, v0 offset:32
.LBB224_139:
	s_or_b64 exec, exec, s[0:1]
	s_waitcnt vmcnt(14)
	v_lshrrev_b32_e32 v0, s52, v22
	v_and_b32_e32 v0, s16, v0
	v_lshl_add_u32 v1, v0, 3, v0
	v_add_lshl_u32 v11, v16, v1, 2
	v_and_b32_e32 v1, 1, v0
	v_add_co_u32_e32 v3, vcc, -1, v1
	v_addc_co_u32_e64 v8, s[0:1], 0, -1, vcc
	v_cmp_ne_u32_e32 vcc, 0, v1
	v_xor_b32_e32 v3, vcc_lo, v3
	v_xor_b32_e32 v1, vcc_hi, v8
	v_and_b32_e32 v8, exec_lo, v3
	v_lshlrev_b32_e32 v3, 30, v0
	v_cmp_gt_i64_e32 vcc, 0, v[2:3]
	v_not_b32_e32 v3, v3
	v_ashrrev_i32_e32 v3, 31, v3
	v_xor_b32_e32 v10, vcc_hi, v3
	v_xor_b32_e32 v3, vcc_lo, v3
	v_and_b32_e32 v8, v8, v3
	v_lshlrev_b32_e32 v3, 29, v0
	v_cmp_gt_i64_e32 vcc, 0, v[2:3]
	v_not_b32_e32 v3, v3
	v_and_b32_e32 v1, exec_hi, v1
	v_ashrrev_i32_e32 v3, 31, v3
	v_and_b32_e32 v1, v1, v10
	v_xor_b32_e32 v10, vcc_hi, v3
	v_xor_b32_e32 v3, vcc_lo, v3
	v_and_b32_e32 v8, v8, v3
	v_lshlrev_b32_e32 v3, 28, v0
	v_cmp_gt_i64_e32 vcc, 0, v[2:3]
	v_not_b32_e32 v3, v3
	v_ashrrev_i32_e32 v3, 31, v3
	v_and_b32_e32 v1, v1, v10
	v_xor_b32_e32 v10, vcc_hi, v3
	v_xor_b32_e32 v3, vcc_lo, v3
	v_and_b32_e32 v8, v8, v3
	v_lshlrev_b32_e32 v3, 27, v0
	v_cmp_gt_i64_e32 vcc, 0, v[2:3]
	v_not_b32_e32 v3, v3
	;; [unrolled: 8-line block ×4, first 2 shown]
	v_ashrrev_i32_e32 v3, 31, v3
	v_and_b32_e32 v1, v1, v10
	v_xor_b32_e32 v10, vcc_hi, v3
	v_xor_b32_e32 v3, vcc_lo, v3
	v_and_b32_e32 v8, v8, v3
	v_lshlrev_b32_e32 v3, 24, v0
	v_not_b32_e32 v0, v3
	v_cmp_gt_i64_e32 vcc, 0, v[2:3]
	v_ashrrev_i32_e32 v0, 31, v0
	v_xor_b32_e32 v2, vcc_hi, v0
	v_xor_b32_e32 v0, vcc_lo, v0
	; wave barrier
	ds_read_b32 v7, v11 offset:32
	v_and_b32_e32 v1, v1, v10
	v_and_b32_e32 v0, v8, v0
	;; [unrolled: 1-line block ×3, first 2 shown]
	v_mbcnt_lo_u32_b32 v2, v0, 0
	v_mbcnt_hi_u32_b32 v8, v1, v2
	v_cmp_eq_u32_e32 vcc, 0, v8
	v_cmp_ne_u64_e64 s[0:1], 0, v[0:1]
	s_and_b64 s[4:5], s[0:1], vcc
	; wave barrier
	s_and_saveexec_b64 s[0:1], s[4:5]
	s_cbranch_execz .LBB224_141
; %bb.140:
	v_bcnt_u32_b32 v0, v0, 0
	v_bcnt_u32_b32 v0, v1, v0
	s_waitcnt lgkmcnt(0)
	v_add_u32_e32 v0, v7, v0
	ds_write_b32 v11, v0 offset:32
.LBB224_141:
	s_or_b64 exec, exec, s[0:1]
	s_waitcnt vmcnt(13)
	v_lshrrev_b32_e32 v0, s52, v23
	v_and_b32_e32 v2, s16, v0
	v_and_b32_e32 v1, 1, v2
	v_add_co_u32_e32 v3, vcc, -1, v1
	v_addc_co_u32_e64 v12, s[0:1], 0, -1, vcc
	v_cmp_ne_u32_e32 vcc, 0, v1
	v_lshl_add_u32 v0, v2, 3, v2
	v_xor_b32_e32 v1, vcc_hi, v12
	v_add_lshl_u32 v14, v16, v0, 2
	v_mov_b32_e32 v0, 0
	v_and_b32_e32 v12, exec_hi, v1
	v_lshlrev_b32_e32 v1, 30, v2
	v_xor_b32_e32 v3, vcc_lo, v3
	v_cmp_gt_i64_e32 vcc, 0, v[0:1]
	v_not_b32_e32 v1, v1
	v_ashrrev_i32_e32 v1, 31, v1
	v_and_b32_e32 v3, exec_lo, v3
	v_xor_b32_e32 v13, vcc_hi, v1
	v_xor_b32_e32 v1, vcc_lo, v1
	v_and_b32_e32 v3, v3, v1
	v_lshlrev_b32_e32 v1, 29, v2
	v_cmp_gt_i64_e32 vcc, 0, v[0:1]
	v_not_b32_e32 v1, v1
	v_ashrrev_i32_e32 v1, 31, v1
	v_and_b32_e32 v12, v12, v13
	v_xor_b32_e32 v13, vcc_hi, v1
	v_xor_b32_e32 v1, vcc_lo, v1
	v_and_b32_e32 v3, v3, v1
	v_lshlrev_b32_e32 v1, 28, v2
	v_cmp_gt_i64_e32 vcc, 0, v[0:1]
	v_not_b32_e32 v1, v1
	v_ashrrev_i32_e32 v1, 31, v1
	v_and_b32_e32 v12, v12, v13
	;; [unrolled: 8-line block ×5, first 2 shown]
	v_xor_b32_e32 v13, vcc_hi, v1
	v_xor_b32_e32 v1, vcc_lo, v1
	v_and_b32_e32 v12, v12, v13
	v_and_b32_e32 v13, v3, v1
	v_lshlrev_b32_e32 v1, 24, v2
	v_cmp_gt_i64_e32 vcc, 0, v[0:1]
	v_not_b32_e32 v1, v1
	v_ashrrev_i32_e32 v1, 31, v1
	v_xor_b32_e32 v2, vcc_hi, v1
	v_xor_b32_e32 v1, vcc_lo, v1
	; wave barrier
	ds_read_b32 v10, v14 offset:32
	v_and_b32_e32 v3, v12, v2
	v_and_b32_e32 v2, v13, v1
	v_mbcnt_lo_u32_b32 v1, v2, 0
	v_mbcnt_hi_u32_b32 v12, v3, v1
	v_cmp_eq_u32_e32 vcc, 0, v12
	v_cmp_ne_u64_e64 s[0:1], 0, v[2:3]
	s_and_b64 s[4:5], s[0:1], vcc
	; wave barrier
	s_and_saveexec_b64 s[0:1], s[4:5]
	s_cbranch_execz .LBB224_143
; %bb.142:
	v_bcnt_u32_b32 v1, v2, 0
	v_bcnt_u32_b32 v1, v3, v1
	s_waitcnt lgkmcnt(0)
	v_add_u32_e32 v1, v10, v1
	ds_write_b32 v14, v1 offset:32
.LBB224_143:
	s_or_b64 exec, exec, s[0:1]
	s_waitcnt vmcnt(12)
	v_lshrrev_b32_e32 v1, s52, v24
	v_and_b32_e32 v2, s16, v1
	v_lshl_add_u32 v1, v2, 3, v2
	v_add_lshl_u32 v37, v16, v1, 2
	v_and_b32_e32 v1, 1, v2
	v_add_co_u32_e32 v3, vcc, -1, v1
	v_addc_co_u32_e64 v15, s[0:1], 0, -1, vcc
	v_cmp_ne_u32_e32 vcc, 0, v1
	v_xor_b32_e32 v1, vcc_hi, v15
	v_and_b32_e32 v15, exec_hi, v1
	v_lshlrev_b32_e32 v1, 30, v2
	v_xor_b32_e32 v3, vcc_lo, v3
	v_cmp_gt_i64_e32 vcc, 0, v[0:1]
	v_not_b32_e32 v1, v1
	v_ashrrev_i32_e32 v1, 31, v1
	v_and_b32_e32 v3, exec_lo, v3
	v_xor_b32_e32 v17, vcc_hi, v1
	v_xor_b32_e32 v1, vcc_lo, v1
	v_and_b32_e32 v3, v3, v1
	v_lshlrev_b32_e32 v1, 29, v2
	v_cmp_gt_i64_e32 vcc, 0, v[0:1]
	v_not_b32_e32 v1, v1
	v_ashrrev_i32_e32 v1, 31, v1
	v_and_b32_e32 v15, v15, v17
	v_xor_b32_e32 v17, vcc_hi, v1
	v_xor_b32_e32 v1, vcc_lo, v1
	v_and_b32_e32 v3, v3, v1
	v_lshlrev_b32_e32 v1, 28, v2
	v_cmp_gt_i64_e32 vcc, 0, v[0:1]
	v_not_b32_e32 v1, v1
	v_ashrrev_i32_e32 v1, 31, v1
	v_and_b32_e32 v15, v15, v17
	;; [unrolled: 8-line block ×5, first 2 shown]
	v_xor_b32_e32 v17, vcc_hi, v1
	v_xor_b32_e32 v1, vcc_lo, v1
	v_and_b32_e32 v3, v3, v1
	v_lshlrev_b32_e32 v1, 24, v2
	v_cmp_gt_i64_e32 vcc, 0, v[0:1]
	v_not_b32_e32 v0, v1
	v_ashrrev_i32_e32 v0, 31, v0
	v_xor_b32_e32 v1, vcc_hi, v0
	v_xor_b32_e32 v0, vcc_lo, v0
	; wave barrier
	ds_read_b32 v13, v37 offset:32
	v_and_b32_e32 v15, v15, v17
	v_and_b32_e32 v0, v3, v0
	;; [unrolled: 1-line block ×3, first 2 shown]
	v_mbcnt_lo_u32_b32 v2, v0, 0
	v_mbcnt_hi_u32_b32 v15, v1, v2
	v_cmp_eq_u32_e32 vcc, 0, v15
	v_cmp_ne_u64_e64 s[0:1], 0, v[0:1]
	s_and_b64 s[4:5], s[0:1], vcc
	; wave barrier
	s_and_saveexec_b64 s[0:1], s[4:5]
	s_cbranch_execz .LBB224_145
; %bb.144:
	v_bcnt_u32_b32 v0, v0, 0
	v_bcnt_u32_b32 v0, v1, v0
	s_waitcnt lgkmcnt(0)
	v_add_u32_e32 v0, v13, v0
	ds_write_b32 v37, v0 offset:32
.LBB224_145:
	s_or_b64 exec, exec, s[0:1]
	s_waitcnt vmcnt(11)
	v_lshrrev_b32_e32 v0, s52, v25
	v_and_b32_e32 v2, s16, v0
	v_and_b32_e32 v1, 1, v2
	v_add_co_u32_e32 v3, vcc, -1, v1
	v_addc_co_u32_e64 v38, s[0:1], 0, -1, vcc
	v_cmp_ne_u32_e32 vcc, 0, v1
	v_lshl_add_u32 v0, v2, 3, v2
	v_xor_b32_e32 v1, vcc_hi, v38
	v_add_lshl_u32 v40, v16, v0, 2
	v_mov_b32_e32 v0, 0
	v_and_b32_e32 v38, exec_hi, v1
	v_lshlrev_b32_e32 v1, 30, v2
	v_xor_b32_e32 v3, vcc_lo, v3
	v_cmp_gt_i64_e32 vcc, 0, v[0:1]
	v_not_b32_e32 v1, v1
	v_ashrrev_i32_e32 v1, 31, v1
	v_and_b32_e32 v3, exec_lo, v3
	v_xor_b32_e32 v39, vcc_hi, v1
	v_xor_b32_e32 v1, vcc_lo, v1
	v_and_b32_e32 v3, v3, v1
	v_lshlrev_b32_e32 v1, 29, v2
	v_cmp_gt_i64_e32 vcc, 0, v[0:1]
	v_not_b32_e32 v1, v1
	v_ashrrev_i32_e32 v1, 31, v1
	v_and_b32_e32 v38, v38, v39
	v_xor_b32_e32 v39, vcc_hi, v1
	v_xor_b32_e32 v1, vcc_lo, v1
	v_and_b32_e32 v3, v3, v1
	v_lshlrev_b32_e32 v1, 28, v2
	v_cmp_gt_i64_e32 vcc, 0, v[0:1]
	v_not_b32_e32 v1, v1
	v_ashrrev_i32_e32 v1, 31, v1
	v_and_b32_e32 v38, v38, v39
	;; [unrolled: 8-line block ×5, first 2 shown]
	v_xor_b32_e32 v39, vcc_hi, v1
	v_xor_b32_e32 v1, vcc_lo, v1
	v_and_b32_e32 v38, v38, v39
	v_and_b32_e32 v39, v3, v1
	v_lshlrev_b32_e32 v1, 24, v2
	v_cmp_gt_i64_e32 vcc, 0, v[0:1]
	v_not_b32_e32 v1, v1
	v_ashrrev_i32_e32 v1, 31, v1
	v_xor_b32_e32 v2, vcc_hi, v1
	v_xor_b32_e32 v1, vcc_lo, v1
	; wave barrier
	ds_read_b32 v17, v40 offset:32
	v_and_b32_e32 v3, v38, v2
	v_and_b32_e32 v2, v39, v1
	v_mbcnt_lo_u32_b32 v1, v2, 0
	v_mbcnt_hi_u32_b32 v38, v3, v1
	v_cmp_eq_u32_e32 vcc, 0, v38
	v_cmp_ne_u64_e64 s[0:1], 0, v[2:3]
	s_and_b64 s[4:5], s[0:1], vcc
	; wave barrier
	s_and_saveexec_b64 s[0:1], s[4:5]
	s_cbranch_execz .LBB224_147
; %bb.146:
	v_bcnt_u32_b32 v1, v2, 0
	v_bcnt_u32_b32 v1, v3, v1
	s_waitcnt lgkmcnt(0)
	v_add_u32_e32 v1, v17, v1
	ds_write_b32 v40, v1 offset:32
.LBB224_147:
	s_or_b64 exec, exec, s[0:1]
	s_waitcnt vmcnt(10)
	v_lshrrev_b32_e32 v1, s52, v26
	v_and_b32_e32 v2, s16, v1
	v_lshl_add_u32 v1, v2, 3, v2
	v_add_lshl_u32 v43, v16, v1, 2
	v_and_b32_e32 v1, 1, v2
	v_add_co_u32_e32 v3, vcc, -1, v1
	v_addc_co_u32_e64 v41, s[0:1], 0, -1, vcc
	v_cmp_ne_u32_e32 vcc, 0, v1
	v_xor_b32_e32 v1, vcc_hi, v41
	v_and_b32_e32 v41, exec_hi, v1
	v_lshlrev_b32_e32 v1, 30, v2
	v_xor_b32_e32 v3, vcc_lo, v3
	v_cmp_gt_i64_e32 vcc, 0, v[0:1]
	v_not_b32_e32 v1, v1
	v_ashrrev_i32_e32 v1, 31, v1
	v_and_b32_e32 v3, exec_lo, v3
	v_xor_b32_e32 v42, vcc_hi, v1
	v_xor_b32_e32 v1, vcc_lo, v1
	v_and_b32_e32 v3, v3, v1
	v_lshlrev_b32_e32 v1, 29, v2
	v_cmp_gt_i64_e32 vcc, 0, v[0:1]
	v_not_b32_e32 v1, v1
	v_ashrrev_i32_e32 v1, 31, v1
	v_and_b32_e32 v41, v41, v42
	v_xor_b32_e32 v42, vcc_hi, v1
	v_xor_b32_e32 v1, vcc_lo, v1
	v_and_b32_e32 v3, v3, v1
	v_lshlrev_b32_e32 v1, 28, v2
	v_cmp_gt_i64_e32 vcc, 0, v[0:1]
	v_not_b32_e32 v1, v1
	v_ashrrev_i32_e32 v1, 31, v1
	v_and_b32_e32 v41, v41, v42
	v_xor_b32_e32 v42, vcc_hi, v1
	v_xor_b32_e32 v1, vcc_lo, v1
	v_and_b32_e32 v3, v3, v1
	v_lshlrev_b32_e32 v1, 27, v2
	v_cmp_gt_i64_e32 vcc, 0, v[0:1]
	v_not_b32_e32 v1, v1
	v_ashrrev_i32_e32 v1, 31, v1
	v_and_b32_e32 v41, v41, v42
	v_xor_b32_e32 v42, vcc_hi, v1
	v_xor_b32_e32 v1, vcc_lo, v1
	v_and_b32_e32 v3, v3, v1
	v_lshlrev_b32_e32 v1, 26, v2
	v_cmp_gt_i64_e32 vcc, 0, v[0:1]
	v_not_b32_e32 v1, v1
	v_ashrrev_i32_e32 v1, 31, v1
	v_and_b32_e32 v41, v41, v42
	v_xor_b32_e32 v42, vcc_hi, v1
	v_xor_b32_e32 v1, vcc_lo, v1
	v_and_b32_e32 v3, v3, v1
	v_lshlrev_b32_e32 v1, 25, v2
	v_cmp_gt_i64_e32 vcc, 0, v[0:1]
	v_not_b32_e32 v1, v1
	v_ashrrev_i32_e32 v1, 31, v1
	v_and_b32_e32 v41, v41, v42
	v_xor_b32_e32 v42, vcc_hi, v1
	v_xor_b32_e32 v1, vcc_lo, v1
	v_and_b32_e32 v3, v3, v1
	v_lshlrev_b32_e32 v1, 24, v2
	v_cmp_gt_i64_e32 vcc, 0, v[0:1]
	v_not_b32_e32 v0, v1
	v_ashrrev_i32_e32 v0, 31, v0
	v_xor_b32_e32 v1, vcc_hi, v0
	v_xor_b32_e32 v0, vcc_lo, v0
	; wave barrier
	ds_read_b32 v39, v43 offset:32
	v_and_b32_e32 v41, v41, v42
	v_and_b32_e32 v0, v3, v0
	;; [unrolled: 1-line block ×3, first 2 shown]
	v_mbcnt_lo_u32_b32 v2, v0, 0
	v_mbcnt_hi_u32_b32 v41, v1, v2
	v_cmp_eq_u32_e32 vcc, 0, v41
	v_cmp_ne_u64_e64 s[0:1], 0, v[0:1]
	s_and_b64 s[4:5], s[0:1], vcc
	; wave barrier
	s_and_saveexec_b64 s[0:1], s[4:5]
	s_cbranch_execz .LBB224_149
; %bb.148:
	v_bcnt_u32_b32 v0, v0, 0
	v_bcnt_u32_b32 v0, v1, v0
	s_waitcnt lgkmcnt(0)
	v_add_u32_e32 v0, v39, v0
	ds_write_b32 v43, v0 offset:32
.LBB224_149:
	s_or_b64 exec, exec, s[0:1]
	s_waitcnt vmcnt(9)
	v_lshrrev_b32_e32 v0, s52, v27
	v_and_b32_e32 v2, s16, v0
	v_and_b32_e32 v1, 1, v2
	v_add_co_u32_e32 v3, vcc, -1, v1
	v_addc_co_u32_e64 v44, s[0:1], 0, -1, vcc
	v_cmp_ne_u32_e32 vcc, 0, v1
	v_lshl_add_u32 v0, v2, 3, v2
	v_xor_b32_e32 v1, vcc_hi, v44
	v_add_lshl_u32 v46, v16, v0, 2
	v_mov_b32_e32 v0, 0
	v_and_b32_e32 v44, exec_hi, v1
	v_lshlrev_b32_e32 v1, 30, v2
	v_xor_b32_e32 v3, vcc_lo, v3
	v_cmp_gt_i64_e32 vcc, 0, v[0:1]
	v_not_b32_e32 v1, v1
	v_ashrrev_i32_e32 v1, 31, v1
	v_and_b32_e32 v3, exec_lo, v3
	v_xor_b32_e32 v45, vcc_hi, v1
	v_xor_b32_e32 v1, vcc_lo, v1
	v_and_b32_e32 v3, v3, v1
	v_lshlrev_b32_e32 v1, 29, v2
	v_cmp_gt_i64_e32 vcc, 0, v[0:1]
	v_not_b32_e32 v1, v1
	v_ashrrev_i32_e32 v1, 31, v1
	v_and_b32_e32 v44, v44, v45
	v_xor_b32_e32 v45, vcc_hi, v1
	v_xor_b32_e32 v1, vcc_lo, v1
	v_and_b32_e32 v3, v3, v1
	v_lshlrev_b32_e32 v1, 28, v2
	v_cmp_gt_i64_e32 vcc, 0, v[0:1]
	v_not_b32_e32 v1, v1
	v_ashrrev_i32_e32 v1, 31, v1
	v_and_b32_e32 v44, v44, v45
	;; [unrolled: 8-line block ×5, first 2 shown]
	v_xor_b32_e32 v45, vcc_hi, v1
	v_xor_b32_e32 v1, vcc_lo, v1
	v_and_b32_e32 v44, v44, v45
	v_and_b32_e32 v45, v3, v1
	v_lshlrev_b32_e32 v1, 24, v2
	v_cmp_gt_i64_e32 vcc, 0, v[0:1]
	v_not_b32_e32 v1, v1
	v_ashrrev_i32_e32 v1, 31, v1
	v_xor_b32_e32 v2, vcc_hi, v1
	v_xor_b32_e32 v1, vcc_lo, v1
	; wave barrier
	ds_read_b32 v42, v46 offset:32
	v_and_b32_e32 v3, v44, v2
	v_and_b32_e32 v2, v45, v1
	v_mbcnt_lo_u32_b32 v1, v2, 0
	v_mbcnt_hi_u32_b32 v44, v3, v1
	v_cmp_eq_u32_e32 vcc, 0, v44
	v_cmp_ne_u64_e64 s[0:1], 0, v[2:3]
	s_and_b64 s[4:5], s[0:1], vcc
	; wave barrier
	s_and_saveexec_b64 s[0:1], s[4:5]
	s_cbranch_execz .LBB224_151
; %bb.150:
	v_bcnt_u32_b32 v1, v2, 0
	v_bcnt_u32_b32 v1, v3, v1
	s_waitcnt lgkmcnt(0)
	v_add_u32_e32 v1, v42, v1
	ds_write_b32 v46, v1 offset:32
.LBB224_151:
	s_or_b64 exec, exec, s[0:1]
	s_waitcnt vmcnt(8)
	v_lshrrev_b32_e32 v1, s52, v28
	v_and_b32_e32 v2, s16, v1
	v_lshl_add_u32 v1, v2, 3, v2
	v_add_lshl_u32 v49, v16, v1, 2
	v_and_b32_e32 v1, 1, v2
	v_add_co_u32_e32 v3, vcc, -1, v1
	v_addc_co_u32_e64 v47, s[0:1], 0, -1, vcc
	v_cmp_ne_u32_e32 vcc, 0, v1
	v_xor_b32_e32 v1, vcc_hi, v47
	v_and_b32_e32 v47, exec_hi, v1
	v_lshlrev_b32_e32 v1, 30, v2
	v_xor_b32_e32 v3, vcc_lo, v3
	v_cmp_gt_i64_e32 vcc, 0, v[0:1]
	v_not_b32_e32 v1, v1
	v_ashrrev_i32_e32 v1, 31, v1
	v_and_b32_e32 v3, exec_lo, v3
	v_xor_b32_e32 v48, vcc_hi, v1
	v_xor_b32_e32 v1, vcc_lo, v1
	v_and_b32_e32 v3, v3, v1
	v_lshlrev_b32_e32 v1, 29, v2
	v_cmp_gt_i64_e32 vcc, 0, v[0:1]
	v_not_b32_e32 v1, v1
	v_ashrrev_i32_e32 v1, 31, v1
	v_and_b32_e32 v47, v47, v48
	v_xor_b32_e32 v48, vcc_hi, v1
	v_xor_b32_e32 v1, vcc_lo, v1
	v_and_b32_e32 v3, v3, v1
	v_lshlrev_b32_e32 v1, 28, v2
	v_cmp_gt_i64_e32 vcc, 0, v[0:1]
	v_not_b32_e32 v1, v1
	v_ashrrev_i32_e32 v1, 31, v1
	v_and_b32_e32 v47, v47, v48
	;; [unrolled: 8-line block ×5, first 2 shown]
	v_xor_b32_e32 v48, vcc_hi, v1
	v_xor_b32_e32 v1, vcc_lo, v1
	v_and_b32_e32 v3, v3, v1
	v_lshlrev_b32_e32 v1, 24, v2
	v_cmp_gt_i64_e32 vcc, 0, v[0:1]
	v_not_b32_e32 v0, v1
	v_ashrrev_i32_e32 v0, 31, v0
	v_xor_b32_e32 v1, vcc_hi, v0
	v_xor_b32_e32 v0, vcc_lo, v0
	; wave barrier
	ds_read_b32 v45, v49 offset:32
	v_and_b32_e32 v47, v47, v48
	v_and_b32_e32 v0, v3, v0
	;; [unrolled: 1-line block ×3, first 2 shown]
	v_mbcnt_lo_u32_b32 v2, v0, 0
	v_mbcnt_hi_u32_b32 v47, v1, v2
	v_cmp_eq_u32_e32 vcc, 0, v47
	v_cmp_ne_u64_e64 s[0:1], 0, v[0:1]
	s_and_b64 s[4:5], s[0:1], vcc
	; wave barrier
	s_and_saveexec_b64 s[0:1], s[4:5]
	s_cbranch_execz .LBB224_153
; %bb.152:
	v_bcnt_u32_b32 v0, v0, 0
	v_bcnt_u32_b32 v0, v1, v0
	s_waitcnt lgkmcnt(0)
	v_add_u32_e32 v0, v45, v0
	ds_write_b32 v49, v0 offset:32
.LBB224_153:
	s_or_b64 exec, exec, s[0:1]
	s_waitcnt vmcnt(7)
	v_lshrrev_b32_e32 v0, s52, v29
	v_and_b32_e32 v2, s16, v0
	v_and_b32_e32 v1, 1, v2
	v_add_co_u32_e32 v3, vcc, -1, v1
	v_addc_co_u32_e64 v50, s[0:1], 0, -1, vcc
	v_cmp_ne_u32_e32 vcc, 0, v1
	v_lshl_add_u32 v0, v2, 3, v2
	v_xor_b32_e32 v1, vcc_hi, v50
	v_add_lshl_u32 v52, v16, v0, 2
	v_mov_b32_e32 v0, 0
	v_and_b32_e32 v50, exec_hi, v1
	v_lshlrev_b32_e32 v1, 30, v2
	v_xor_b32_e32 v3, vcc_lo, v3
	v_cmp_gt_i64_e32 vcc, 0, v[0:1]
	v_not_b32_e32 v1, v1
	v_ashrrev_i32_e32 v1, 31, v1
	v_and_b32_e32 v3, exec_lo, v3
	v_xor_b32_e32 v51, vcc_hi, v1
	v_xor_b32_e32 v1, vcc_lo, v1
	v_and_b32_e32 v3, v3, v1
	v_lshlrev_b32_e32 v1, 29, v2
	v_cmp_gt_i64_e32 vcc, 0, v[0:1]
	v_not_b32_e32 v1, v1
	v_ashrrev_i32_e32 v1, 31, v1
	v_and_b32_e32 v50, v50, v51
	v_xor_b32_e32 v51, vcc_hi, v1
	v_xor_b32_e32 v1, vcc_lo, v1
	v_and_b32_e32 v3, v3, v1
	v_lshlrev_b32_e32 v1, 28, v2
	v_cmp_gt_i64_e32 vcc, 0, v[0:1]
	v_not_b32_e32 v1, v1
	v_ashrrev_i32_e32 v1, 31, v1
	v_and_b32_e32 v50, v50, v51
	;; [unrolled: 8-line block ×5, first 2 shown]
	v_xor_b32_e32 v51, vcc_hi, v1
	v_xor_b32_e32 v1, vcc_lo, v1
	v_and_b32_e32 v50, v50, v51
	v_and_b32_e32 v51, v3, v1
	v_lshlrev_b32_e32 v1, 24, v2
	v_cmp_gt_i64_e32 vcc, 0, v[0:1]
	v_not_b32_e32 v1, v1
	v_ashrrev_i32_e32 v1, 31, v1
	v_xor_b32_e32 v2, vcc_hi, v1
	v_xor_b32_e32 v1, vcc_lo, v1
	; wave barrier
	ds_read_b32 v48, v52 offset:32
	v_and_b32_e32 v3, v50, v2
	v_and_b32_e32 v2, v51, v1
	v_mbcnt_lo_u32_b32 v1, v2, 0
	v_mbcnt_hi_u32_b32 v50, v3, v1
	v_cmp_eq_u32_e32 vcc, 0, v50
	v_cmp_ne_u64_e64 s[0:1], 0, v[2:3]
	s_and_b64 s[4:5], s[0:1], vcc
	; wave barrier
	s_and_saveexec_b64 s[0:1], s[4:5]
	s_cbranch_execz .LBB224_155
; %bb.154:
	v_bcnt_u32_b32 v1, v2, 0
	v_bcnt_u32_b32 v1, v3, v1
	s_waitcnt lgkmcnt(0)
	v_add_u32_e32 v1, v48, v1
	ds_write_b32 v52, v1 offset:32
.LBB224_155:
	s_or_b64 exec, exec, s[0:1]
	s_waitcnt vmcnt(6)
	v_lshrrev_b32_e32 v1, s52, v30
	v_and_b32_e32 v2, s16, v1
	v_lshl_add_u32 v1, v2, 3, v2
	v_add_lshl_u32 v55, v16, v1, 2
	v_and_b32_e32 v1, 1, v2
	v_add_co_u32_e32 v3, vcc, -1, v1
	v_addc_co_u32_e64 v53, s[0:1], 0, -1, vcc
	v_cmp_ne_u32_e32 vcc, 0, v1
	v_xor_b32_e32 v1, vcc_hi, v53
	v_and_b32_e32 v53, exec_hi, v1
	v_lshlrev_b32_e32 v1, 30, v2
	v_xor_b32_e32 v3, vcc_lo, v3
	v_cmp_gt_i64_e32 vcc, 0, v[0:1]
	v_not_b32_e32 v1, v1
	v_ashrrev_i32_e32 v1, 31, v1
	v_and_b32_e32 v3, exec_lo, v3
	v_xor_b32_e32 v54, vcc_hi, v1
	v_xor_b32_e32 v1, vcc_lo, v1
	v_and_b32_e32 v3, v3, v1
	v_lshlrev_b32_e32 v1, 29, v2
	v_cmp_gt_i64_e32 vcc, 0, v[0:1]
	v_not_b32_e32 v1, v1
	v_ashrrev_i32_e32 v1, 31, v1
	v_and_b32_e32 v53, v53, v54
	v_xor_b32_e32 v54, vcc_hi, v1
	v_xor_b32_e32 v1, vcc_lo, v1
	v_and_b32_e32 v3, v3, v1
	v_lshlrev_b32_e32 v1, 28, v2
	v_cmp_gt_i64_e32 vcc, 0, v[0:1]
	v_not_b32_e32 v1, v1
	v_ashrrev_i32_e32 v1, 31, v1
	v_and_b32_e32 v53, v53, v54
	;; [unrolled: 8-line block ×5, first 2 shown]
	v_xor_b32_e32 v54, vcc_hi, v1
	v_xor_b32_e32 v1, vcc_lo, v1
	v_and_b32_e32 v3, v3, v1
	v_lshlrev_b32_e32 v1, 24, v2
	v_cmp_gt_i64_e32 vcc, 0, v[0:1]
	v_not_b32_e32 v0, v1
	v_ashrrev_i32_e32 v0, 31, v0
	v_xor_b32_e32 v1, vcc_hi, v0
	v_xor_b32_e32 v0, vcc_lo, v0
	; wave barrier
	ds_read_b32 v51, v55 offset:32
	v_and_b32_e32 v53, v53, v54
	v_and_b32_e32 v0, v3, v0
	;; [unrolled: 1-line block ×3, first 2 shown]
	v_mbcnt_lo_u32_b32 v2, v0, 0
	v_mbcnt_hi_u32_b32 v53, v1, v2
	v_cmp_eq_u32_e32 vcc, 0, v53
	v_cmp_ne_u64_e64 s[0:1], 0, v[0:1]
	s_and_b64 s[4:5], s[0:1], vcc
	; wave barrier
	s_and_saveexec_b64 s[0:1], s[4:5]
	s_cbranch_execz .LBB224_157
; %bb.156:
	v_bcnt_u32_b32 v0, v0, 0
	v_bcnt_u32_b32 v0, v1, v0
	s_waitcnt lgkmcnt(0)
	v_add_u32_e32 v0, v51, v0
	ds_write_b32 v55, v0 offset:32
.LBB224_157:
	s_or_b64 exec, exec, s[0:1]
	s_waitcnt vmcnt(5)
	v_lshrrev_b32_e32 v0, s52, v31
	v_and_b32_e32 v2, s16, v0
	v_and_b32_e32 v1, 1, v2
	v_add_co_u32_e32 v3, vcc, -1, v1
	v_addc_co_u32_e64 v56, s[0:1], 0, -1, vcc
	v_cmp_ne_u32_e32 vcc, 0, v1
	v_lshl_add_u32 v0, v2, 3, v2
	v_xor_b32_e32 v1, vcc_hi, v56
	v_add_lshl_u32 v58, v16, v0, 2
	v_mov_b32_e32 v0, 0
	v_and_b32_e32 v56, exec_hi, v1
	v_lshlrev_b32_e32 v1, 30, v2
	v_xor_b32_e32 v3, vcc_lo, v3
	v_cmp_gt_i64_e32 vcc, 0, v[0:1]
	v_not_b32_e32 v1, v1
	v_ashrrev_i32_e32 v1, 31, v1
	v_and_b32_e32 v3, exec_lo, v3
	v_xor_b32_e32 v57, vcc_hi, v1
	v_xor_b32_e32 v1, vcc_lo, v1
	v_and_b32_e32 v3, v3, v1
	v_lshlrev_b32_e32 v1, 29, v2
	v_cmp_gt_i64_e32 vcc, 0, v[0:1]
	v_not_b32_e32 v1, v1
	v_ashrrev_i32_e32 v1, 31, v1
	v_and_b32_e32 v56, v56, v57
	v_xor_b32_e32 v57, vcc_hi, v1
	v_xor_b32_e32 v1, vcc_lo, v1
	v_and_b32_e32 v3, v3, v1
	v_lshlrev_b32_e32 v1, 28, v2
	v_cmp_gt_i64_e32 vcc, 0, v[0:1]
	v_not_b32_e32 v1, v1
	v_ashrrev_i32_e32 v1, 31, v1
	v_and_b32_e32 v56, v56, v57
	;; [unrolled: 8-line block ×5, first 2 shown]
	v_xor_b32_e32 v57, vcc_hi, v1
	v_xor_b32_e32 v1, vcc_lo, v1
	v_and_b32_e32 v56, v56, v57
	v_and_b32_e32 v57, v3, v1
	v_lshlrev_b32_e32 v1, 24, v2
	v_cmp_gt_i64_e32 vcc, 0, v[0:1]
	v_not_b32_e32 v1, v1
	v_ashrrev_i32_e32 v1, 31, v1
	v_xor_b32_e32 v2, vcc_hi, v1
	v_xor_b32_e32 v1, vcc_lo, v1
	; wave barrier
	ds_read_b32 v54, v58 offset:32
	v_and_b32_e32 v3, v56, v2
	v_and_b32_e32 v2, v57, v1
	v_mbcnt_lo_u32_b32 v1, v2, 0
	v_mbcnt_hi_u32_b32 v56, v3, v1
	v_cmp_eq_u32_e32 vcc, 0, v56
	v_cmp_ne_u64_e64 s[0:1], 0, v[2:3]
	s_and_b64 s[4:5], s[0:1], vcc
	; wave barrier
	s_and_saveexec_b64 s[0:1], s[4:5]
	s_cbranch_execz .LBB224_159
; %bb.158:
	v_bcnt_u32_b32 v1, v2, 0
	v_bcnt_u32_b32 v1, v3, v1
	s_waitcnt lgkmcnt(0)
	v_add_u32_e32 v1, v54, v1
	ds_write_b32 v58, v1 offset:32
.LBB224_159:
	s_or_b64 exec, exec, s[0:1]
	s_waitcnt vmcnt(4)
	v_lshrrev_b32_e32 v1, s52, v32
	v_and_b32_e32 v2, s16, v1
	v_lshl_add_u32 v1, v2, 3, v2
	v_add_lshl_u32 v61, v16, v1, 2
	v_and_b32_e32 v1, 1, v2
	v_add_co_u32_e32 v3, vcc, -1, v1
	v_addc_co_u32_e64 v59, s[0:1], 0, -1, vcc
	v_cmp_ne_u32_e32 vcc, 0, v1
	v_xor_b32_e32 v1, vcc_hi, v59
	v_and_b32_e32 v59, exec_hi, v1
	v_lshlrev_b32_e32 v1, 30, v2
	v_xor_b32_e32 v3, vcc_lo, v3
	v_cmp_gt_i64_e32 vcc, 0, v[0:1]
	v_not_b32_e32 v1, v1
	v_ashrrev_i32_e32 v1, 31, v1
	v_and_b32_e32 v3, exec_lo, v3
	v_xor_b32_e32 v60, vcc_hi, v1
	v_xor_b32_e32 v1, vcc_lo, v1
	v_and_b32_e32 v3, v3, v1
	v_lshlrev_b32_e32 v1, 29, v2
	v_cmp_gt_i64_e32 vcc, 0, v[0:1]
	v_not_b32_e32 v1, v1
	v_ashrrev_i32_e32 v1, 31, v1
	v_and_b32_e32 v59, v59, v60
	v_xor_b32_e32 v60, vcc_hi, v1
	v_xor_b32_e32 v1, vcc_lo, v1
	v_and_b32_e32 v3, v3, v1
	v_lshlrev_b32_e32 v1, 28, v2
	v_cmp_gt_i64_e32 vcc, 0, v[0:1]
	v_not_b32_e32 v1, v1
	v_ashrrev_i32_e32 v1, 31, v1
	v_and_b32_e32 v59, v59, v60
	;; [unrolled: 8-line block ×5, first 2 shown]
	v_xor_b32_e32 v60, vcc_hi, v1
	v_xor_b32_e32 v1, vcc_lo, v1
	v_and_b32_e32 v3, v3, v1
	v_lshlrev_b32_e32 v1, 24, v2
	v_cmp_gt_i64_e32 vcc, 0, v[0:1]
	v_not_b32_e32 v0, v1
	v_ashrrev_i32_e32 v0, 31, v0
	v_xor_b32_e32 v1, vcc_hi, v0
	v_xor_b32_e32 v0, vcc_lo, v0
	; wave barrier
	ds_read_b32 v57, v61 offset:32
	v_and_b32_e32 v59, v59, v60
	v_and_b32_e32 v0, v3, v0
	;; [unrolled: 1-line block ×3, first 2 shown]
	v_mbcnt_lo_u32_b32 v2, v0, 0
	v_mbcnt_hi_u32_b32 v59, v1, v2
	v_cmp_eq_u32_e32 vcc, 0, v59
	v_cmp_ne_u64_e64 s[0:1], 0, v[0:1]
	s_and_b64 s[4:5], s[0:1], vcc
	; wave barrier
	s_and_saveexec_b64 s[0:1], s[4:5]
	s_cbranch_execz .LBB224_161
; %bb.160:
	v_bcnt_u32_b32 v0, v0, 0
	v_bcnt_u32_b32 v0, v1, v0
	s_waitcnt lgkmcnt(0)
	v_add_u32_e32 v0, v57, v0
	ds_write_b32 v61, v0 offset:32
.LBB224_161:
	s_or_b64 exec, exec, s[0:1]
	s_waitcnt vmcnt(3)
	v_lshrrev_b32_e32 v0, s52, v33
	v_and_b32_e32 v2, s16, v0
	v_and_b32_e32 v1, 1, v2
	v_add_co_u32_e32 v3, vcc, -1, v1
	v_addc_co_u32_e64 v62, s[0:1], 0, -1, vcc
	v_cmp_ne_u32_e32 vcc, 0, v1
	v_lshl_add_u32 v0, v2, 3, v2
	v_xor_b32_e32 v1, vcc_hi, v62
	v_add_lshl_u32 v64, v16, v0, 2
	v_mov_b32_e32 v0, 0
	v_and_b32_e32 v62, exec_hi, v1
	v_lshlrev_b32_e32 v1, 30, v2
	v_xor_b32_e32 v3, vcc_lo, v3
	v_cmp_gt_i64_e32 vcc, 0, v[0:1]
	v_not_b32_e32 v1, v1
	v_ashrrev_i32_e32 v1, 31, v1
	v_and_b32_e32 v3, exec_lo, v3
	v_xor_b32_e32 v63, vcc_hi, v1
	v_xor_b32_e32 v1, vcc_lo, v1
	v_and_b32_e32 v3, v3, v1
	v_lshlrev_b32_e32 v1, 29, v2
	v_cmp_gt_i64_e32 vcc, 0, v[0:1]
	v_not_b32_e32 v1, v1
	v_ashrrev_i32_e32 v1, 31, v1
	v_and_b32_e32 v62, v62, v63
	v_xor_b32_e32 v63, vcc_hi, v1
	v_xor_b32_e32 v1, vcc_lo, v1
	v_and_b32_e32 v3, v3, v1
	v_lshlrev_b32_e32 v1, 28, v2
	v_cmp_gt_i64_e32 vcc, 0, v[0:1]
	v_not_b32_e32 v1, v1
	v_ashrrev_i32_e32 v1, 31, v1
	v_and_b32_e32 v62, v62, v63
	v_xor_b32_e32 v63, vcc_hi, v1
	v_xor_b32_e32 v1, vcc_lo, v1
	v_and_b32_e32 v3, v3, v1
	v_lshlrev_b32_e32 v1, 27, v2
	v_cmp_gt_i64_e32 vcc, 0, v[0:1]
	v_not_b32_e32 v1, v1
	v_ashrrev_i32_e32 v1, 31, v1
	v_and_b32_e32 v62, v62, v63
	v_xor_b32_e32 v63, vcc_hi, v1
	v_xor_b32_e32 v1, vcc_lo, v1
	v_and_b32_e32 v3, v3, v1
	v_lshlrev_b32_e32 v1, 26, v2
	v_cmp_gt_i64_e32 vcc, 0, v[0:1]
	v_not_b32_e32 v1, v1
	v_ashrrev_i32_e32 v1, 31, v1
	v_and_b32_e32 v62, v62, v63
	v_xor_b32_e32 v63, vcc_hi, v1
	v_xor_b32_e32 v1, vcc_lo, v1
	v_and_b32_e32 v3, v3, v1
	v_lshlrev_b32_e32 v1, 25, v2
	v_cmp_gt_i64_e32 vcc, 0, v[0:1]
	v_not_b32_e32 v1, v1
	v_ashrrev_i32_e32 v1, 31, v1
	v_and_b32_e32 v62, v62, v63
	v_xor_b32_e32 v63, vcc_hi, v1
	v_xor_b32_e32 v1, vcc_lo, v1
	v_and_b32_e32 v62, v62, v63
	v_and_b32_e32 v63, v3, v1
	v_lshlrev_b32_e32 v1, 24, v2
	v_cmp_gt_i64_e32 vcc, 0, v[0:1]
	v_not_b32_e32 v1, v1
	v_ashrrev_i32_e32 v1, 31, v1
	v_xor_b32_e32 v2, vcc_hi, v1
	v_xor_b32_e32 v1, vcc_lo, v1
	; wave barrier
	ds_read_b32 v60, v64 offset:32
	v_and_b32_e32 v3, v62, v2
	v_and_b32_e32 v2, v63, v1
	v_mbcnt_lo_u32_b32 v1, v2, 0
	v_mbcnt_hi_u32_b32 v62, v3, v1
	v_cmp_eq_u32_e32 vcc, 0, v62
	v_cmp_ne_u64_e64 s[0:1], 0, v[2:3]
	s_and_b64 s[4:5], s[0:1], vcc
	; wave barrier
	s_and_saveexec_b64 s[0:1], s[4:5]
	s_cbranch_execz .LBB224_163
; %bb.162:
	v_bcnt_u32_b32 v1, v2, 0
	v_bcnt_u32_b32 v1, v3, v1
	s_waitcnt lgkmcnt(0)
	v_add_u32_e32 v1, v60, v1
	ds_write_b32 v64, v1 offset:32
.LBB224_163:
	s_or_b64 exec, exec, s[0:1]
	s_waitcnt vmcnt(2)
	v_lshrrev_b32_e32 v1, s52, v34
	v_and_b32_e32 v2, s16, v1
	v_lshl_add_u32 v1, v2, 3, v2
	v_add_lshl_u32 v67, v16, v1, 2
	v_and_b32_e32 v1, 1, v2
	v_add_co_u32_e32 v3, vcc, -1, v1
	v_addc_co_u32_e64 v65, s[0:1], 0, -1, vcc
	v_cmp_ne_u32_e32 vcc, 0, v1
	v_xor_b32_e32 v1, vcc_hi, v65
	v_and_b32_e32 v65, exec_hi, v1
	v_lshlrev_b32_e32 v1, 30, v2
	v_xor_b32_e32 v3, vcc_lo, v3
	v_cmp_gt_i64_e32 vcc, 0, v[0:1]
	v_not_b32_e32 v1, v1
	v_ashrrev_i32_e32 v1, 31, v1
	v_and_b32_e32 v3, exec_lo, v3
	v_xor_b32_e32 v66, vcc_hi, v1
	v_xor_b32_e32 v1, vcc_lo, v1
	v_and_b32_e32 v3, v3, v1
	v_lshlrev_b32_e32 v1, 29, v2
	v_cmp_gt_i64_e32 vcc, 0, v[0:1]
	v_not_b32_e32 v1, v1
	v_ashrrev_i32_e32 v1, 31, v1
	v_and_b32_e32 v65, v65, v66
	v_xor_b32_e32 v66, vcc_hi, v1
	v_xor_b32_e32 v1, vcc_lo, v1
	v_and_b32_e32 v3, v3, v1
	v_lshlrev_b32_e32 v1, 28, v2
	v_cmp_gt_i64_e32 vcc, 0, v[0:1]
	v_not_b32_e32 v1, v1
	v_ashrrev_i32_e32 v1, 31, v1
	v_and_b32_e32 v65, v65, v66
	;; [unrolled: 8-line block ×5, first 2 shown]
	v_xor_b32_e32 v66, vcc_hi, v1
	v_xor_b32_e32 v1, vcc_lo, v1
	v_and_b32_e32 v3, v3, v1
	v_lshlrev_b32_e32 v1, 24, v2
	v_cmp_gt_i64_e32 vcc, 0, v[0:1]
	v_not_b32_e32 v0, v1
	v_ashrrev_i32_e32 v0, 31, v0
	v_xor_b32_e32 v1, vcc_hi, v0
	v_xor_b32_e32 v0, vcc_lo, v0
	; wave barrier
	ds_read_b32 v63, v67 offset:32
	v_and_b32_e32 v65, v65, v66
	v_and_b32_e32 v0, v3, v0
	;; [unrolled: 1-line block ×3, first 2 shown]
	v_mbcnt_lo_u32_b32 v2, v0, 0
	v_mbcnt_hi_u32_b32 v65, v1, v2
	v_cmp_eq_u32_e32 vcc, 0, v65
	v_cmp_ne_u64_e64 s[0:1], 0, v[0:1]
	s_and_b64 s[4:5], s[0:1], vcc
	; wave barrier
	s_and_saveexec_b64 s[0:1], s[4:5]
	s_cbranch_execz .LBB224_165
; %bb.164:
	v_bcnt_u32_b32 v0, v0, 0
	v_bcnt_u32_b32 v0, v1, v0
	s_waitcnt lgkmcnt(0)
	v_add_u32_e32 v0, v63, v0
	ds_write_b32 v67, v0 offset:32
.LBB224_165:
	s_or_b64 exec, exec, s[0:1]
	s_waitcnt vmcnt(1)
	v_lshrrev_b32_e32 v0, s52, v35
	v_and_b32_e32 v2, s16, v0
	v_and_b32_e32 v1, 1, v2
	v_add_co_u32_e32 v3, vcc, -1, v1
	v_addc_co_u32_e64 v68, s[0:1], 0, -1, vcc
	v_cmp_ne_u32_e32 vcc, 0, v1
	v_lshl_add_u32 v0, v2, 3, v2
	v_xor_b32_e32 v1, vcc_hi, v68
	v_add_lshl_u32 v69, v16, v0, 2
	v_mov_b32_e32 v0, 0
	v_and_b32_e32 v68, exec_hi, v1
	v_lshlrev_b32_e32 v1, 30, v2
	v_xor_b32_e32 v3, vcc_lo, v3
	v_cmp_gt_i64_e32 vcc, 0, v[0:1]
	v_not_b32_e32 v1, v1
	v_ashrrev_i32_e32 v1, 31, v1
	v_and_b32_e32 v3, exec_lo, v3
	v_xor_b32_e32 v70, vcc_hi, v1
	v_xor_b32_e32 v1, vcc_lo, v1
	v_and_b32_e32 v3, v3, v1
	v_lshlrev_b32_e32 v1, 29, v2
	v_cmp_gt_i64_e32 vcc, 0, v[0:1]
	v_not_b32_e32 v1, v1
	v_ashrrev_i32_e32 v1, 31, v1
	v_and_b32_e32 v68, v68, v70
	v_xor_b32_e32 v70, vcc_hi, v1
	v_xor_b32_e32 v1, vcc_lo, v1
	v_and_b32_e32 v3, v3, v1
	v_lshlrev_b32_e32 v1, 28, v2
	v_cmp_gt_i64_e32 vcc, 0, v[0:1]
	v_not_b32_e32 v1, v1
	v_ashrrev_i32_e32 v1, 31, v1
	v_and_b32_e32 v68, v68, v70
	;; [unrolled: 8-line block ×5, first 2 shown]
	v_xor_b32_e32 v70, vcc_hi, v1
	v_xor_b32_e32 v1, vcc_lo, v1
	v_and_b32_e32 v68, v68, v70
	v_and_b32_e32 v70, v3, v1
	v_lshlrev_b32_e32 v1, 24, v2
	v_cmp_gt_i64_e32 vcc, 0, v[0:1]
	v_not_b32_e32 v1, v1
	v_ashrrev_i32_e32 v1, 31, v1
	v_xor_b32_e32 v2, vcc_hi, v1
	v_xor_b32_e32 v1, vcc_lo, v1
	; wave barrier
	ds_read_b32 v66, v69 offset:32
	v_and_b32_e32 v3, v68, v2
	v_and_b32_e32 v2, v70, v1
	v_mbcnt_lo_u32_b32 v1, v2, 0
	v_mbcnt_hi_u32_b32 v68, v3, v1
	v_cmp_eq_u32_e32 vcc, 0, v68
	v_cmp_ne_u64_e64 s[0:1], 0, v[2:3]
	s_and_b64 s[4:5], s[0:1], vcc
	; wave barrier
	s_and_saveexec_b64 s[0:1], s[4:5]
	s_cbranch_execz .LBB224_167
; %bb.166:
	v_bcnt_u32_b32 v1, v2, 0
	v_bcnt_u32_b32 v1, v3, v1
	s_waitcnt lgkmcnt(0)
	v_add_u32_e32 v1, v66, v1
	ds_write_b32 v69, v1 offset:32
.LBB224_167:
	s_or_b64 exec, exec, s[0:1]
	s_waitcnt vmcnt(0)
	v_lshrrev_b32_e32 v1, s52, v36
	v_and_b32_e32 v2, s16, v1
	v_lshl_add_u32 v1, v2, 3, v2
	v_add_lshl_u32 v72, v16, v1, 2
	v_and_b32_e32 v1, 1, v2
	v_add_co_u32_e32 v3, vcc, -1, v1
	v_addc_co_u32_e64 v70, s[0:1], 0, -1, vcc
	v_cmp_ne_u32_e32 vcc, 0, v1
	v_xor_b32_e32 v1, vcc_hi, v70
	v_and_b32_e32 v70, exec_hi, v1
	v_lshlrev_b32_e32 v1, 30, v2
	v_xor_b32_e32 v3, vcc_lo, v3
	v_cmp_gt_i64_e32 vcc, 0, v[0:1]
	v_not_b32_e32 v1, v1
	v_ashrrev_i32_e32 v1, 31, v1
	v_and_b32_e32 v3, exec_lo, v3
	v_xor_b32_e32 v71, vcc_hi, v1
	v_xor_b32_e32 v1, vcc_lo, v1
	v_and_b32_e32 v3, v3, v1
	v_lshlrev_b32_e32 v1, 29, v2
	v_cmp_gt_i64_e32 vcc, 0, v[0:1]
	v_not_b32_e32 v1, v1
	v_ashrrev_i32_e32 v1, 31, v1
	v_and_b32_e32 v70, v70, v71
	v_xor_b32_e32 v71, vcc_hi, v1
	v_xor_b32_e32 v1, vcc_lo, v1
	v_and_b32_e32 v3, v3, v1
	v_lshlrev_b32_e32 v1, 28, v2
	v_cmp_gt_i64_e32 vcc, 0, v[0:1]
	v_not_b32_e32 v1, v1
	v_ashrrev_i32_e32 v1, 31, v1
	v_and_b32_e32 v70, v70, v71
	;; [unrolled: 8-line block ×5, first 2 shown]
	v_xor_b32_e32 v71, vcc_hi, v1
	v_xor_b32_e32 v1, vcc_lo, v1
	v_and_b32_e32 v3, v3, v1
	v_lshlrev_b32_e32 v1, 24, v2
	v_cmp_gt_i64_e32 vcc, 0, v[0:1]
	v_not_b32_e32 v0, v1
	v_ashrrev_i32_e32 v0, 31, v0
	v_xor_b32_e32 v1, vcc_hi, v0
	v_xor_b32_e32 v0, vcc_lo, v0
	; wave barrier
	ds_read_b32 v16, v72 offset:32
	v_and_b32_e32 v70, v70, v71
	v_and_b32_e32 v0, v3, v0
	;; [unrolled: 1-line block ×3, first 2 shown]
	v_mbcnt_lo_u32_b32 v2, v0, 0
	v_mbcnt_hi_u32_b32 v71, v1, v2
	v_cmp_eq_u32_e32 vcc, 0, v71
	v_cmp_ne_u64_e64 s[0:1], 0, v[0:1]
	v_add_u32_e32 v73, 32, v5
	s_and_b64 s[4:5], s[0:1], vcc
	; wave barrier
	s_and_saveexec_b64 s[0:1], s[4:5]
	s_cbranch_execz .LBB224_169
; %bb.168:
	v_bcnt_u32_b32 v0, v0, 0
	v_bcnt_u32_b32 v0, v1, v0
	s_waitcnt lgkmcnt(0)
	v_add_u32_e32 v0, v16, v0
	ds_write_b32 v72, v0 offset:32
.LBB224_169:
	s_or_b64 exec, exec, s[0:1]
	; wave barrier
	s_waitcnt lgkmcnt(0)
	s_barrier
	ds_read2_b32 v[2:3], v5 offset0:8 offset1:9
	ds_read2_b32 v[0:1], v73 offset0:2 offset1:3
	ds_read_b32 v70, v73 offset:16
	s_waitcnt lgkmcnt(1)
	v_add3_u32 v74, v3, v2, v0
	s_waitcnt lgkmcnt(0)
	v_add3_u32 v70, v74, v1, v70
	v_and_b32_e32 v74, 15, v4
	v_cmp_ne_u32_e32 vcc, 0, v74
	v_mov_b32_dpp v75, v70 row_shr:1 row_mask:0xf bank_mask:0xf
	v_cndmask_b32_e32 v75, 0, v75, vcc
	v_add_u32_e32 v70, v75, v70
	v_cmp_lt_u32_e32 vcc, 1, v74
	s_nop 0
	v_mov_b32_dpp v75, v70 row_shr:2 row_mask:0xf bank_mask:0xf
	v_cndmask_b32_e32 v75, 0, v75, vcc
	v_add_u32_e32 v70, v70, v75
	v_cmp_lt_u32_e32 vcc, 3, v74
	s_nop 0
	v_mov_b32_dpp v75, v70 row_shr:4 row_mask:0xf bank_mask:0xf
	v_cndmask_b32_e32 v75, 0, v75, vcc
	v_add_u32_e32 v70, v70, v75
	v_cmp_lt_u32_e32 vcc, 7, v74
	s_nop 0
	v_mov_b32_dpp v75, v70 row_shr:8 row_mask:0xf bank_mask:0xf
	v_cndmask_b32_e32 v74, 0, v75, vcc
	v_add_u32_e32 v70, v70, v74
	v_bfe_i32 v75, v4, 4, 1
	v_cmp_lt_u32_e32 vcc, 31, v4
	v_mov_b32_dpp v74, v70 row_bcast:15 row_mask:0xf bank_mask:0xf
	v_and_b32_e32 v74, v75, v74
	v_add_u32_e32 v70, v70, v74
	v_lshrrev_b32_e32 v75, 6, v18
	s_nop 0
	v_mov_b32_dpp v74, v70 row_bcast:31 row_mask:0xf bank_mask:0xf
	v_cndmask_b32_e32 v74, 0, v74, vcc
	v_add_u32_e32 v74, v70, v74
	v_and_b32_e32 v70, 0x3c0, v18
	v_min_u32_e32 v70, 0x1c0, v70
	v_or_b32_e32 v70, 63, v70
	v_cmp_eq_u32_e32 vcc, v70, v18
	s_and_saveexec_b64 s[0:1], vcc
	s_cbranch_execz .LBB224_171
; %bb.170:
	v_lshlrev_b32_e32 v70, 2, v75
	ds_write_b32 v70, v74
.LBB224_171:
	s_or_b64 exec, exec, s[0:1]
	v_cmp_gt_u32_e32 vcc, 8, v18
	v_lshlrev_b32_e32 v70, 2, v18
	s_waitcnt lgkmcnt(0)
	s_barrier
	s_and_saveexec_b64 s[0:1], vcc
	s_cbranch_execz .LBB224_173
; %bb.172:
	ds_read_b32 v76, v70
	v_and_b32_e32 v77, 7, v4
	v_cmp_ne_u32_e32 vcc, 0, v77
	s_waitcnt lgkmcnt(0)
	v_mov_b32_dpp v78, v76 row_shr:1 row_mask:0xf bank_mask:0xf
	v_cndmask_b32_e32 v78, 0, v78, vcc
	v_add_u32_e32 v76, v78, v76
	v_cmp_lt_u32_e32 vcc, 1, v77
	s_nop 0
	v_mov_b32_dpp v78, v76 row_shr:2 row_mask:0xf bank_mask:0xf
	v_cndmask_b32_e32 v78, 0, v78, vcc
	v_add_u32_e32 v76, v76, v78
	v_cmp_lt_u32_e32 vcc, 3, v77
	s_nop 0
	v_mov_b32_dpp v78, v76 row_shr:4 row_mask:0xf bank_mask:0xf
	v_cndmask_b32_e32 v77, 0, v78, vcc
	v_add_u32_e32 v76, v76, v77
	ds_write_b32 v70, v76
.LBB224_173:
	s_or_b64 exec, exec, s[0:1]
	v_cmp_lt_u32_e32 vcc, 63, v18
	v_mov_b32_e32 v76, 0
	s_waitcnt lgkmcnt(0)
	s_barrier
	s_and_saveexec_b64 s[0:1], vcc
	s_cbranch_execz .LBB224_175
; %bb.174:
	v_lshl_add_u32 v75, v75, 2, -4
	ds_read_b32 v76, v75
.LBB224_175:
	s_or_b64 exec, exec, s[0:1]
	v_add_u32_e32 v75, -1, v4
	v_and_b32_e32 v77, 64, v4
	v_cmp_lt_i32_e32 vcc, v75, v77
	v_cndmask_b32_e32 v75, v75, v4, vcc
	s_waitcnt lgkmcnt(0)
	v_add_u32_e32 v74, v76, v74
	v_lshlrev_b32_e32 v75, 2, v75
	ds_bpermute_b32 v74, v75, v74
	v_cmp_eq_u32_e32 vcc, 0, v4
	s_movk_i32 s0, 0x100
	s_waitcnt lgkmcnt(0)
	v_cndmask_b32_e32 v4, v74, v76, vcc
	v_cmp_ne_u32_e32 vcc, 0, v18
	v_cndmask_b32_e32 v4, 0, v4, vcc
	v_add_u32_e32 v2, v4, v2
	v_add_u32_e32 v3, v2, v3
	;; [unrolled: 1-line block ×4, first 2 shown]
	ds_write2_b32 v5, v4, v2 offset0:8 offset1:9
	ds_write2_b32 v73, v3, v0 offset0:2 offset1:3
	ds_write_b32 v73, v1 offset:16
	s_waitcnt lgkmcnt(0)
	s_barrier
	ds_read_b32 v74, v9 offset:32
	ds_read_b32 v9, v11 offset:32
	;; [unrolled: 1-line block ×16, first 2 shown]
	v_cmp_gt_u32_e32 vcc, s0, v18
                                        ; implicit-def: $vgpr52
                                        ; implicit-def: $vgpr55
	s_and_saveexec_b64 s[4:5], vcc
	s_cbranch_execz .LBB224_179
; %bb.176:
	v_mul_u32_u24_e32 v0, 9, v18
	v_lshlrev_b32_e32 v1, 2, v0
	ds_read_b32 v52, v1 offset:32
	s_movk_i32 s0, 0xff
	v_cmp_ne_u32_e64 s[0:1], s0, v18
	v_mov_b32_e32 v0, 0x2000
	s_and_saveexec_b64 s[10:11], s[0:1]
	s_cbranch_execz .LBB224_178
; %bb.177:
	ds_read_b32 v0, v1 offset:68
.LBB224_178:
	s_or_b64 exec, exec, s[10:11]
	s_waitcnt lgkmcnt(0)
	v_sub_u32_e32 v55, v0, v52
.LBB224_179:
	s_or_b64 exec, exec, s[4:5]
	s_waitcnt lgkmcnt(0)
	s_barrier
	s_and_saveexec_b64 s[4:5], vcc
	s_cbranch_execz .LBB224_189
; %bb.180:
	v_lshl_or_b32 v0, s6, 8, v18
	v_mov_b32_e32 v1, 0
	v_lshlrev_b64 v[2:3], 2, v[0:1]
	v_mov_b32_e32 v37, s57
	v_add_co_u32_e64 v2, s[0:1], s56, v2
	v_addc_co_u32_e64 v3, s[0:1], v37, v3, s[0:1]
	v_or_b32_e32 v0, 2.0, v55
	s_mov_b64 s[10:11], 0
	s_brev_b32 s17, 1
	s_mov_b32 s18, s6
	v_mov_b32_e32 v58, 0
	global_store_dword v[2:3], v0, off
                                        ; implicit-def: $sgpr0_sgpr1
	s_branch .LBB224_183
.LBB224_181:                            ;   in Loop: Header=BB224_183 Depth=1
	s_or_b64 exec, exec, s[14:15]
.LBB224_182:                            ;   in Loop: Header=BB224_183 Depth=1
	s_or_b64 exec, exec, s[12:13]
	v_and_b32_e32 v4, 0x3fffffff, v69
	v_add_u32_e32 v58, v4, v58
	v_cmp_eq_u32_e64 s[0:1], s17, v0
	s_and_b64 s[12:13], exec, s[0:1]
	s_or_b64 s[10:11], s[12:13], s[10:11]
	s_andn2_b64 exec, exec, s[10:11]
	s_cbranch_execz .LBB224_188
.LBB224_183:                            ; =>This Loop Header: Depth=1
                                        ;     Child Loop BB224_186 Depth 2
	s_or_b64 s[0:1], s[0:1], exec
	s_cmp_eq_u32 s18, 0
	s_cbranch_scc1 .LBB224_187
; %bb.184:                              ;   in Loop: Header=BB224_183 Depth=1
	s_add_i32 s18, s18, -1
	v_lshl_or_b32 v0, s18, 8, v18
	v_lshlrev_b64 v[4:5], 2, v[0:1]
	v_add_co_u32_e64 v4, s[0:1], s56, v4
	v_addc_co_u32_e64 v5, s[0:1], v37, v5, s[0:1]
	global_load_dword v69, v[4:5], off glc
	s_waitcnt vmcnt(0)
	v_and_b32_e32 v0, -2.0, v69
	v_cmp_eq_u32_e64 s[0:1], 0, v0
	s_and_saveexec_b64 s[12:13], s[0:1]
	s_cbranch_execz .LBB224_182
; %bb.185:                              ;   in Loop: Header=BB224_183 Depth=1
	s_mov_b64 s[14:15], 0
.LBB224_186:                            ;   Parent Loop BB224_183 Depth=1
                                        ; =>  This Inner Loop Header: Depth=2
	global_load_dword v69, v[4:5], off glc
	s_waitcnt vmcnt(0)
	v_and_b32_e32 v0, -2.0, v69
	v_cmp_ne_u32_e64 s[0:1], 0, v0
	s_or_b64 s[14:15], s[0:1], s[14:15]
	s_andn2_b64 exec, exec, s[14:15]
	s_cbranch_execnz .LBB224_186
	s_branch .LBB224_181
.LBB224_187:                            ;   in Loop: Header=BB224_183 Depth=1
                                        ; implicit-def: $sgpr18
	s_and_b64 s[12:13], exec, s[0:1]
	s_or_b64 s[10:11], s[12:13], s[10:11]
	s_andn2_b64 exec, exec, s[10:11]
	s_cbranch_execnz .LBB224_183
.LBB224_188:
	s_or_b64 exec, exec, s[10:11]
	v_add_u32_e32 v0, v58, v55
	v_or_b32_e32 v0, 0x80000000, v0
	global_store_dword v[2:3], v0, off
	global_load_dword v0, v70, s[48:49]
	v_sub_u32_e32 v1, v58, v52
	s_waitcnt vmcnt(0)
	v_add_u32_e32 v0, v1, v0
	ds_write_b32 v70, v0
.LBB224_189:
	s_or_b64 exec, exec, s[4:5]
	v_add_u32_e32 v58, v74, v6
	s_movk_i32 s4, 0x400
	v_add_u32_e32 v37, 0x400, v70
	v_add3_u32 v61, v71, v61, v16
	v_add3_u32 v64, v68, v64, v66
	;; [unrolled: 1-line block ×15, first 2 shown]
	s_mov_b32 s5, 0
	s_mov_b32 s10, 3
	s_movk_i32 s11, 0x200
	s_movk_i32 s12, 0x600
	v_mov_b32_e32 v17, 0
	v_mov_b32_e32 v38, s43
	s_mov_b32 s13, 0
                                        ; implicit-def: $vgpr0
.LBB224_190:                            ; =>This Inner Loop Header: Depth=1
	v_add_u32_e32 v16, s5, v58
	v_add_u32_e32 v39, s5, v69
	;; [unrolled: 1-line block ×16, first 2 shown]
	v_min_u32_e32 v16, 0x800, v16
	v_min_u32_e32 v39, 0x800, v39
	;; [unrolled: 1-line block ×16, first 2 shown]
	v_lshlrev_b32_e32 v16, 2, v16
	v_lshlrev_b32_e32 v39, 2, v39
	;; [unrolled: 1-line block ×16, first 2 shown]
	ds_write_b32 v16, v21 offset:1024
	ds_write_b32 v39, v22 offset:1024
	;; [unrolled: 1-line block ×16, first 2 shown]
	s_waitcnt lgkmcnt(0)
	s_barrier
	ds_read_b32 v39, v70 offset:1024
	v_add_u32_e32 v73, s13, v18
	s_add_i32 s14, s10, -3
	s_add_i32 s15, s10, -2
	s_add_i32 s17, s10, -1
	s_waitcnt lgkmcnt(0)
	v_lshrrev_b32_e32 v16, s52, v39
	v_and_b32_e32 v42, s16, v16
	v_lshlrev_b32_e32 v16, 2, v42
	ds_read_b32 v16, v16
	s_addk_i32 s13, 0x800
	s_addk_i32 s5, 0xf800
	s_waitcnt lgkmcnt(0)
	v_add_u32_e32 v16, v73, v16
	v_lshlrev_b64 v[40:41], 2, v[16:17]
	v_add_co_u32_e64 v40, s[0:1], s42, v40
	v_addc_co_u32_e64 v41, s[0:1], v38, v41, s[0:1]
	global_store_dword v[40:41], v39, off
	s_set_gpr_idx_on s14, gpr_idx(DST)
	v_mov_b32_e32 v0, v42
	s_set_gpr_idx_off
	ds_read_b32 v39, v37 offset:2048
	s_waitcnt lgkmcnt(0)
	v_lshrrev_b32_e32 v16, s52, v39
	v_and_b32_e32 v42, s16, v16
	v_lshlrev_b32_e32 v16, 2, v42
	ds_read_b32 v16, v16
	s_waitcnt lgkmcnt(0)
	v_add3_u32 v16, v73, v16, s11
	v_lshlrev_b64 v[40:41], 2, v[16:17]
	v_add_co_u32_e64 v40, s[0:1], s42, v40
	v_addc_co_u32_e64 v41, s[0:1], v38, v41, s[0:1]
	global_store_dword v[40:41], v39, off
	s_set_gpr_idx_on s15, gpr_idx(DST)
	v_mov_b32_e32 v0, v42
	s_set_gpr_idx_off
	ds_read_b32 v39, v37 offset:4096
	s_waitcnt lgkmcnt(0)
	v_lshrrev_b32_e32 v16, s52, v39
	v_and_b32_e32 v42, s16, v16
	v_lshlrev_b32_e32 v16, 2, v42
	ds_read_b32 v16, v16
	s_waitcnt lgkmcnt(0)
	v_add3_u32 v16, v73, v16, s4
	;; [unrolled: 15-line block ×3, first 2 shown]
	v_lshlrev_b64 v[40:41], 2, v[16:17]
	v_add_co_u32_e64 v40, s[0:1], s42, v40
	v_addc_co_u32_e64 v41, s[0:1], v38, v41, s[0:1]
	global_store_dword v[40:41], v39, off
	s_set_gpr_idx_on s10, gpr_idx(DST)
	v_mov_b32_e32 v0, v42
	s_set_gpr_idx_off
	s_add_i32 s10, s10, 4
	s_cmpk_lg_i32 s5, 0xe000
	s_barrier
	s_cbranch_scc1 .LBB224_190
; %bb.191:
	s_lshl_b64 s[0:1], s[8:9], 3
	s_add_u32 s0, s44, s0
	s_addc_u32 s1, s45, s1
	v_lshlrev_b32_e32 v16, 3, v20
	v_mov_b32_e32 v17, s1
	v_add_co_u32_e64 v16, s[0:1], s0, v16
	v_addc_co_u32_e64 v17, s[0:1], 0, v17, s[0:1]
	v_lshlrev_b32_e32 v19, 3, v19
	v_add_co_u32_e64 v34, s[0:1], v16, v19
	v_addc_co_u32_e64 v35, s[0:1], 0, v17, s[0:1]
	s_movk_i32 s0, 0x1000
	v_add_co_u32_e64 v50, s[0:1], s0, v34
	v_addc_co_u32_e64 v51, s[0:1], 0, v35, s[0:1]
	global_load_dwordx2 v[16:17], v[34:35], off
	global_load_dwordx2 v[20:21], v[34:35], off offset:512
	global_load_dwordx2 v[22:23], v[34:35], off offset:1024
	;; [unrolled: 1-line block ×7, first 2 shown]
	s_nop 0
	global_load_dwordx2 v[34:35], v[50:51], off
	global_load_dwordx2 v[36:37], v[50:51], off offset:512
	global_load_dwordx2 v[38:39], v[50:51], off offset:1024
	;; [unrolled: 1-line block ×7, first 2 shown]
	v_lshlrev_b32_e32 v19, 3, v18
	s_mov_b32 s4, 0
	v_add_u32_e32 v70, 0x400, v19
	s_mov_b32 s5, 1
	s_movk_i32 s8, 0x200
	v_mov_b32_e32 v51, 0
	v_mov_b32_e32 v71, v18
	s_waitcnt vmcnt(0)
.LBB224_192:                            ; =>This Inner Loop Header: Depth=1
	v_add_u32_e32 v50, s4, v58
	v_add_u32_e32 v72, s4, v69
	;; [unrolled: 1-line block ×16, first 2 shown]
	v_min_u32_e32 v50, 0x400, v50
	s_add_i32 s0, s5, -1
	v_min_u32_e32 v72, 0x400, v72
	v_min_u32_e32 v73, 0x400, v73
	;; [unrolled: 1-line block ×15, first 2 shown]
	v_lshlrev_b32_e32 v50, 3, v50
	v_lshlrev_b32_e32 v72, 3, v72
	;; [unrolled: 1-line block ×16, first 2 shown]
	ds_write_b64 v50, v[16:17] offset:1024
	ds_write_b64 v72, v[20:21] offset:1024
	;; [unrolled: 1-line block ×16, first 2 shown]
	s_waitcnt lgkmcnt(0)
	s_barrier
	s_set_gpr_idx_on s0, gpr_idx(SRC0)
	v_mov_b32_e32 v50, v0
	s_set_gpr_idx_off
	v_lshlrev_b32_e32 v50, 2, v50
	ds_read_b32 v50, v50
	ds_read_b64 v[72:73], v19 offset:1024
	v_mov_b32_e32 v87, s47
	s_addk_i32 s4, 0xfc00
	s_waitcnt lgkmcnt(1)
	v_add_u32_e32 v50, v71, v50
	v_lshlrev_b64 v[74:75], 3, v[50:51]
	v_add_co_u32_e64 v74, s[0:1], s46, v74
	v_addc_co_u32_e64 v75, s[0:1], v87, v75, s[0:1]
	s_waitcnt lgkmcnt(0)
	global_store_dwordx2 v[74:75], v[72:73], off
	s_set_gpr_idx_on s5, gpr_idx(SRC0)
	v_mov_b32_e32 v50, v0
	s_set_gpr_idx_off
	v_lshlrev_b32_e32 v50, 2, v50
	ds_read_b32 v50, v50
	ds_read_b64 v[72:73], v70 offset:4096
	s_add_i32 s5, s5, 2
	s_cmpk_lg_i32 s4, 0xe000
	s_waitcnt lgkmcnt(1)
	v_add3_u32 v50, v71, v50, s8
	v_lshlrev_b64 v[74:75], 3, v[50:51]
	v_add_co_u32_e64 v74, s[0:1], s46, v74
	v_add_u32_e32 v71, 0x400, v71
	v_addc_co_u32_e64 v75, s[0:1], v87, v75, s[0:1]
	s_waitcnt lgkmcnt(0)
	global_store_dwordx2 v[74:75], v[72:73], off
	s_barrier
	s_cbranch_scc1 .LBB224_192
; %bb.193:
	s_add_i32 s7, s7, -1
	s_cmp_eq_u32 s7, s6
	s_cselect_b64 s[0:1], -1, 0
	s_and_b64 s[4:5], vcc, s[0:1]
                                        ; implicit-def: $vgpr2
	s_and_saveexec_b64 s[0:1], s[4:5]
; %bb.194:
	v_add_u32_e32 v2, v52, v55
	s_or_b64 s[2:3], s[2:3], exec
; %bb.195:
	s_or_b64 exec, exec, s[0:1]
.LBB224_196:
	s_and_saveexec_b64 s[0:1], s[2:3]
	s_cbranch_execnz .LBB224_198
; %bb.197:
	s_endpgm
.LBB224_198:
	v_lshlrev_b32_e32 v3, 2, v18
	ds_read_b32 v3, v3
	v_mov_b32_e32 v19, 0
	v_lshlrev_b64 v[0:1], 2, v[18:19]
	v_mov_b32_e32 v4, s51
	v_add_co_u32_e32 v0, vcc, s50, v0
	v_addc_co_u32_e32 v1, vcc, v4, v1, vcc
	s_waitcnt lgkmcnt(0)
	v_add_u32_e32 v2, v3, v2
	global_store_dword v[0:1], v2, off
	s_endpgm
	.section	.rodata,"a",@progbits
	.p2align	6, 0x0
	.amdhsa_kernel _ZN7rocprim17ROCPRIM_400000_NS6detail17trampoline_kernelINS0_14default_configENS1_35radix_sort_onesweep_config_selectorIjN6thrust23THRUST_200600_302600_NS5tupleIffNS6_9null_typeES8_S8_S8_S8_S8_S8_S8_EEEEZZNS1_29radix_sort_onesweep_iterationIS3_Lb0ENS6_6detail15normal_iteratorINS6_10device_ptrIjEEEESG_NSD_INSE_IS9_EEEESI_jNS0_19identity_decomposerENS1_16block_id_wrapperIjLb0EEEEE10hipError_tT1_PNSt15iterator_traitsISN_E10value_typeET2_T3_PNSO_IST_E10value_typeET4_T5_PSY_SZ_PNS1_23onesweep_lookback_stateEbbT6_jjT7_P12ihipStream_tbENKUlT_T0_SN_SS_E_clIPjSG_PS9_SI_EEDaS16_S17_SN_SS_EUlS16_E_NS1_11comp_targetILNS1_3genE4ELNS1_11target_archE910ELNS1_3gpuE8ELNS1_3repE0EEENS1_47radix_sort_onesweep_sort_config_static_selectorELNS0_4arch9wavefront6targetE1EEEvSN_
		.amdhsa_group_segment_fixed_size 10280
		.amdhsa_private_segment_fixed_size 0
		.amdhsa_kernarg_size 344
		.amdhsa_user_sgpr_count 6
		.amdhsa_user_sgpr_private_segment_buffer 1
		.amdhsa_user_sgpr_dispatch_ptr 0
		.amdhsa_user_sgpr_queue_ptr 0
		.amdhsa_user_sgpr_kernarg_segment_ptr 1
		.amdhsa_user_sgpr_dispatch_id 0
		.amdhsa_user_sgpr_flat_scratch_init 0
		.amdhsa_user_sgpr_kernarg_preload_length 0
		.amdhsa_user_sgpr_kernarg_preload_offset 0
		.amdhsa_user_sgpr_private_segment_size 0
		.amdhsa_uses_dynamic_stack 0
		.amdhsa_system_sgpr_private_segment_wavefront_offset 0
		.amdhsa_system_sgpr_workgroup_id_x 1
		.amdhsa_system_sgpr_workgroup_id_y 0
		.amdhsa_system_sgpr_workgroup_id_z 0
		.amdhsa_system_sgpr_workgroup_info 0
		.amdhsa_system_vgpr_workitem_id 2
		.amdhsa_next_free_vgpr 88
		.amdhsa_next_free_sgpr 69
		.amdhsa_accum_offset 88
		.amdhsa_reserve_vcc 1
		.amdhsa_reserve_flat_scratch 0
		.amdhsa_float_round_mode_32 0
		.amdhsa_float_round_mode_16_64 0
		.amdhsa_float_denorm_mode_32 3
		.amdhsa_float_denorm_mode_16_64 3
		.amdhsa_dx10_clamp 1
		.amdhsa_ieee_mode 1
		.amdhsa_fp16_overflow 0
		.amdhsa_tg_split 0
		.amdhsa_exception_fp_ieee_invalid_op 0
		.amdhsa_exception_fp_denorm_src 0
		.amdhsa_exception_fp_ieee_div_zero 0
		.amdhsa_exception_fp_ieee_overflow 0
		.amdhsa_exception_fp_ieee_underflow 0
		.amdhsa_exception_fp_ieee_inexact 0
		.amdhsa_exception_int_div_zero 0
	.end_amdhsa_kernel
	.section	.text._ZN7rocprim17ROCPRIM_400000_NS6detail17trampoline_kernelINS0_14default_configENS1_35radix_sort_onesweep_config_selectorIjN6thrust23THRUST_200600_302600_NS5tupleIffNS6_9null_typeES8_S8_S8_S8_S8_S8_S8_EEEEZZNS1_29radix_sort_onesweep_iterationIS3_Lb0ENS6_6detail15normal_iteratorINS6_10device_ptrIjEEEESG_NSD_INSE_IS9_EEEESI_jNS0_19identity_decomposerENS1_16block_id_wrapperIjLb0EEEEE10hipError_tT1_PNSt15iterator_traitsISN_E10value_typeET2_T3_PNSO_IST_E10value_typeET4_T5_PSY_SZ_PNS1_23onesweep_lookback_stateEbbT6_jjT7_P12ihipStream_tbENKUlT_T0_SN_SS_E_clIPjSG_PS9_SI_EEDaS16_S17_SN_SS_EUlS16_E_NS1_11comp_targetILNS1_3genE4ELNS1_11target_archE910ELNS1_3gpuE8ELNS1_3repE0EEENS1_47radix_sort_onesweep_sort_config_static_selectorELNS0_4arch9wavefront6targetE1EEEvSN_,"axG",@progbits,_ZN7rocprim17ROCPRIM_400000_NS6detail17trampoline_kernelINS0_14default_configENS1_35radix_sort_onesweep_config_selectorIjN6thrust23THRUST_200600_302600_NS5tupleIffNS6_9null_typeES8_S8_S8_S8_S8_S8_S8_EEEEZZNS1_29radix_sort_onesweep_iterationIS3_Lb0ENS6_6detail15normal_iteratorINS6_10device_ptrIjEEEESG_NSD_INSE_IS9_EEEESI_jNS0_19identity_decomposerENS1_16block_id_wrapperIjLb0EEEEE10hipError_tT1_PNSt15iterator_traitsISN_E10value_typeET2_T3_PNSO_IST_E10value_typeET4_T5_PSY_SZ_PNS1_23onesweep_lookback_stateEbbT6_jjT7_P12ihipStream_tbENKUlT_T0_SN_SS_E_clIPjSG_PS9_SI_EEDaS16_S17_SN_SS_EUlS16_E_NS1_11comp_targetILNS1_3genE4ELNS1_11target_archE910ELNS1_3gpuE8ELNS1_3repE0EEENS1_47radix_sort_onesweep_sort_config_static_selectorELNS0_4arch9wavefront6targetE1EEEvSN_,comdat
.Lfunc_end224:
	.size	_ZN7rocprim17ROCPRIM_400000_NS6detail17trampoline_kernelINS0_14default_configENS1_35radix_sort_onesweep_config_selectorIjN6thrust23THRUST_200600_302600_NS5tupleIffNS6_9null_typeES8_S8_S8_S8_S8_S8_S8_EEEEZZNS1_29radix_sort_onesweep_iterationIS3_Lb0ENS6_6detail15normal_iteratorINS6_10device_ptrIjEEEESG_NSD_INSE_IS9_EEEESI_jNS0_19identity_decomposerENS1_16block_id_wrapperIjLb0EEEEE10hipError_tT1_PNSt15iterator_traitsISN_E10value_typeET2_T3_PNSO_IST_E10value_typeET4_T5_PSY_SZ_PNS1_23onesweep_lookback_stateEbbT6_jjT7_P12ihipStream_tbENKUlT_T0_SN_SS_E_clIPjSG_PS9_SI_EEDaS16_S17_SN_SS_EUlS16_E_NS1_11comp_targetILNS1_3genE4ELNS1_11target_archE910ELNS1_3gpuE8ELNS1_3repE0EEENS1_47radix_sort_onesweep_sort_config_static_selectorELNS0_4arch9wavefront6targetE1EEEvSN_, .Lfunc_end224-_ZN7rocprim17ROCPRIM_400000_NS6detail17trampoline_kernelINS0_14default_configENS1_35radix_sort_onesweep_config_selectorIjN6thrust23THRUST_200600_302600_NS5tupleIffNS6_9null_typeES8_S8_S8_S8_S8_S8_S8_EEEEZZNS1_29radix_sort_onesweep_iterationIS3_Lb0ENS6_6detail15normal_iteratorINS6_10device_ptrIjEEEESG_NSD_INSE_IS9_EEEESI_jNS0_19identity_decomposerENS1_16block_id_wrapperIjLb0EEEEE10hipError_tT1_PNSt15iterator_traitsISN_E10value_typeET2_T3_PNSO_IST_E10value_typeET4_T5_PSY_SZ_PNS1_23onesweep_lookback_stateEbbT6_jjT7_P12ihipStream_tbENKUlT_T0_SN_SS_E_clIPjSG_PS9_SI_EEDaS16_S17_SN_SS_EUlS16_E_NS1_11comp_targetILNS1_3genE4ELNS1_11target_archE910ELNS1_3gpuE8ELNS1_3repE0EEENS1_47radix_sort_onesweep_sort_config_static_selectorELNS0_4arch9wavefront6targetE1EEEvSN_
                                        ; -- End function
	.section	.AMDGPU.csdata,"",@progbits
; Kernel info:
; codeLenInByte = 20304
; NumSgprs: 73
; NumVgprs: 88
; NumAgprs: 0
; TotalNumVgprs: 88
; ScratchSize: 0
; MemoryBound: 0
; FloatMode: 240
; IeeeMode: 1
; LDSByteSize: 10280 bytes/workgroup (compile time only)
; SGPRBlocks: 9
; VGPRBlocks: 10
; NumSGPRsForWavesPerEU: 73
; NumVGPRsForWavesPerEU: 88
; AccumOffset: 88
; Occupancy: 5
; WaveLimiterHint : 1
; COMPUTE_PGM_RSRC2:SCRATCH_EN: 0
; COMPUTE_PGM_RSRC2:USER_SGPR: 6
; COMPUTE_PGM_RSRC2:TRAP_HANDLER: 0
; COMPUTE_PGM_RSRC2:TGID_X_EN: 1
; COMPUTE_PGM_RSRC2:TGID_Y_EN: 0
; COMPUTE_PGM_RSRC2:TGID_Z_EN: 0
; COMPUTE_PGM_RSRC2:TIDIG_COMP_CNT: 2
; COMPUTE_PGM_RSRC3_GFX90A:ACCUM_OFFSET: 21
; COMPUTE_PGM_RSRC3_GFX90A:TG_SPLIT: 0
	.section	.text._ZN7rocprim17ROCPRIM_400000_NS6detail17trampoline_kernelINS0_14default_configENS1_35radix_sort_onesweep_config_selectorIjN6thrust23THRUST_200600_302600_NS5tupleIffNS6_9null_typeES8_S8_S8_S8_S8_S8_S8_EEEEZZNS1_29radix_sort_onesweep_iterationIS3_Lb0ENS6_6detail15normal_iteratorINS6_10device_ptrIjEEEESG_NSD_INSE_IS9_EEEESI_jNS0_19identity_decomposerENS1_16block_id_wrapperIjLb0EEEEE10hipError_tT1_PNSt15iterator_traitsISN_E10value_typeET2_T3_PNSO_IST_E10value_typeET4_T5_PSY_SZ_PNS1_23onesweep_lookback_stateEbbT6_jjT7_P12ihipStream_tbENKUlT_T0_SN_SS_E_clIPjSG_PS9_SI_EEDaS16_S17_SN_SS_EUlS16_E_NS1_11comp_targetILNS1_3genE3ELNS1_11target_archE908ELNS1_3gpuE7ELNS1_3repE0EEENS1_47radix_sort_onesweep_sort_config_static_selectorELNS0_4arch9wavefront6targetE1EEEvSN_,"axG",@progbits,_ZN7rocprim17ROCPRIM_400000_NS6detail17trampoline_kernelINS0_14default_configENS1_35radix_sort_onesweep_config_selectorIjN6thrust23THRUST_200600_302600_NS5tupleIffNS6_9null_typeES8_S8_S8_S8_S8_S8_S8_EEEEZZNS1_29radix_sort_onesweep_iterationIS3_Lb0ENS6_6detail15normal_iteratorINS6_10device_ptrIjEEEESG_NSD_INSE_IS9_EEEESI_jNS0_19identity_decomposerENS1_16block_id_wrapperIjLb0EEEEE10hipError_tT1_PNSt15iterator_traitsISN_E10value_typeET2_T3_PNSO_IST_E10value_typeET4_T5_PSY_SZ_PNS1_23onesweep_lookback_stateEbbT6_jjT7_P12ihipStream_tbENKUlT_T0_SN_SS_E_clIPjSG_PS9_SI_EEDaS16_S17_SN_SS_EUlS16_E_NS1_11comp_targetILNS1_3genE3ELNS1_11target_archE908ELNS1_3gpuE7ELNS1_3repE0EEENS1_47radix_sort_onesweep_sort_config_static_selectorELNS0_4arch9wavefront6targetE1EEEvSN_,comdat
	.protected	_ZN7rocprim17ROCPRIM_400000_NS6detail17trampoline_kernelINS0_14default_configENS1_35radix_sort_onesweep_config_selectorIjN6thrust23THRUST_200600_302600_NS5tupleIffNS6_9null_typeES8_S8_S8_S8_S8_S8_S8_EEEEZZNS1_29radix_sort_onesweep_iterationIS3_Lb0ENS6_6detail15normal_iteratorINS6_10device_ptrIjEEEESG_NSD_INSE_IS9_EEEESI_jNS0_19identity_decomposerENS1_16block_id_wrapperIjLb0EEEEE10hipError_tT1_PNSt15iterator_traitsISN_E10value_typeET2_T3_PNSO_IST_E10value_typeET4_T5_PSY_SZ_PNS1_23onesweep_lookback_stateEbbT6_jjT7_P12ihipStream_tbENKUlT_T0_SN_SS_E_clIPjSG_PS9_SI_EEDaS16_S17_SN_SS_EUlS16_E_NS1_11comp_targetILNS1_3genE3ELNS1_11target_archE908ELNS1_3gpuE7ELNS1_3repE0EEENS1_47radix_sort_onesweep_sort_config_static_selectorELNS0_4arch9wavefront6targetE1EEEvSN_ ; -- Begin function _ZN7rocprim17ROCPRIM_400000_NS6detail17trampoline_kernelINS0_14default_configENS1_35radix_sort_onesweep_config_selectorIjN6thrust23THRUST_200600_302600_NS5tupleIffNS6_9null_typeES8_S8_S8_S8_S8_S8_S8_EEEEZZNS1_29radix_sort_onesweep_iterationIS3_Lb0ENS6_6detail15normal_iteratorINS6_10device_ptrIjEEEESG_NSD_INSE_IS9_EEEESI_jNS0_19identity_decomposerENS1_16block_id_wrapperIjLb0EEEEE10hipError_tT1_PNSt15iterator_traitsISN_E10value_typeET2_T3_PNSO_IST_E10value_typeET4_T5_PSY_SZ_PNS1_23onesweep_lookback_stateEbbT6_jjT7_P12ihipStream_tbENKUlT_T0_SN_SS_E_clIPjSG_PS9_SI_EEDaS16_S17_SN_SS_EUlS16_E_NS1_11comp_targetILNS1_3genE3ELNS1_11target_archE908ELNS1_3gpuE7ELNS1_3repE0EEENS1_47radix_sort_onesweep_sort_config_static_selectorELNS0_4arch9wavefront6targetE1EEEvSN_
	.globl	_ZN7rocprim17ROCPRIM_400000_NS6detail17trampoline_kernelINS0_14default_configENS1_35radix_sort_onesweep_config_selectorIjN6thrust23THRUST_200600_302600_NS5tupleIffNS6_9null_typeES8_S8_S8_S8_S8_S8_S8_EEEEZZNS1_29radix_sort_onesweep_iterationIS3_Lb0ENS6_6detail15normal_iteratorINS6_10device_ptrIjEEEESG_NSD_INSE_IS9_EEEESI_jNS0_19identity_decomposerENS1_16block_id_wrapperIjLb0EEEEE10hipError_tT1_PNSt15iterator_traitsISN_E10value_typeET2_T3_PNSO_IST_E10value_typeET4_T5_PSY_SZ_PNS1_23onesweep_lookback_stateEbbT6_jjT7_P12ihipStream_tbENKUlT_T0_SN_SS_E_clIPjSG_PS9_SI_EEDaS16_S17_SN_SS_EUlS16_E_NS1_11comp_targetILNS1_3genE3ELNS1_11target_archE908ELNS1_3gpuE7ELNS1_3repE0EEENS1_47radix_sort_onesweep_sort_config_static_selectorELNS0_4arch9wavefront6targetE1EEEvSN_
	.p2align	8
	.type	_ZN7rocprim17ROCPRIM_400000_NS6detail17trampoline_kernelINS0_14default_configENS1_35radix_sort_onesweep_config_selectorIjN6thrust23THRUST_200600_302600_NS5tupleIffNS6_9null_typeES8_S8_S8_S8_S8_S8_S8_EEEEZZNS1_29radix_sort_onesweep_iterationIS3_Lb0ENS6_6detail15normal_iteratorINS6_10device_ptrIjEEEESG_NSD_INSE_IS9_EEEESI_jNS0_19identity_decomposerENS1_16block_id_wrapperIjLb0EEEEE10hipError_tT1_PNSt15iterator_traitsISN_E10value_typeET2_T3_PNSO_IST_E10value_typeET4_T5_PSY_SZ_PNS1_23onesweep_lookback_stateEbbT6_jjT7_P12ihipStream_tbENKUlT_T0_SN_SS_E_clIPjSG_PS9_SI_EEDaS16_S17_SN_SS_EUlS16_E_NS1_11comp_targetILNS1_3genE3ELNS1_11target_archE908ELNS1_3gpuE7ELNS1_3repE0EEENS1_47radix_sort_onesweep_sort_config_static_selectorELNS0_4arch9wavefront6targetE1EEEvSN_,@function
_ZN7rocprim17ROCPRIM_400000_NS6detail17trampoline_kernelINS0_14default_configENS1_35radix_sort_onesweep_config_selectorIjN6thrust23THRUST_200600_302600_NS5tupleIffNS6_9null_typeES8_S8_S8_S8_S8_S8_S8_EEEEZZNS1_29radix_sort_onesweep_iterationIS3_Lb0ENS6_6detail15normal_iteratorINS6_10device_ptrIjEEEESG_NSD_INSE_IS9_EEEESI_jNS0_19identity_decomposerENS1_16block_id_wrapperIjLb0EEEEE10hipError_tT1_PNSt15iterator_traitsISN_E10value_typeET2_T3_PNSO_IST_E10value_typeET4_T5_PSY_SZ_PNS1_23onesweep_lookback_stateEbbT6_jjT7_P12ihipStream_tbENKUlT_T0_SN_SS_E_clIPjSG_PS9_SI_EEDaS16_S17_SN_SS_EUlS16_E_NS1_11comp_targetILNS1_3genE3ELNS1_11target_archE908ELNS1_3gpuE7ELNS1_3repE0EEENS1_47radix_sort_onesweep_sort_config_static_selectorELNS0_4arch9wavefront6targetE1EEEvSN_: ; @_ZN7rocprim17ROCPRIM_400000_NS6detail17trampoline_kernelINS0_14default_configENS1_35radix_sort_onesweep_config_selectorIjN6thrust23THRUST_200600_302600_NS5tupleIffNS6_9null_typeES8_S8_S8_S8_S8_S8_S8_EEEEZZNS1_29radix_sort_onesweep_iterationIS3_Lb0ENS6_6detail15normal_iteratorINS6_10device_ptrIjEEEESG_NSD_INSE_IS9_EEEESI_jNS0_19identity_decomposerENS1_16block_id_wrapperIjLb0EEEEE10hipError_tT1_PNSt15iterator_traitsISN_E10value_typeET2_T3_PNSO_IST_E10value_typeET4_T5_PSY_SZ_PNS1_23onesweep_lookback_stateEbbT6_jjT7_P12ihipStream_tbENKUlT_T0_SN_SS_E_clIPjSG_PS9_SI_EEDaS16_S17_SN_SS_EUlS16_E_NS1_11comp_targetILNS1_3genE3ELNS1_11target_archE908ELNS1_3gpuE7ELNS1_3repE0EEENS1_47radix_sort_onesweep_sort_config_static_selectorELNS0_4arch9wavefront6targetE1EEEvSN_
; %bb.0:
	.section	.rodata,"a",@progbits
	.p2align	6, 0x0
	.amdhsa_kernel _ZN7rocprim17ROCPRIM_400000_NS6detail17trampoline_kernelINS0_14default_configENS1_35radix_sort_onesweep_config_selectorIjN6thrust23THRUST_200600_302600_NS5tupleIffNS6_9null_typeES8_S8_S8_S8_S8_S8_S8_EEEEZZNS1_29radix_sort_onesweep_iterationIS3_Lb0ENS6_6detail15normal_iteratorINS6_10device_ptrIjEEEESG_NSD_INSE_IS9_EEEESI_jNS0_19identity_decomposerENS1_16block_id_wrapperIjLb0EEEEE10hipError_tT1_PNSt15iterator_traitsISN_E10value_typeET2_T3_PNSO_IST_E10value_typeET4_T5_PSY_SZ_PNS1_23onesweep_lookback_stateEbbT6_jjT7_P12ihipStream_tbENKUlT_T0_SN_SS_E_clIPjSG_PS9_SI_EEDaS16_S17_SN_SS_EUlS16_E_NS1_11comp_targetILNS1_3genE3ELNS1_11target_archE908ELNS1_3gpuE7ELNS1_3repE0EEENS1_47radix_sort_onesweep_sort_config_static_selectorELNS0_4arch9wavefront6targetE1EEEvSN_
		.amdhsa_group_segment_fixed_size 0
		.amdhsa_private_segment_fixed_size 0
		.amdhsa_kernarg_size 88
		.amdhsa_user_sgpr_count 6
		.amdhsa_user_sgpr_private_segment_buffer 1
		.amdhsa_user_sgpr_dispatch_ptr 0
		.amdhsa_user_sgpr_queue_ptr 0
		.amdhsa_user_sgpr_kernarg_segment_ptr 1
		.amdhsa_user_sgpr_dispatch_id 0
		.amdhsa_user_sgpr_flat_scratch_init 0
		.amdhsa_user_sgpr_kernarg_preload_length 0
		.amdhsa_user_sgpr_kernarg_preload_offset 0
		.amdhsa_user_sgpr_private_segment_size 0
		.amdhsa_uses_dynamic_stack 0
		.amdhsa_system_sgpr_private_segment_wavefront_offset 0
		.amdhsa_system_sgpr_workgroup_id_x 1
		.amdhsa_system_sgpr_workgroup_id_y 0
		.amdhsa_system_sgpr_workgroup_id_z 0
		.amdhsa_system_sgpr_workgroup_info 0
		.amdhsa_system_vgpr_workitem_id 0
		.amdhsa_next_free_vgpr 1
		.amdhsa_next_free_sgpr 0
		.amdhsa_accum_offset 4
		.amdhsa_reserve_vcc 0
		.amdhsa_reserve_flat_scratch 0
		.amdhsa_float_round_mode_32 0
		.amdhsa_float_round_mode_16_64 0
		.amdhsa_float_denorm_mode_32 3
		.amdhsa_float_denorm_mode_16_64 3
		.amdhsa_dx10_clamp 1
		.amdhsa_ieee_mode 1
		.amdhsa_fp16_overflow 0
		.amdhsa_tg_split 0
		.amdhsa_exception_fp_ieee_invalid_op 0
		.amdhsa_exception_fp_denorm_src 0
		.amdhsa_exception_fp_ieee_div_zero 0
		.amdhsa_exception_fp_ieee_overflow 0
		.amdhsa_exception_fp_ieee_underflow 0
		.amdhsa_exception_fp_ieee_inexact 0
		.amdhsa_exception_int_div_zero 0
	.end_amdhsa_kernel
	.section	.text._ZN7rocprim17ROCPRIM_400000_NS6detail17trampoline_kernelINS0_14default_configENS1_35radix_sort_onesweep_config_selectorIjN6thrust23THRUST_200600_302600_NS5tupleIffNS6_9null_typeES8_S8_S8_S8_S8_S8_S8_EEEEZZNS1_29radix_sort_onesweep_iterationIS3_Lb0ENS6_6detail15normal_iteratorINS6_10device_ptrIjEEEESG_NSD_INSE_IS9_EEEESI_jNS0_19identity_decomposerENS1_16block_id_wrapperIjLb0EEEEE10hipError_tT1_PNSt15iterator_traitsISN_E10value_typeET2_T3_PNSO_IST_E10value_typeET4_T5_PSY_SZ_PNS1_23onesweep_lookback_stateEbbT6_jjT7_P12ihipStream_tbENKUlT_T0_SN_SS_E_clIPjSG_PS9_SI_EEDaS16_S17_SN_SS_EUlS16_E_NS1_11comp_targetILNS1_3genE3ELNS1_11target_archE908ELNS1_3gpuE7ELNS1_3repE0EEENS1_47radix_sort_onesweep_sort_config_static_selectorELNS0_4arch9wavefront6targetE1EEEvSN_,"axG",@progbits,_ZN7rocprim17ROCPRIM_400000_NS6detail17trampoline_kernelINS0_14default_configENS1_35radix_sort_onesweep_config_selectorIjN6thrust23THRUST_200600_302600_NS5tupleIffNS6_9null_typeES8_S8_S8_S8_S8_S8_S8_EEEEZZNS1_29radix_sort_onesweep_iterationIS3_Lb0ENS6_6detail15normal_iteratorINS6_10device_ptrIjEEEESG_NSD_INSE_IS9_EEEESI_jNS0_19identity_decomposerENS1_16block_id_wrapperIjLb0EEEEE10hipError_tT1_PNSt15iterator_traitsISN_E10value_typeET2_T3_PNSO_IST_E10value_typeET4_T5_PSY_SZ_PNS1_23onesweep_lookback_stateEbbT6_jjT7_P12ihipStream_tbENKUlT_T0_SN_SS_E_clIPjSG_PS9_SI_EEDaS16_S17_SN_SS_EUlS16_E_NS1_11comp_targetILNS1_3genE3ELNS1_11target_archE908ELNS1_3gpuE7ELNS1_3repE0EEENS1_47radix_sort_onesweep_sort_config_static_selectorELNS0_4arch9wavefront6targetE1EEEvSN_,comdat
.Lfunc_end225:
	.size	_ZN7rocprim17ROCPRIM_400000_NS6detail17trampoline_kernelINS0_14default_configENS1_35radix_sort_onesweep_config_selectorIjN6thrust23THRUST_200600_302600_NS5tupleIffNS6_9null_typeES8_S8_S8_S8_S8_S8_S8_EEEEZZNS1_29radix_sort_onesweep_iterationIS3_Lb0ENS6_6detail15normal_iteratorINS6_10device_ptrIjEEEESG_NSD_INSE_IS9_EEEESI_jNS0_19identity_decomposerENS1_16block_id_wrapperIjLb0EEEEE10hipError_tT1_PNSt15iterator_traitsISN_E10value_typeET2_T3_PNSO_IST_E10value_typeET4_T5_PSY_SZ_PNS1_23onesweep_lookback_stateEbbT6_jjT7_P12ihipStream_tbENKUlT_T0_SN_SS_E_clIPjSG_PS9_SI_EEDaS16_S17_SN_SS_EUlS16_E_NS1_11comp_targetILNS1_3genE3ELNS1_11target_archE908ELNS1_3gpuE7ELNS1_3repE0EEENS1_47radix_sort_onesweep_sort_config_static_selectorELNS0_4arch9wavefront6targetE1EEEvSN_, .Lfunc_end225-_ZN7rocprim17ROCPRIM_400000_NS6detail17trampoline_kernelINS0_14default_configENS1_35radix_sort_onesweep_config_selectorIjN6thrust23THRUST_200600_302600_NS5tupleIffNS6_9null_typeES8_S8_S8_S8_S8_S8_S8_EEEEZZNS1_29radix_sort_onesweep_iterationIS3_Lb0ENS6_6detail15normal_iteratorINS6_10device_ptrIjEEEESG_NSD_INSE_IS9_EEEESI_jNS0_19identity_decomposerENS1_16block_id_wrapperIjLb0EEEEE10hipError_tT1_PNSt15iterator_traitsISN_E10value_typeET2_T3_PNSO_IST_E10value_typeET4_T5_PSY_SZ_PNS1_23onesweep_lookback_stateEbbT6_jjT7_P12ihipStream_tbENKUlT_T0_SN_SS_E_clIPjSG_PS9_SI_EEDaS16_S17_SN_SS_EUlS16_E_NS1_11comp_targetILNS1_3genE3ELNS1_11target_archE908ELNS1_3gpuE7ELNS1_3repE0EEENS1_47radix_sort_onesweep_sort_config_static_selectorELNS0_4arch9wavefront6targetE1EEEvSN_
                                        ; -- End function
	.section	.AMDGPU.csdata,"",@progbits
; Kernel info:
; codeLenInByte = 0
; NumSgprs: 4
; NumVgprs: 0
; NumAgprs: 0
; TotalNumVgprs: 0
; ScratchSize: 0
; MemoryBound: 0
; FloatMode: 240
; IeeeMode: 1
; LDSByteSize: 0 bytes/workgroup (compile time only)
; SGPRBlocks: 0
; VGPRBlocks: 0
; NumSGPRsForWavesPerEU: 4
; NumVGPRsForWavesPerEU: 1
; AccumOffset: 4
; Occupancy: 8
; WaveLimiterHint : 0
; COMPUTE_PGM_RSRC2:SCRATCH_EN: 0
; COMPUTE_PGM_RSRC2:USER_SGPR: 6
; COMPUTE_PGM_RSRC2:TRAP_HANDLER: 0
; COMPUTE_PGM_RSRC2:TGID_X_EN: 1
; COMPUTE_PGM_RSRC2:TGID_Y_EN: 0
; COMPUTE_PGM_RSRC2:TGID_Z_EN: 0
; COMPUTE_PGM_RSRC2:TIDIG_COMP_CNT: 0
; COMPUTE_PGM_RSRC3_GFX90A:ACCUM_OFFSET: 0
; COMPUTE_PGM_RSRC3_GFX90A:TG_SPLIT: 0
	.section	.text._ZN7rocprim17ROCPRIM_400000_NS6detail17trampoline_kernelINS0_14default_configENS1_35radix_sort_onesweep_config_selectorIjN6thrust23THRUST_200600_302600_NS5tupleIffNS6_9null_typeES8_S8_S8_S8_S8_S8_S8_EEEEZZNS1_29radix_sort_onesweep_iterationIS3_Lb0ENS6_6detail15normal_iteratorINS6_10device_ptrIjEEEESG_NSD_INSE_IS9_EEEESI_jNS0_19identity_decomposerENS1_16block_id_wrapperIjLb0EEEEE10hipError_tT1_PNSt15iterator_traitsISN_E10value_typeET2_T3_PNSO_IST_E10value_typeET4_T5_PSY_SZ_PNS1_23onesweep_lookback_stateEbbT6_jjT7_P12ihipStream_tbENKUlT_T0_SN_SS_E_clIPjSG_PS9_SI_EEDaS16_S17_SN_SS_EUlS16_E_NS1_11comp_targetILNS1_3genE10ELNS1_11target_archE1201ELNS1_3gpuE5ELNS1_3repE0EEENS1_47radix_sort_onesweep_sort_config_static_selectorELNS0_4arch9wavefront6targetE1EEEvSN_,"axG",@progbits,_ZN7rocprim17ROCPRIM_400000_NS6detail17trampoline_kernelINS0_14default_configENS1_35radix_sort_onesweep_config_selectorIjN6thrust23THRUST_200600_302600_NS5tupleIffNS6_9null_typeES8_S8_S8_S8_S8_S8_S8_EEEEZZNS1_29radix_sort_onesweep_iterationIS3_Lb0ENS6_6detail15normal_iteratorINS6_10device_ptrIjEEEESG_NSD_INSE_IS9_EEEESI_jNS0_19identity_decomposerENS1_16block_id_wrapperIjLb0EEEEE10hipError_tT1_PNSt15iterator_traitsISN_E10value_typeET2_T3_PNSO_IST_E10value_typeET4_T5_PSY_SZ_PNS1_23onesweep_lookback_stateEbbT6_jjT7_P12ihipStream_tbENKUlT_T0_SN_SS_E_clIPjSG_PS9_SI_EEDaS16_S17_SN_SS_EUlS16_E_NS1_11comp_targetILNS1_3genE10ELNS1_11target_archE1201ELNS1_3gpuE5ELNS1_3repE0EEENS1_47radix_sort_onesweep_sort_config_static_selectorELNS0_4arch9wavefront6targetE1EEEvSN_,comdat
	.protected	_ZN7rocprim17ROCPRIM_400000_NS6detail17trampoline_kernelINS0_14default_configENS1_35radix_sort_onesweep_config_selectorIjN6thrust23THRUST_200600_302600_NS5tupleIffNS6_9null_typeES8_S8_S8_S8_S8_S8_S8_EEEEZZNS1_29radix_sort_onesweep_iterationIS3_Lb0ENS6_6detail15normal_iteratorINS6_10device_ptrIjEEEESG_NSD_INSE_IS9_EEEESI_jNS0_19identity_decomposerENS1_16block_id_wrapperIjLb0EEEEE10hipError_tT1_PNSt15iterator_traitsISN_E10value_typeET2_T3_PNSO_IST_E10value_typeET4_T5_PSY_SZ_PNS1_23onesweep_lookback_stateEbbT6_jjT7_P12ihipStream_tbENKUlT_T0_SN_SS_E_clIPjSG_PS9_SI_EEDaS16_S17_SN_SS_EUlS16_E_NS1_11comp_targetILNS1_3genE10ELNS1_11target_archE1201ELNS1_3gpuE5ELNS1_3repE0EEENS1_47radix_sort_onesweep_sort_config_static_selectorELNS0_4arch9wavefront6targetE1EEEvSN_ ; -- Begin function _ZN7rocprim17ROCPRIM_400000_NS6detail17trampoline_kernelINS0_14default_configENS1_35radix_sort_onesweep_config_selectorIjN6thrust23THRUST_200600_302600_NS5tupleIffNS6_9null_typeES8_S8_S8_S8_S8_S8_S8_EEEEZZNS1_29radix_sort_onesweep_iterationIS3_Lb0ENS6_6detail15normal_iteratorINS6_10device_ptrIjEEEESG_NSD_INSE_IS9_EEEESI_jNS0_19identity_decomposerENS1_16block_id_wrapperIjLb0EEEEE10hipError_tT1_PNSt15iterator_traitsISN_E10value_typeET2_T3_PNSO_IST_E10value_typeET4_T5_PSY_SZ_PNS1_23onesweep_lookback_stateEbbT6_jjT7_P12ihipStream_tbENKUlT_T0_SN_SS_E_clIPjSG_PS9_SI_EEDaS16_S17_SN_SS_EUlS16_E_NS1_11comp_targetILNS1_3genE10ELNS1_11target_archE1201ELNS1_3gpuE5ELNS1_3repE0EEENS1_47radix_sort_onesweep_sort_config_static_selectorELNS0_4arch9wavefront6targetE1EEEvSN_
	.globl	_ZN7rocprim17ROCPRIM_400000_NS6detail17trampoline_kernelINS0_14default_configENS1_35radix_sort_onesweep_config_selectorIjN6thrust23THRUST_200600_302600_NS5tupleIffNS6_9null_typeES8_S8_S8_S8_S8_S8_S8_EEEEZZNS1_29radix_sort_onesweep_iterationIS3_Lb0ENS6_6detail15normal_iteratorINS6_10device_ptrIjEEEESG_NSD_INSE_IS9_EEEESI_jNS0_19identity_decomposerENS1_16block_id_wrapperIjLb0EEEEE10hipError_tT1_PNSt15iterator_traitsISN_E10value_typeET2_T3_PNSO_IST_E10value_typeET4_T5_PSY_SZ_PNS1_23onesweep_lookback_stateEbbT6_jjT7_P12ihipStream_tbENKUlT_T0_SN_SS_E_clIPjSG_PS9_SI_EEDaS16_S17_SN_SS_EUlS16_E_NS1_11comp_targetILNS1_3genE10ELNS1_11target_archE1201ELNS1_3gpuE5ELNS1_3repE0EEENS1_47radix_sort_onesweep_sort_config_static_selectorELNS0_4arch9wavefront6targetE1EEEvSN_
	.p2align	8
	.type	_ZN7rocprim17ROCPRIM_400000_NS6detail17trampoline_kernelINS0_14default_configENS1_35radix_sort_onesweep_config_selectorIjN6thrust23THRUST_200600_302600_NS5tupleIffNS6_9null_typeES8_S8_S8_S8_S8_S8_S8_EEEEZZNS1_29radix_sort_onesweep_iterationIS3_Lb0ENS6_6detail15normal_iteratorINS6_10device_ptrIjEEEESG_NSD_INSE_IS9_EEEESI_jNS0_19identity_decomposerENS1_16block_id_wrapperIjLb0EEEEE10hipError_tT1_PNSt15iterator_traitsISN_E10value_typeET2_T3_PNSO_IST_E10value_typeET4_T5_PSY_SZ_PNS1_23onesweep_lookback_stateEbbT6_jjT7_P12ihipStream_tbENKUlT_T0_SN_SS_E_clIPjSG_PS9_SI_EEDaS16_S17_SN_SS_EUlS16_E_NS1_11comp_targetILNS1_3genE10ELNS1_11target_archE1201ELNS1_3gpuE5ELNS1_3repE0EEENS1_47radix_sort_onesweep_sort_config_static_selectorELNS0_4arch9wavefront6targetE1EEEvSN_,@function
_ZN7rocprim17ROCPRIM_400000_NS6detail17trampoline_kernelINS0_14default_configENS1_35radix_sort_onesweep_config_selectorIjN6thrust23THRUST_200600_302600_NS5tupleIffNS6_9null_typeES8_S8_S8_S8_S8_S8_S8_EEEEZZNS1_29radix_sort_onesweep_iterationIS3_Lb0ENS6_6detail15normal_iteratorINS6_10device_ptrIjEEEESG_NSD_INSE_IS9_EEEESI_jNS0_19identity_decomposerENS1_16block_id_wrapperIjLb0EEEEE10hipError_tT1_PNSt15iterator_traitsISN_E10value_typeET2_T3_PNSO_IST_E10value_typeET4_T5_PSY_SZ_PNS1_23onesweep_lookback_stateEbbT6_jjT7_P12ihipStream_tbENKUlT_T0_SN_SS_E_clIPjSG_PS9_SI_EEDaS16_S17_SN_SS_EUlS16_E_NS1_11comp_targetILNS1_3genE10ELNS1_11target_archE1201ELNS1_3gpuE5ELNS1_3repE0EEENS1_47radix_sort_onesweep_sort_config_static_selectorELNS0_4arch9wavefront6targetE1EEEvSN_: ; @_ZN7rocprim17ROCPRIM_400000_NS6detail17trampoline_kernelINS0_14default_configENS1_35radix_sort_onesweep_config_selectorIjN6thrust23THRUST_200600_302600_NS5tupleIffNS6_9null_typeES8_S8_S8_S8_S8_S8_S8_EEEEZZNS1_29radix_sort_onesweep_iterationIS3_Lb0ENS6_6detail15normal_iteratorINS6_10device_ptrIjEEEESG_NSD_INSE_IS9_EEEESI_jNS0_19identity_decomposerENS1_16block_id_wrapperIjLb0EEEEE10hipError_tT1_PNSt15iterator_traitsISN_E10value_typeET2_T3_PNSO_IST_E10value_typeET4_T5_PSY_SZ_PNS1_23onesweep_lookback_stateEbbT6_jjT7_P12ihipStream_tbENKUlT_T0_SN_SS_E_clIPjSG_PS9_SI_EEDaS16_S17_SN_SS_EUlS16_E_NS1_11comp_targetILNS1_3genE10ELNS1_11target_archE1201ELNS1_3gpuE5ELNS1_3repE0EEENS1_47radix_sort_onesweep_sort_config_static_selectorELNS0_4arch9wavefront6targetE1EEEvSN_
; %bb.0:
	.section	.rodata,"a",@progbits
	.p2align	6, 0x0
	.amdhsa_kernel _ZN7rocprim17ROCPRIM_400000_NS6detail17trampoline_kernelINS0_14default_configENS1_35radix_sort_onesweep_config_selectorIjN6thrust23THRUST_200600_302600_NS5tupleIffNS6_9null_typeES8_S8_S8_S8_S8_S8_S8_EEEEZZNS1_29radix_sort_onesweep_iterationIS3_Lb0ENS6_6detail15normal_iteratorINS6_10device_ptrIjEEEESG_NSD_INSE_IS9_EEEESI_jNS0_19identity_decomposerENS1_16block_id_wrapperIjLb0EEEEE10hipError_tT1_PNSt15iterator_traitsISN_E10value_typeET2_T3_PNSO_IST_E10value_typeET4_T5_PSY_SZ_PNS1_23onesweep_lookback_stateEbbT6_jjT7_P12ihipStream_tbENKUlT_T0_SN_SS_E_clIPjSG_PS9_SI_EEDaS16_S17_SN_SS_EUlS16_E_NS1_11comp_targetILNS1_3genE10ELNS1_11target_archE1201ELNS1_3gpuE5ELNS1_3repE0EEENS1_47radix_sort_onesweep_sort_config_static_selectorELNS0_4arch9wavefront6targetE1EEEvSN_
		.amdhsa_group_segment_fixed_size 0
		.amdhsa_private_segment_fixed_size 0
		.amdhsa_kernarg_size 88
		.amdhsa_user_sgpr_count 6
		.amdhsa_user_sgpr_private_segment_buffer 1
		.amdhsa_user_sgpr_dispatch_ptr 0
		.amdhsa_user_sgpr_queue_ptr 0
		.amdhsa_user_sgpr_kernarg_segment_ptr 1
		.amdhsa_user_sgpr_dispatch_id 0
		.amdhsa_user_sgpr_flat_scratch_init 0
		.amdhsa_user_sgpr_kernarg_preload_length 0
		.amdhsa_user_sgpr_kernarg_preload_offset 0
		.amdhsa_user_sgpr_private_segment_size 0
		.amdhsa_uses_dynamic_stack 0
		.amdhsa_system_sgpr_private_segment_wavefront_offset 0
		.amdhsa_system_sgpr_workgroup_id_x 1
		.amdhsa_system_sgpr_workgroup_id_y 0
		.amdhsa_system_sgpr_workgroup_id_z 0
		.amdhsa_system_sgpr_workgroup_info 0
		.amdhsa_system_vgpr_workitem_id 0
		.amdhsa_next_free_vgpr 1
		.amdhsa_next_free_sgpr 0
		.amdhsa_accum_offset 4
		.amdhsa_reserve_vcc 0
		.amdhsa_reserve_flat_scratch 0
		.amdhsa_float_round_mode_32 0
		.amdhsa_float_round_mode_16_64 0
		.amdhsa_float_denorm_mode_32 3
		.amdhsa_float_denorm_mode_16_64 3
		.amdhsa_dx10_clamp 1
		.amdhsa_ieee_mode 1
		.amdhsa_fp16_overflow 0
		.amdhsa_tg_split 0
		.amdhsa_exception_fp_ieee_invalid_op 0
		.amdhsa_exception_fp_denorm_src 0
		.amdhsa_exception_fp_ieee_div_zero 0
		.amdhsa_exception_fp_ieee_overflow 0
		.amdhsa_exception_fp_ieee_underflow 0
		.amdhsa_exception_fp_ieee_inexact 0
		.amdhsa_exception_int_div_zero 0
	.end_amdhsa_kernel
	.section	.text._ZN7rocprim17ROCPRIM_400000_NS6detail17trampoline_kernelINS0_14default_configENS1_35radix_sort_onesweep_config_selectorIjN6thrust23THRUST_200600_302600_NS5tupleIffNS6_9null_typeES8_S8_S8_S8_S8_S8_S8_EEEEZZNS1_29radix_sort_onesweep_iterationIS3_Lb0ENS6_6detail15normal_iteratorINS6_10device_ptrIjEEEESG_NSD_INSE_IS9_EEEESI_jNS0_19identity_decomposerENS1_16block_id_wrapperIjLb0EEEEE10hipError_tT1_PNSt15iterator_traitsISN_E10value_typeET2_T3_PNSO_IST_E10value_typeET4_T5_PSY_SZ_PNS1_23onesweep_lookback_stateEbbT6_jjT7_P12ihipStream_tbENKUlT_T0_SN_SS_E_clIPjSG_PS9_SI_EEDaS16_S17_SN_SS_EUlS16_E_NS1_11comp_targetILNS1_3genE10ELNS1_11target_archE1201ELNS1_3gpuE5ELNS1_3repE0EEENS1_47radix_sort_onesweep_sort_config_static_selectorELNS0_4arch9wavefront6targetE1EEEvSN_,"axG",@progbits,_ZN7rocprim17ROCPRIM_400000_NS6detail17trampoline_kernelINS0_14default_configENS1_35radix_sort_onesweep_config_selectorIjN6thrust23THRUST_200600_302600_NS5tupleIffNS6_9null_typeES8_S8_S8_S8_S8_S8_S8_EEEEZZNS1_29radix_sort_onesweep_iterationIS3_Lb0ENS6_6detail15normal_iteratorINS6_10device_ptrIjEEEESG_NSD_INSE_IS9_EEEESI_jNS0_19identity_decomposerENS1_16block_id_wrapperIjLb0EEEEE10hipError_tT1_PNSt15iterator_traitsISN_E10value_typeET2_T3_PNSO_IST_E10value_typeET4_T5_PSY_SZ_PNS1_23onesweep_lookback_stateEbbT6_jjT7_P12ihipStream_tbENKUlT_T0_SN_SS_E_clIPjSG_PS9_SI_EEDaS16_S17_SN_SS_EUlS16_E_NS1_11comp_targetILNS1_3genE10ELNS1_11target_archE1201ELNS1_3gpuE5ELNS1_3repE0EEENS1_47radix_sort_onesweep_sort_config_static_selectorELNS0_4arch9wavefront6targetE1EEEvSN_,comdat
.Lfunc_end226:
	.size	_ZN7rocprim17ROCPRIM_400000_NS6detail17trampoline_kernelINS0_14default_configENS1_35radix_sort_onesweep_config_selectorIjN6thrust23THRUST_200600_302600_NS5tupleIffNS6_9null_typeES8_S8_S8_S8_S8_S8_S8_EEEEZZNS1_29radix_sort_onesweep_iterationIS3_Lb0ENS6_6detail15normal_iteratorINS6_10device_ptrIjEEEESG_NSD_INSE_IS9_EEEESI_jNS0_19identity_decomposerENS1_16block_id_wrapperIjLb0EEEEE10hipError_tT1_PNSt15iterator_traitsISN_E10value_typeET2_T3_PNSO_IST_E10value_typeET4_T5_PSY_SZ_PNS1_23onesweep_lookback_stateEbbT6_jjT7_P12ihipStream_tbENKUlT_T0_SN_SS_E_clIPjSG_PS9_SI_EEDaS16_S17_SN_SS_EUlS16_E_NS1_11comp_targetILNS1_3genE10ELNS1_11target_archE1201ELNS1_3gpuE5ELNS1_3repE0EEENS1_47radix_sort_onesweep_sort_config_static_selectorELNS0_4arch9wavefront6targetE1EEEvSN_, .Lfunc_end226-_ZN7rocprim17ROCPRIM_400000_NS6detail17trampoline_kernelINS0_14default_configENS1_35radix_sort_onesweep_config_selectorIjN6thrust23THRUST_200600_302600_NS5tupleIffNS6_9null_typeES8_S8_S8_S8_S8_S8_S8_EEEEZZNS1_29radix_sort_onesweep_iterationIS3_Lb0ENS6_6detail15normal_iteratorINS6_10device_ptrIjEEEESG_NSD_INSE_IS9_EEEESI_jNS0_19identity_decomposerENS1_16block_id_wrapperIjLb0EEEEE10hipError_tT1_PNSt15iterator_traitsISN_E10value_typeET2_T3_PNSO_IST_E10value_typeET4_T5_PSY_SZ_PNS1_23onesweep_lookback_stateEbbT6_jjT7_P12ihipStream_tbENKUlT_T0_SN_SS_E_clIPjSG_PS9_SI_EEDaS16_S17_SN_SS_EUlS16_E_NS1_11comp_targetILNS1_3genE10ELNS1_11target_archE1201ELNS1_3gpuE5ELNS1_3repE0EEENS1_47radix_sort_onesweep_sort_config_static_selectorELNS0_4arch9wavefront6targetE1EEEvSN_
                                        ; -- End function
	.section	.AMDGPU.csdata,"",@progbits
; Kernel info:
; codeLenInByte = 0
; NumSgprs: 4
; NumVgprs: 0
; NumAgprs: 0
; TotalNumVgprs: 0
; ScratchSize: 0
; MemoryBound: 0
; FloatMode: 240
; IeeeMode: 1
; LDSByteSize: 0 bytes/workgroup (compile time only)
; SGPRBlocks: 0
; VGPRBlocks: 0
; NumSGPRsForWavesPerEU: 4
; NumVGPRsForWavesPerEU: 1
; AccumOffset: 4
; Occupancy: 8
; WaveLimiterHint : 0
; COMPUTE_PGM_RSRC2:SCRATCH_EN: 0
; COMPUTE_PGM_RSRC2:USER_SGPR: 6
; COMPUTE_PGM_RSRC2:TRAP_HANDLER: 0
; COMPUTE_PGM_RSRC2:TGID_X_EN: 1
; COMPUTE_PGM_RSRC2:TGID_Y_EN: 0
; COMPUTE_PGM_RSRC2:TGID_Z_EN: 0
; COMPUTE_PGM_RSRC2:TIDIG_COMP_CNT: 0
; COMPUTE_PGM_RSRC3_GFX90A:ACCUM_OFFSET: 0
; COMPUTE_PGM_RSRC3_GFX90A:TG_SPLIT: 0
	.section	.text._ZN7rocprim17ROCPRIM_400000_NS6detail17trampoline_kernelINS0_14default_configENS1_35radix_sort_onesweep_config_selectorIjN6thrust23THRUST_200600_302600_NS5tupleIffNS6_9null_typeES8_S8_S8_S8_S8_S8_S8_EEEEZZNS1_29radix_sort_onesweep_iterationIS3_Lb0ENS6_6detail15normal_iteratorINS6_10device_ptrIjEEEESG_NSD_INSE_IS9_EEEESI_jNS0_19identity_decomposerENS1_16block_id_wrapperIjLb0EEEEE10hipError_tT1_PNSt15iterator_traitsISN_E10value_typeET2_T3_PNSO_IST_E10value_typeET4_T5_PSY_SZ_PNS1_23onesweep_lookback_stateEbbT6_jjT7_P12ihipStream_tbENKUlT_T0_SN_SS_E_clIPjSG_PS9_SI_EEDaS16_S17_SN_SS_EUlS16_E_NS1_11comp_targetILNS1_3genE9ELNS1_11target_archE1100ELNS1_3gpuE3ELNS1_3repE0EEENS1_47radix_sort_onesweep_sort_config_static_selectorELNS0_4arch9wavefront6targetE1EEEvSN_,"axG",@progbits,_ZN7rocprim17ROCPRIM_400000_NS6detail17trampoline_kernelINS0_14default_configENS1_35radix_sort_onesweep_config_selectorIjN6thrust23THRUST_200600_302600_NS5tupleIffNS6_9null_typeES8_S8_S8_S8_S8_S8_S8_EEEEZZNS1_29radix_sort_onesweep_iterationIS3_Lb0ENS6_6detail15normal_iteratorINS6_10device_ptrIjEEEESG_NSD_INSE_IS9_EEEESI_jNS0_19identity_decomposerENS1_16block_id_wrapperIjLb0EEEEE10hipError_tT1_PNSt15iterator_traitsISN_E10value_typeET2_T3_PNSO_IST_E10value_typeET4_T5_PSY_SZ_PNS1_23onesweep_lookback_stateEbbT6_jjT7_P12ihipStream_tbENKUlT_T0_SN_SS_E_clIPjSG_PS9_SI_EEDaS16_S17_SN_SS_EUlS16_E_NS1_11comp_targetILNS1_3genE9ELNS1_11target_archE1100ELNS1_3gpuE3ELNS1_3repE0EEENS1_47radix_sort_onesweep_sort_config_static_selectorELNS0_4arch9wavefront6targetE1EEEvSN_,comdat
	.protected	_ZN7rocprim17ROCPRIM_400000_NS6detail17trampoline_kernelINS0_14default_configENS1_35radix_sort_onesweep_config_selectorIjN6thrust23THRUST_200600_302600_NS5tupleIffNS6_9null_typeES8_S8_S8_S8_S8_S8_S8_EEEEZZNS1_29radix_sort_onesweep_iterationIS3_Lb0ENS6_6detail15normal_iteratorINS6_10device_ptrIjEEEESG_NSD_INSE_IS9_EEEESI_jNS0_19identity_decomposerENS1_16block_id_wrapperIjLb0EEEEE10hipError_tT1_PNSt15iterator_traitsISN_E10value_typeET2_T3_PNSO_IST_E10value_typeET4_T5_PSY_SZ_PNS1_23onesweep_lookback_stateEbbT6_jjT7_P12ihipStream_tbENKUlT_T0_SN_SS_E_clIPjSG_PS9_SI_EEDaS16_S17_SN_SS_EUlS16_E_NS1_11comp_targetILNS1_3genE9ELNS1_11target_archE1100ELNS1_3gpuE3ELNS1_3repE0EEENS1_47radix_sort_onesweep_sort_config_static_selectorELNS0_4arch9wavefront6targetE1EEEvSN_ ; -- Begin function _ZN7rocprim17ROCPRIM_400000_NS6detail17trampoline_kernelINS0_14default_configENS1_35radix_sort_onesweep_config_selectorIjN6thrust23THRUST_200600_302600_NS5tupleIffNS6_9null_typeES8_S8_S8_S8_S8_S8_S8_EEEEZZNS1_29radix_sort_onesweep_iterationIS3_Lb0ENS6_6detail15normal_iteratorINS6_10device_ptrIjEEEESG_NSD_INSE_IS9_EEEESI_jNS0_19identity_decomposerENS1_16block_id_wrapperIjLb0EEEEE10hipError_tT1_PNSt15iterator_traitsISN_E10value_typeET2_T3_PNSO_IST_E10value_typeET4_T5_PSY_SZ_PNS1_23onesweep_lookback_stateEbbT6_jjT7_P12ihipStream_tbENKUlT_T0_SN_SS_E_clIPjSG_PS9_SI_EEDaS16_S17_SN_SS_EUlS16_E_NS1_11comp_targetILNS1_3genE9ELNS1_11target_archE1100ELNS1_3gpuE3ELNS1_3repE0EEENS1_47radix_sort_onesweep_sort_config_static_selectorELNS0_4arch9wavefront6targetE1EEEvSN_
	.globl	_ZN7rocprim17ROCPRIM_400000_NS6detail17trampoline_kernelINS0_14default_configENS1_35radix_sort_onesweep_config_selectorIjN6thrust23THRUST_200600_302600_NS5tupleIffNS6_9null_typeES8_S8_S8_S8_S8_S8_S8_EEEEZZNS1_29radix_sort_onesweep_iterationIS3_Lb0ENS6_6detail15normal_iteratorINS6_10device_ptrIjEEEESG_NSD_INSE_IS9_EEEESI_jNS0_19identity_decomposerENS1_16block_id_wrapperIjLb0EEEEE10hipError_tT1_PNSt15iterator_traitsISN_E10value_typeET2_T3_PNSO_IST_E10value_typeET4_T5_PSY_SZ_PNS1_23onesweep_lookback_stateEbbT6_jjT7_P12ihipStream_tbENKUlT_T0_SN_SS_E_clIPjSG_PS9_SI_EEDaS16_S17_SN_SS_EUlS16_E_NS1_11comp_targetILNS1_3genE9ELNS1_11target_archE1100ELNS1_3gpuE3ELNS1_3repE0EEENS1_47radix_sort_onesweep_sort_config_static_selectorELNS0_4arch9wavefront6targetE1EEEvSN_
	.p2align	8
	.type	_ZN7rocprim17ROCPRIM_400000_NS6detail17trampoline_kernelINS0_14default_configENS1_35radix_sort_onesweep_config_selectorIjN6thrust23THRUST_200600_302600_NS5tupleIffNS6_9null_typeES8_S8_S8_S8_S8_S8_S8_EEEEZZNS1_29radix_sort_onesweep_iterationIS3_Lb0ENS6_6detail15normal_iteratorINS6_10device_ptrIjEEEESG_NSD_INSE_IS9_EEEESI_jNS0_19identity_decomposerENS1_16block_id_wrapperIjLb0EEEEE10hipError_tT1_PNSt15iterator_traitsISN_E10value_typeET2_T3_PNSO_IST_E10value_typeET4_T5_PSY_SZ_PNS1_23onesweep_lookback_stateEbbT6_jjT7_P12ihipStream_tbENKUlT_T0_SN_SS_E_clIPjSG_PS9_SI_EEDaS16_S17_SN_SS_EUlS16_E_NS1_11comp_targetILNS1_3genE9ELNS1_11target_archE1100ELNS1_3gpuE3ELNS1_3repE0EEENS1_47radix_sort_onesweep_sort_config_static_selectorELNS0_4arch9wavefront6targetE1EEEvSN_,@function
_ZN7rocprim17ROCPRIM_400000_NS6detail17trampoline_kernelINS0_14default_configENS1_35radix_sort_onesweep_config_selectorIjN6thrust23THRUST_200600_302600_NS5tupleIffNS6_9null_typeES8_S8_S8_S8_S8_S8_S8_EEEEZZNS1_29radix_sort_onesweep_iterationIS3_Lb0ENS6_6detail15normal_iteratorINS6_10device_ptrIjEEEESG_NSD_INSE_IS9_EEEESI_jNS0_19identity_decomposerENS1_16block_id_wrapperIjLb0EEEEE10hipError_tT1_PNSt15iterator_traitsISN_E10value_typeET2_T3_PNSO_IST_E10value_typeET4_T5_PSY_SZ_PNS1_23onesweep_lookback_stateEbbT6_jjT7_P12ihipStream_tbENKUlT_T0_SN_SS_E_clIPjSG_PS9_SI_EEDaS16_S17_SN_SS_EUlS16_E_NS1_11comp_targetILNS1_3genE9ELNS1_11target_archE1100ELNS1_3gpuE3ELNS1_3repE0EEENS1_47radix_sort_onesweep_sort_config_static_selectorELNS0_4arch9wavefront6targetE1EEEvSN_: ; @_ZN7rocprim17ROCPRIM_400000_NS6detail17trampoline_kernelINS0_14default_configENS1_35radix_sort_onesweep_config_selectorIjN6thrust23THRUST_200600_302600_NS5tupleIffNS6_9null_typeES8_S8_S8_S8_S8_S8_S8_EEEEZZNS1_29radix_sort_onesweep_iterationIS3_Lb0ENS6_6detail15normal_iteratorINS6_10device_ptrIjEEEESG_NSD_INSE_IS9_EEEESI_jNS0_19identity_decomposerENS1_16block_id_wrapperIjLb0EEEEE10hipError_tT1_PNSt15iterator_traitsISN_E10value_typeET2_T3_PNSO_IST_E10value_typeET4_T5_PSY_SZ_PNS1_23onesweep_lookback_stateEbbT6_jjT7_P12ihipStream_tbENKUlT_T0_SN_SS_E_clIPjSG_PS9_SI_EEDaS16_S17_SN_SS_EUlS16_E_NS1_11comp_targetILNS1_3genE9ELNS1_11target_archE1100ELNS1_3gpuE3ELNS1_3repE0EEENS1_47radix_sort_onesweep_sort_config_static_selectorELNS0_4arch9wavefront6targetE1EEEvSN_
; %bb.0:
	.section	.rodata,"a",@progbits
	.p2align	6, 0x0
	.amdhsa_kernel _ZN7rocprim17ROCPRIM_400000_NS6detail17trampoline_kernelINS0_14default_configENS1_35radix_sort_onesweep_config_selectorIjN6thrust23THRUST_200600_302600_NS5tupleIffNS6_9null_typeES8_S8_S8_S8_S8_S8_S8_EEEEZZNS1_29radix_sort_onesweep_iterationIS3_Lb0ENS6_6detail15normal_iteratorINS6_10device_ptrIjEEEESG_NSD_INSE_IS9_EEEESI_jNS0_19identity_decomposerENS1_16block_id_wrapperIjLb0EEEEE10hipError_tT1_PNSt15iterator_traitsISN_E10value_typeET2_T3_PNSO_IST_E10value_typeET4_T5_PSY_SZ_PNS1_23onesweep_lookback_stateEbbT6_jjT7_P12ihipStream_tbENKUlT_T0_SN_SS_E_clIPjSG_PS9_SI_EEDaS16_S17_SN_SS_EUlS16_E_NS1_11comp_targetILNS1_3genE9ELNS1_11target_archE1100ELNS1_3gpuE3ELNS1_3repE0EEENS1_47radix_sort_onesweep_sort_config_static_selectorELNS0_4arch9wavefront6targetE1EEEvSN_
		.amdhsa_group_segment_fixed_size 0
		.amdhsa_private_segment_fixed_size 0
		.amdhsa_kernarg_size 88
		.amdhsa_user_sgpr_count 6
		.amdhsa_user_sgpr_private_segment_buffer 1
		.amdhsa_user_sgpr_dispatch_ptr 0
		.amdhsa_user_sgpr_queue_ptr 0
		.amdhsa_user_sgpr_kernarg_segment_ptr 1
		.amdhsa_user_sgpr_dispatch_id 0
		.amdhsa_user_sgpr_flat_scratch_init 0
		.amdhsa_user_sgpr_kernarg_preload_length 0
		.amdhsa_user_sgpr_kernarg_preload_offset 0
		.amdhsa_user_sgpr_private_segment_size 0
		.amdhsa_uses_dynamic_stack 0
		.amdhsa_system_sgpr_private_segment_wavefront_offset 0
		.amdhsa_system_sgpr_workgroup_id_x 1
		.amdhsa_system_sgpr_workgroup_id_y 0
		.amdhsa_system_sgpr_workgroup_id_z 0
		.amdhsa_system_sgpr_workgroup_info 0
		.amdhsa_system_vgpr_workitem_id 0
		.amdhsa_next_free_vgpr 1
		.amdhsa_next_free_sgpr 0
		.amdhsa_accum_offset 4
		.amdhsa_reserve_vcc 0
		.amdhsa_reserve_flat_scratch 0
		.amdhsa_float_round_mode_32 0
		.amdhsa_float_round_mode_16_64 0
		.amdhsa_float_denorm_mode_32 3
		.amdhsa_float_denorm_mode_16_64 3
		.amdhsa_dx10_clamp 1
		.amdhsa_ieee_mode 1
		.amdhsa_fp16_overflow 0
		.amdhsa_tg_split 0
		.amdhsa_exception_fp_ieee_invalid_op 0
		.amdhsa_exception_fp_denorm_src 0
		.amdhsa_exception_fp_ieee_div_zero 0
		.amdhsa_exception_fp_ieee_overflow 0
		.amdhsa_exception_fp_ieee_underflow 0
		.amdhsa_exception_fp_ieee_inexact 0
		.amdhsa_exception_int_div_zero 0
	.end_amdhsa_kernel
	.section	.text._ZN7rocprim17ROCPRIM_400000_NS6detail17trampoline_kernelINS0_14default_configENS1_35radix_sort_onesweep_config_selectorIjN6thrust23THRUST_200600_302600_NS5tupleIffNS6_9null_typeES8_S8_S8_S8_S8_S8_S8_EEEEZZNS1_29radix_sort_onesweep_iterationIS3_Lb0ENS6_6detail15normal_iteratorINS6_10device_ptrIjEEEESG_NSD_INSE_IS9_EEEESI_jNS0_19identity_decomposerENS1_16block_id_wrapperIjLb0EEEEE10hipError_tT1_PNSt15iterator_traitsISN_E10value_typeET2_T3_PNSO_IST_E10value_typeET4_T5_PSY_SZ_PNS1_23onesweep_lookback_stateEbbT6_jjT7_P12ihipStream_tbENKUlT_T0_SN_SS_E_clIPjSG_PS9_SI_EEDaS16_S17_SN_SS_EUlS16_E_NS1_11comp_targetILNS1_3genE9ELNS1_11target_archE1100ELNS1_3gpuE3ELNS1_3repE0EEENS1_47radix_sort_onesweep_sort_config_static_selectorELNS0_4arch9wavefront6targetE1EEEvSN_,"axG",@progbits,_ZN7rocprim17ROCPRIM_400000_NS6detail17trampoline_kernelINS0_14default_configENS1_35radix_sort_onesweep_config_selectorIjN6thrust23THRUST_200600_302600_NS5tupleIffNS6_9null_typeES8_S8_S8_S8_S8_S8_S8_EEEEZZNS1_29radix_sort_onesweep_iterationIS3_Lb0ENS6_6detail15normal_iteratorINS6_10device_ptrIjEEEESG_NSD_INSE_IS9_EEEESI_jNS0_19identity_decomposerENS1_16block_id_wrapperIjLb0EEEEE10hipError_tT1_PNSt15iterator_traitsISN_E10value_typeET2_T3_PNSO_IST_E10value_typeET4_T5_PSY_SZ_PNS1_23onesweep_lookback_stateEbbT6_jjT7_P12ihipStream_tbENKUlT_T0_SN_SS_E_clIPjSG_PS9_SI_EEDaS16_S17_SN_SS_EUlS16_E_NS1_11comp_targetILNS1_3genE9ELNS1_11target_archE1100ELNS1_3gpuE3ELNS1_3repE0EEENS1_47radix_sort_onesweep_sort_config_static_selectorELNS0_4arch9wavefront6targetE1EEEvSN_,comdat
.Lfunc_end227:
	.size	_ZN7rocprim17ROCPRIM_400000_NS6detail17trampoline_kernelINS0_14default_configENS1_35radix_sort_onesweep_config_selectorIjN6thrust23THRUST_200600_302600_NS5tupleIffNS6_9null_typeES8_S8_S8_S8_S8_S8_S8_EEEEZZNS1_29radix_sort_onesweep_iterationIS3_Lb0ENS6_6detail15normal_iteratorINS6_10device_ptrIjEEEESG_NSD_INSE_IS9_EEEESI_jNS0_19identity_decomposerENS1_16block_id_wrapperIjLb0EEEEE10hipError_tT1_PNSt15iterator_traitsISN_E10value_typeET2_T3_PNSO_IST_E10value_typeET4_T5_PSY_SZ_PNS1_23onesweep_lookback_stateEbbT6_jjT7_P12ihipStream_tbENKUlT_T0_SN_SS_E_clIPjSG_PS9_SI_EEDaS16_S17_SN_SS_EUlS16_E_NS1_11comp_targetILNS1_3genE9ELNS1_11target_archE1100ELNS1_3gpuE3ELNS1_3repE0EEENS1_47radix_sort_onesweep_sort_config_static_selectorELNS0_4arch9wavefront6targetE1EEEvSN_, .Lfunc_end227-_ZN7rocprim17ROCPRIM_400000_NS6detail17trampoline_kernelINS0_14default_configENS1_35radix_sort_onesweep_config_selectorIjN6thrust23THRUST_200600_302600_NS5tupleIffNS6_9null_typeES8_S8_S8_S8_S8_S8_S8_EEEEZZNS1_29radix_sort_onesweep_iterationIS3_Lb0ENS6_6detail15normal_iteratorINS6_10device_ptrIjEEEESG_NSD_INSE_IS9_EEEESI_jNS0_19identity_decomposerENS1_16block_id_wrapperIjLb0EEEEE10hipError_tT1_PNSt15iterator_traitsISN_E10value_typeET2_T3_PNSO_IST_E10value_typeET4_T5_PSY_SZ_PNS1_23onesweep_lookback_stateEbbT6_jjT7_P12ihipStream_tbENKUlT_T0_SN_SS_E_clIPjSG_PS9_SI_EEDaS16_S17_SN_SS_EUlS16_E_NS1_11comp_targetILNS1_3genE9ELNS1_11target_archE1100ELNS1_3gpuE3ELNS1_3repE0EEENS1_47radix_sort_onesweep_sort_config_static_selectorELNS0_4arch9wavefront6targetE1EEEvSN_
                                        ; -- End function
	.section	.AMDGPU.csdata,"",@progbits
; Kernel info:
; codeLenInByte = 0
; NumSgprs: 4
; NumVgprs: 0
; NumAgprs: 0
; TotalNumVgprs: 0
; ScratchSize: 0
; MemoryBound: 0
; FloatMode: 240
; IeeeMode: 1
; LDSByteSize: 0 bytes/workgroup (compile time only)
; SGPRBlocks: 0
; VGPRBlocks: 0
; NumSGPRsForWavesPerEU: 4
; NumVGPRsForWavesPerEU: 1
; AccumOffset: 4
; Occupancy: 8
; WaveLimiterHint : 0
; COMPUTE_PGM_RSRC2:SCRATCH_EN: 0
; COMPUTE_PGM_RSRC2:USER_SGPR: 6
; COMPUTE_PGM_RSRC2:TRAP_HANDLER: 0
; COMPUTE_PGM_RSRC2:TGID_X_EN: 1
; COMPUTE_PGM_RSRC2:TGID_Y_EN: 0
; COMPUTE_PGM_RSRC2:TGID_Z_EN: 0
; COMPUTE_PGM_RSRC2:TIDIG_COMP_CNT: 0
; COMPUTE_PGM_RSRC3_GFX90A:ACCUM_OFFSET: 0
; COMPUTE_PGM_RSRC3_GFX90A:TG_SPLIT: 0
	.section	.text._ZN7rocprim17ROCPRIM_400000_NS6detail17trampoline_kernelINS0_14default_configENS1_35radix_sort_onesweep_config_selectorIjN6thrust23THRUST_200600_302600_NS5tupleIffNS6_9null_typeES8_S8_S8_S8_S8_S8_S8_EEEEZZNS1_29radix_sort_onesweep_iterationIS3_Lb0ENS6_6detail15normal_iteratorINS6_10device_ptrIjEEEESG_NSD_INSE_IS9_EEEESI_jNS0_19identity_decomposerENS1_16block_id_wrapperIjLb0EEEEE10hipError_tT1_PNSt15iterator_traitsISN_E10value_typeET2_T3_PNSO_IST_E10value_typeET4_T5_PSY_SZ_PNS1_23onesweep_lookback_stateEbbT6_jjT7_P12ihipStream_tbENKUlT_T0_SN_SS_E_clIPjSG_PS9_SI_EEDaS16_S17_SN_SS_EUlS16_E_NS1_11comp_targetILNS1_3genE8ELNS1_11target_archE1030ELNS1_3gpuE2ELNS1_3repE0EEENS1_47radix_sort_onesweep_sort_config_static_selectorELNS0_4arch9wavefront6targetE1EEEvSN_,"axG",@progbits,_ZN7rocprim17ROCPRIM_400000_NS6detail17trampoline_kernelINS0_14default_configENS1_35radix_sort_onesweep_config_selectorIjN6thrust23THRUST_200600_302600_NS5tupleIffNS6_9null_typeES8_S8_S8_S8_S8_S8_S8_EEEEZZNS1_29radix_sort_onesweep_iterationIS3_Lb0ENS6_6detail15normal_iteratorINS6_10device_ptrIjEEEESG_NSD_INSE_IS9_EEEESI_jNS0_19identity_decomposerENS1_16block_id_wrapperIjLb0EEEEE10hipError_tT1_PNSt15iterator_traitsISN_E10value_typeET2_T3_PNSO_IST_E10value_typeET4_T5_PSY_SZ_PNS1_23onesweep_lookback_stateEbbT6_jjT7_P12ihipStream_tbENKUlT_T0_SN_SS_E_clIPjSG_PS9_SI_EEDaS16_S17_SN_SS_EUlS16_E_NS1_11comp_targetILNS1_3genE8ELNS1_11target_archE1030ELNS1_3gpuE2ELNS1_3repE0EEENS1_47radix_sort_onesweep_sort_config_static_selectorELNS0_4arch9wavefront6targetE1EEEvSN_,comdat
	.protected	_ZN7rocprim17ROCPRIM_400000_NS6detail17trampoline_kernelINS0_14default_configENS1_35radix_sort_onesweep_config_selectorIjN6thrust23THRUST_200600_302600_NS5tupleIffNS6_9null_typeES8_S8_S8_S8_S8_S8_S8_EEEEZZNS1_29radix_sort_onesweep_iterationIS3_Lb0ENS6_6detail15normal_iteratorINS6_10device_ptrIjEEEESG_NSD_INSE_IS9_EEEESI_jNS0_19identity_decomposerENS1_16block_id_wrapperIjLb0EEEEE10hipError_tT1_PNSt15iterator_traitsISN_E10value_typeET2_T3_PNSO_IST_E10value_typeET4_T5_PSY_SZ_PNS1_23onesweep_lookback_stateEbbT6_jjT7_P12ihipStream_tbENKUlT_T0_SN_SS_E_clIPjSG_PS9_SI_EEDaS16_S17_SN_SS_EUlS16_E_NS1_11comp_targetILNS1_3genE8ELNS1_11target_archE1030ELNS1_3gpuE2ELNS1_3repE0EEENS1_47radix_sort_onesweep_sort_config_static_selectorELNS0_4arch9wavefront6targetE1EEEvSN_ ; -- Begin function _ZN7rocprim17ROCPRIM_400000_NS6detail17trampoline_kernelINS0_14default_configENS1_35radix_sort_onesweep_config_selectorIjN6thrust23THRUST_200600_302600_NS5tupleIffNS6_9null_typeES8_S8_S8_S8_S8_S8_S8_EEEEZZNS1_29radix_sort_onesweep_iterationIS3_Lb0ENS6_6detail15normal_iteratorINS6_10device_ptrIjEEEESG_NSD_INSE_IS9_EEEESI_jNS0_19identity_decomposerENS1_16block_id_wrapperIjLb0EEEEE10hipError_tT1_PNSt15iterator_traitsISN_E10value_typeET2_T3_PNSO_IST_E10value_typeET4_T5_PSY_SZ_PNS1_23onesweep_lookback_stateEbbT6_jjT7_P12ihipStream_tbENKUlT_T0_SN_SS_E_clIPjSG_PS9_SI_EEDaS16_S17_SN_SS_EUlS16_E_NS1_11comp_targetILNS1_3genE8ELNS1_11target_archE1030ELNS1_3gpuE2ELNS1_3repE0EEENS1_47radix_sort_onesweep_sort_config_static_selectorELNS0_4arch9wavefront6targetE1EEEvSN_
	.globl	_ZN7rocprim17ROCPRIM_400000_NS6detail17trampoline_kernelINS0_14default_configENS1_35radix_sort_onesweep_config_selectorIjN6thrust23THRUST_200600_302600_NS5tupleIffNS6_9null_typeES8_S8_S8_S8_S8_S8_S8_EEEEZZNS1_29radix_sort_onesweep_iterationIS3_Lb0ENS6_6detail15normal_iteratorINS6_10device_ptrIjEEEESG_NSD_INSE_IS9_EEEESI_jNS0_19identity_decomposerENS1_16block_id_wrapperIjLb0EEEEE10hipError_tT1_PNSt15iterator_traitsISN_E10value_typeET2_T3_PNSO_IST_E10value_typeET4_T5_PSY_SZ_PNS1_23onesweep_lookback_stateEbbT6_jjT7_P12ihipStream_tbENKUlT_T0_SN_SS_E_clIPjSG_PS9_SI_EEDaS16_S17_SN_SS_EUlS16_E_NS1_11comp_targetILNS1_3genE8ELNS1_11target_archE1030ELNS1_3gpuE2ELNS1_3repE0EEENS1_47radix_sort_onesweep_sort_config_static_selectorELNS0_4arch9wavefront6targetE1EEEvSN_
	.p2align	8
	.type	_ZN7rocprim17ROCPRIM_400000_NS6detail17trampoline_kernelINS0_14default_configENS1_35radix_sort_onesweep_config_selectorIjN6thrust23THRUST_200600_302600_NS5tupleIffNS6_9null_typeES8_S8_S8_S8_S8_S8_S8_EEEEZZNS1_29radix_sort_onesweep_iterationIS3_Lb0ENS6_6detail15normal_iteratorINS6_10device_ptrIjEEEESG_NSD_INSE_IS9_EEEESI_jNS0_19identity_decomposerENS1_16block_id_wrapperIjLb0EEEEE10hipError_tT1_PNSt15iterator_traitsISN_E10value_typeET2_T3_PNSO_IST_E10value_typeET4_T5_PSY_SZ_PNS1_23onesweep_lookback_stateEbbT6_jjT7_P12ihipStream_tbENKUlT_T0_SN_SS_E_clIPjSG_PS9_SI_EEDaS16_S17_SN_SS_EUlS16_E_NS1_11comp_targetILNS1_3genE8ELNS1_11target_archE1030ELNS1_3gpuE2ELNS1_3repE0EEENS1_47radix_sort_onesweep_sort_config_static_selectorELNS0_4arch9wavefront6targetE1EEEvSN_,@function
_ZN7rocprim17ROCPRIM_400000_NS6detail17trampoline_kernelINS0_14default_configENS1_35radix_sort_onesweep_config_selectorIjN6thrust23THRUST_200600_302600_NS5tupleIffNS6_9null_typeES8_S8_S8_S8_S8_S8_S8_EEEEZZNS1_29radix_sort_onesweep_iterationIS3_Lb0ENS6_6detail15normal_iteratorINS6_10device_ptrIjEEEESG_NSD_INSE_IS9_EEEESI_jNS0_19identity_decomposerENS1_16block_id_wrapperIjLb0EEEEE10hipError_tT1_PNSt15iterator_traitsISN_E10value_typeET2_T3_PNSO_IST_E10value_typeET4_T5_PSY_SZ_PNS1_23onesweep_lookback_stateEbbT6_jjT7_P12ihipStream_tbENKUlT_T0_SN_SS_E_clIPjSG_PS9_SI_EEDaS16_S17_SN_SS_EUlS16_E_NS1_11comp_targetILNS1_3genE8ELNS1_11target_archE1030ELNS1_3gpuE2ELNS1_3repE0EEENS1_47radix_sort_onesweep_sort_config_static_selectorELNS0_4arch9wavefront6targetE1EEEvSN_: ; @_ZN7rocprim17ROCPRIM_400000_NS6detail17trampoline_kernelINS0_14default_configENS1_35radix_sort_onesweep_config_selectorIjN6thrust23THRUST_200600_302600_NS5tupleIffNS6_9null_typeES8_S8_S8_S8_S8_S8_S8_EEEEZZNS1_29radix_sort_onesweep_iterationIS3_Lb0ENS6_6detail15normal_iteratorINS6_10device_ptrIjEEEESG_NSD_INSE_IS9_EEEESI_jNS0_19identity_decomposerENS1_16block_id_wrapperIjLb0EEEEE10hipError_tT1_PNSt15iterator_traitsISN_E10value_typeET2_T3_PNSO_IST_E10value_typeET4_T5_PSY_SZ_PNS1_23onesweep_lookback_stateEbbT6_jjT7_P12ihipStream_tbENKUlT_T0_SN_SS_E_clIPjSG_PS9_SI_EEDaS16_S17_SN_SS_EUlS16_E_NS1_11comp_targetILNS1_3genE8ELNS1_11target_archE1030ELNS1_3gpuE2ELNS1_3repE0EEENS1_47radix_sort_onesweep_sort_config_static_selectorELNS0_4arch9wavefront6targetE1EEEvSN_
; %bb.0:
	.section	.rodata,"a",@progbits
	.p2align	6, 0x0
	.amdhsa_kernel _ZN7rocprim17ROCPRIM_400000_NS6detail17trampoline_kernelINS0_14default_configENS1_35radix_sort_onesweep_config_selectorIjN6thrust23THRUST_200600_302600_NS5tupleIffNS6_9null_typeES8_S8_S8_S8_S8_S8_S8_EEEEZZNS1_29radix_sort_onesweep_iterationIS3_Lb0ENS6_6detail15normal_iteratorINS6_10device_ptrIjEEEESG_NSD_INSE_IS9_EEEESI_jNS0_19identity_decomposerENS1_16block_id_wrapperIjLb0EEEEE10hipError_tT1_PNSt15iterator_traitsISN_E10value_typeET2_T3_PNSO_IST_E10value_typeET4_T5_PSY_SZ_PNS1_23onesweep_lookback_stateEbbT6_jjT7_P12ihipStream_tbENKUlT_T0_SN_SS_E_clIPjSG_PS9_SI_EEDaS16_S17_SN_SS_EUlS16_E_NS1_11comp_targetILNS1_3genE8ELNS1_11target_archE1030ELNS1_3gpuE2ELNS1_3repE0EEENS1_47radix_sort_onesweep_sort_config_static_selectorELNS0_4arch9wavefront6targetE1EEEvSN_
		.amdhsa_group_segment_fixed_size 0
		.amdhsa_private_segment_fixed_size 0
		.amdhsa_kernarg_size 88
		.amdhsa_user_sgpr_count 6
		.amdhsa_user_sgpr_private_segment_buffer 1
		.amdhsa_user_sgpr_dispatch_ptr 0
		.amdhsa_user_sgpr_queue_ptr 0
		.amdhsa_user_sgpr_kernarg_segment_ptr 1
		.amdhsa_user_sgpr_dispatch_id 0
		.amdhsa_user_sgpr_flat_scratch_init 0
		.amdhsa_user_sgpr_kernarg_preload_length 0
		.amdhsa_user_sgpr_kernarg_preload_offset 0
		.amdhsa_user_sgpr_private_segment_size 0
		.amdhsa_uses_dynamic_stack 0
		.amdhsa_system_sgpr_private_segment_wavefront_offset 0
		.amdhsa_system_sgpr_workgroup_id_x 1
		.amdhsa_system_sgpr_workgroup_id_y 0
		.amdhsa_system_sgpr_workgroup_id_z 0
		.amdhsa_system_sgpr_workgroup_info 0
		.amdhsa_system_vgpr_workitem_id 0
		.amdhsa_next_free_vgpr 1
		.amdhsa_next_free_sgpr 0
		.amdhsa_accum_offset 4
		.amdhsa_reserve_vcc 0
		.amdhsa_reserve_flat_scratch 0
		.amdhsa_float_round_mode_32 0
		.amdhsa_float_round_mode_16_64 0
		.amdhsa_float_denorm_mode_32 3
		.amdhsa_float_denorm_mode_16_64 3
		.amdhsa_dx10_clamp 1
		.amdhsa_ieee_mode 1
		.amdhsa_fp16_overflow 0
		.amdhsa_tg_split 0
		.amdhsa_exception_fp_ieee_invalid_op 0
		.amdhsa_exception_fp_denorm_src 0
		.amdhsa_exception_fp_ieee_div_zero 0
		.amdhsa_exception_fp_ieee_overflow 0
		.amdhsa_exception_fp_ieee_underflow 0
		.amdhsa_exception_fp_ieee_inexact 0
		.amdhsa_exception_int_div_zero 0
	.end_amdhsa_kernel
	.section	.text._ZN7rocprim17ROCPRIM_400000_NS6detail17trampoline_kernelINS0_14default_configENS1_35radix_sort_onesweep_config_selectorIjN6thrust23THRUST_200600_302600_NS5tupleIffNS6_9null_typeES8_S8_S8_S8_S8_S8_S8_EEEEZZNS1_29radix_sort_onesweep_iterationIS3_Lb0ENS6_6detail15normal_iteratorINS6_10device_ptrIjEEEESG_NSD_INSE_IS9_EEEESI_jNS0_19identity_decomposerENS1_16block_id_wrapperIjLb0EEEEE10hipError_tT1_PNSt15iterator_traitsISN_E10value_typeET2_T3_PNSO_IST_E10value_typeET4_T5_PSY_SZ_PNS1_23onesweep_lookback_stateEbbT6_jjT7_P12ihipStream_tbENKUlT_T0_SN_SS_E_clIPjSG_PS9_SI_EEDaS16_S17_SN_SS_EUlS16_E_NS1_11comp_targetILNS1_3genE8ELNS1_11target_archE1030ELNS1_3gpuE2ELNS1_3repE0EEENS1_47radix_sort_onesweep_sort_config_static_selectorELNS0_4arch9wavefront6targetE1EEEvSN_,"axG",@progbits,_ZN7rocprim17ROCPRIM_400000_NS6detail17trampoline_kernelINS0_14default_configENS1_35radix_sort_onesweep_config_selectorIjN6thrust23THRUST_200600_302600_NS5tupleIffNS6_9null_typeES8_S8_S8_S8_S8_S8_S8_EEEEZZNS1_29radix_sort_onesweep_iterationIS3_Lb0ENS6_6detail15normal_iteratorINS6_10device_ptrIjEEEESG_NSD_INSE_IS9_EEEESI_jNS0_19identity_decomposerENS1_16block_id_wrapperIjLb0EEEEE10hipError_tT1_PNSt15iterator_traitsISN_E10value_typeET2_T3_PNSO_IST_E10value_typeET4_T5_PSY_SZ_PNS1_23onesweep_lookback_stateEbbT6_jjT7_P12ihipStream_tbENKUlT_T0_SN_SS_E_clIPjSG_PS9_SI_EEDaS16_S17_SN_SS_EUlS16_E_NS1_11comp_targetILNS1_3genE8ELNS1_11target_archE1030ELNS1_3gpuE2ELNS1_3repE0EEENS1_47radix_sort_onesweep_sort_config_static_selectorELNS0_4arch9wavefront6targetE1EEEvSN_,comdat
.Lfunc_end228:
	.size	_ZN7rocprim17ROCPRIM_400000_NS6detail17trampoline_kernelINS0_14default_configENS1_35radix_sort_onesweep_config_selectorIjN6thrust23THRUST_200600_302600_NS5tupleIffNS6_9null_typeES8_S8_S8_S8_S8_S8_S8_EEEEZZNS1_29radix_sort_onesweep_iterationIS3_Lb0ENS6_6detail15normal_iteratorINS6_10device_ptrIjEEEESG_NSD_INSE_IS9_EEEESI_jNS0_19identity_decomposerENS1_16block_id_wrapperIjLb0EEEEE10hipError_tT1_PNSt15iterator_traitsISN_E10value_typeET2_T3_PNSO_IST_E10value_typeET4_T5_PSY_SZ_PNS1_23onesweep_lookback_stateEbbT6_jjT7_P12ihipStream_tbENKUlT_T0_SN_SS_E_clIPjSG_PS9_SI_EEDaS16_S17_SN_SS_EUlS16_E_NS1_11comp_targetILNS1_3genE8ELNS1_11target_archE1030ELNS1_3gpuE2ELNS1_3repE0EEENS1_47radix_sort_onesweep_sort_config_static_selectorELNS0_4arch9wavefront6targetE1EEEvSN_, .Lfunc_end228-_ZN7rocprim17ROCPRIM_400000_NS6detail17trampoline_kernelINS0_14default_configENS1_35radix_sort_onesweep_config_selectorIjN6thrust23THRUST_200600_302600_NS5tupleIffNS6_9null_typeES8_S8_S8_S8_S8_S8_S8_EEEEZZNS1_29radix_sort_onesweep_iterationIS3_Lb0ENS6_6detail15normal_iteratorINS6_10device_ptrIjEEEESG_NSD_INSE_IS9_EEEESI_jNS0_19identity_decomposerENS1_16block_id_wrapperIjLb0EEEEE10hipError_tT1_PNSt15iterator_traitsISN_E10value_typeET2_T3_PNSO_IST_E10value_typeET4_T5_PSY_SZ_PNS1_23onesweep_lookback_stateEbbT6_jjT7_P12ihipStream_tbENKUlT_T0_SN_SS_E_clIPjSG_PS9_SI_EEDaS16_S17_SN_SS_EUlS16_E_NS1_11comp_targetILNS1_3genE8ELNS1_11target_archE1030ELNS1_3gpuE2ELNS1_3repE0EEENS1_47radix_sort_onesweep_sort_config_static_selectorELNS0_4arch9wavefront6targetE1EEEvSN_
                                        ; -- End function
	.section	.AMDGPU.csdata,"",@progbits
; Kernel info:
; codeLenInByte = 0
; NumSgprs: 4
; NumVgprs: 0
; NumAgprs: 0
; TotalNumVgprs: 0
; ScratchSize: 0
; MemoryBound: 0
; FloatMode: 240
; IeeeMode: 1
; LDSByteSize: 0 bytes/workgroup (compile time only)
; SGPRBlocks: 0
; VGPRBlocks: 0
; NumSGPRsForWavesPerEU: 4
; NumVGPRsForWavesPerEU: 1
; AccumOffset: 4
; Occupancy: 8
; WaveLimiterHint : 0
; COMPUTE_PGM_RSRC2:SCRATCH_EN: 0
; COMPUTE_PGM_RSRC2:USER_SGPR: 6
; COMPUTE_PGM_RSRC2:TRAP_HANDLER: 0
; COMPUTE_PGM_RSRC2:TGID_X_EN: 1
; COMPUTE_PGM_RSRC2:TGID_Y_EN: 0
; COMPUTE_PGM_RSRC2:TGID_Z_EN: 0
; COMPUTE_PGM_RSRC2:TIDIG_COMP_CNT: 0
; COMPUTE_PGM_RSRC3_GFX90A:ACCUM_OFFSET: 0
; COMPUTE_PGM_RSRC3_GFX90A:TG_SPLIT: 0
	.section	.text._ZN6thrust23THRUST_200600_302600_NS11hip_rocprim14__parallel_for6kernelILj256ENS1_11__transform17unary_transform_fINS0_10device_ptrINS0_5tupleIffNS0_9null_typeES8_S8_S8_S8_S8_S8_S8_EEEESA_NS4_14no_stencil_tagENS0_8identityIS9_EENS4_21always_true_predicateEEElLj1EEEvT0_T1_SH_,"axG",@progbits,_ZN6thrust23THRUST_200600_302600_NS11hip_rocprim14__parallel_for6kernelILj256ENS1_11__transform17unary_transform_fINS0_10device_ptrINS0_5tupleIffNS0_9null_typeES8_S8_S8_S8_S8_S8_S8_EEEESA_NS4_14no_stencil_tagENS0_8identityIS9_EENS4_21always_true_predicateEEElLj1EEEvT0_T1_SH_,comdat
	.protected	_ZN6thrust23THRUST_200600_302600_NS11hip_rocprim14__parallel_for6kernelILj256ENS1_11__transform17unary_transform_fINS0_10device_ptrINS0_5tupleIffNS0_9null_typeES8_S8_S8_S8_S8_S8_S8_EEEESA_NS4_14no_stencil_tagENS0_8identityIS9_EENS4_21always_true_predicateEEElLj1EEEvT0_T1_SH_ ; -- Begin function _ZN6thrust23THRUST_200600_302600_NS11hip_rocprim14__parallel_for6kernelILj256ENS1_11__transform17unary_transform_fINS0_10device_ptrINS0_5tupleIffNS0_9null_typeES8_S8_S8_S8_S8_S8_S8_EEEESA_NS4_14no_stencil_tagENS0_8identityIS9_EENS4_21always_true_predicateEEElLj1EEEvT0_T1_SH_
	.globl	_ZN6thrust23THRUST_200600_302600_NS11hip_rocprim14__parallel_for6kernelILj256ENS1_11__transform17unary_transform_fINS0_10device_ptrINS0_5tupleIffNS0_9null_typeES8_S8_S8_S8_S8_S8_S8_EEEESA_NS4_14no_stencil_tagENS0_8identityIS9_EENS4_21always_true_predicateEEElLj1EEEvT0_T1_SH_
	.p2align	8
	.type	_ZN6thrust23THRUST_200600_302600_NS11hip_rocprim14__parallel_for6kernelILj256ENS1_11__transform17unary_transform_fINS0_10device_ptrINS0_5tupleIffNS0_9null_typeES8_S8_S8_S8_S8_S8_S8_EEEESA_NS4_14no_stencil_tagENS0_8identityIS9_EENS4_21always_true_predicateEEElLj1EEEvT0_T1_SH_,@function
_ZN6thrust23THRUST_200600_302600_NS11hip_rocprim14__parallel_for6kernelILj256ENS1_11__transform17unary_transform_fINS0_10device_ptrINS0_5tupleIffNS0_9null_typeES8_S8_S8_S8_S8_S8_S8_EEEESA_NS4_14no_stencil_tagENS0_8identityIS9_EENS4_21always_true_predicateEEElLj1EEEvT0_T1_SH_: ; @_ZN6thrust23THRUST_200600_302600_NS11hip_rocprim14__parallel_for6kernelILj256ENS1_11__transform17unary_transform_fINS0_10device_ptrINS0_5tupleIffNS0_9null_typeES8_S8_S8_S8_S8_S8_S8_EEEESA_NS4_14no_stencil_tagENS0_8identityIS9_EENS4_21always_true_predicateEEElLj1EEEvT0_T1_SH_
; %bb.0:
	s_load_dwordx4 s[8:11], s[4:5], 0x18
	s_load_dwordx4 s[0:3], s[4:5], 0x0
	s_lshl_b32 s4, s6, 8
	v_mov_b32_e32 v2, 0x100
	v_mov_b32_e32 v3, 0
	s_waitcnt lgkmcnt(0)
	s_add_u32 s6, s4, s10
	s_addc_u32 s7, 0, s11
	s_sub_u32 s4, s8, s6
	s_subb_u32 s5, s9, s7
	v_cmp_lt_i64_e32 vcc, s[4:5], v[2:3]
	s_and_b64 s[8:9], vcc, exec
	s_cselect_b32 s8, s4, 0x100
	s_cmpk_lg_i32 s8, 0x100
	s_mov_b64 s[4:5], -1
	s_cbranch_scc1 .LBB229_3
; %bb.1:
	s_andn2_b64 vcc, exec, s[4:5]
	s_cbranch_vccz .LBB229_6
.LBB229_2:
	s_endpgm
.LBB229_3:
	v_cmp_gt_u32_e32 vcc, s8, v0
	s_and_saveexec_b64 s[4:5], vcc
	s_cbranch_execz .LBB229_5
; %bb.4:
	v_mov_b32_e32 v1, s7
	v_add_co_u32_e32 v2, vcc, s6, v0
	v_addc_co_u32_e32 v3, vcc, 0, v1, vcc
	v_lshlrev_b64 v[2:3], 3, v[2:3]
	v_mov_b32_e32 v1, s1
	v_add_co_u32_e32 v4, vcc, s0, v2
	v_addc_co_u32_e32 v5, vcc, v1, v3, vcc
	flat_load_dwordx2 v[4:5], v[4:5]
	v_mov_b32_e32 v1, s3
	v_add_co_u32_e32 v2, vcc, s2, v2
	v_addc_co_u32_e32 v3, vcc, v1, v3, vcc
	s_waitcnt vmcnt(0) lgkmcnt(0)
	flat_store_dwordx2 v[2:3], v[4:5]
.LBB229_5:
	s_or_b64 exec, exec, s[4:5]
	s_cbranch_execnz .LBB229_2
.LBB229_6:
	v_mov_b32_e32 v1, s7
	v_add_co_u32_e32 v0, vcc, s6, v0
	v_addc_co_u32_e32 v1, vcc, 0, v1, vcc
	v_lshlrev_b64 v[0:1], 3, v[0:1]
	v_mov_b32_e32 v3, s1
	v_add_co_u32_e32 v2, vcc, s0, v0
	v_addc_co_u32_e32 v3, vcc, v3, v1, vcc
	flat_load_dwordx2 v[2:3], v[2:3]
	v_mov_b32_e32 v4, s3
	v_add_co_u32_e32 v0, vcc, s2, v0
	v_addc_co_u32_e32 v1, vcc, v4, v1, vcc
	s_waitcnt vmcnt(0) lgkmcnt(0)
	flat_store_dwordx2 v[0:1], v[2:3]
	s_endpgm
	.section	.rodata,"a",@progbits
	.p2align	6, 0x0
	.amdhsa_kernel _ZN6thrust23THRUST_200600_302600_NS11hip_rocprim14__parallel_for6kernelILj256ENS1_11__transform17unary_transform_fINS0_10device_ptrINS0_5tupleIffNS0_9null_typeES8_S8_S8_S8_S8_S8_S8_EEEESA_NS4_14no_stencil_tagENS0_8identityIS9_EENS4_21always_true_predicateEEElLj1EEEvT0_T1_SH_
		.amdhsa_group_segment_fixed_size 0
		.amdhsa_private_segment_fixed_size 0
		.amdhsa_kernarg_size 40
		.amdhsa_user_sgpr_count 6
		.amdhsa_user_sgpr_private_segment_buffer 1
		.amdhsa_user_sgpr_dispatch_ptr 0
		.amdhsa_user_sgpr_queue_ptr 0
		.amdhsa_user_sgpr_kernarg_segment_ptr 1
		.amdhsa_user_sgpr_dispatch_id 0
		.amdhsa_user_sgpr_flat_scratch_init 0
		.amdhsa_user_sgpr_kernarg_preload_length 0
		.amdhsa_user_sgpr_kernarg_preload_offset 0
		.amdhsa_user_sgpr_private_segment_size 0
		.amdhsa_uses_dynamic_stack 0
		.amdhsa_system_sgpr_private_segment_wavefront_offset 0
		.amdhsa_system_sgpr_workgroup_id_x 1
		.amdhsa_system_sgpr_workgroup_id_y 0
		.amdhsa_system_sgpr_workgroup_id_z 0
		.amdhsa_system_sgpr_workgroup_info 0
		.amdhsa_system_vgpr_workitem_id 0
		.amdhsa_next_free_vgpr 6
		.amdhsa_next_free_sgpr 12
		.amdhsa_accum_offset 8
		.amdhsa_reserve_vcc 1
		.amdhsa_reserve_flat_scratch 0
		.amdhsa_float_round_mode_32 0
		.amdhsa_float_round_mode_16_64 0
		.amdhsa_float_denorm_mode_32 3
		.amdhsa_float_denorm_mode_16_64 3
		.amdhsa_dx10_clamp 1
		.amdhsa_ieee_mode 1
		.amdhsa_fp16_overflow 0
		.amdhsa_tg_split 0
		.amdhsa_exception_fp_ieee_invalid_op 0
		.amdhsa_exception_fp_denorm_src 0
		.amdhsa_exception_fp_ieee_div_zero 0
		.amdhsa_exception_fp_ieee_overflow 0
		.amdhsa_exception_fp_ieee_underflow 0
		.amdhsa_exception_fp_ieee_inexact 0
		.amdhsa_exception_int_div_zero 0
	.end_amdhsa_kernel
	.section	.text._ZN6thrust23THRUST_200600_302600_NS11hip_rocprim14__parallel_for6kernelILj256ENS1_11__transform17unary_transform_fINS0_10device_ptrINS0_5tupleIffNS0_9null_typeES8_S8_S8_S8_S8_S8_S8_EEEESA_NS4_14no_stencil_tagENS0_8identityIS9_EENS4_21always_true_predicateEEElLj1EEEvT0_T1_SH_,"axG",@progbits,_ZN6thrust23THRUST_200600_302600_NS11hip_rocprim14__parallel_for6kernelILj256ENS1_11__transform17unary_transform_fINS0_10device_ptrINS0_5tupleIffNS0_9null_typeES8_S8_S8_S8_S8_S8_S8_EEEESA_NS4_14no_stencil_tagENS0_8identityIS9_EENS4_21always_true_predicateEEElLj1EEEvT0_T1_SH_,comdat
.Lfunc_end229:
	.size	_ZN6thrust23THRUST_200600_302600_NS11hip_rocprim14__parallel_for6kernelILj256ENS1_11__transform17unary_transform_fINS0_10device_ptrINS0_5tupleIffNS0_9null_typeES8_S8_S8_S8_S8_S8_S8_EEEESA_NS4_14no_stencil_tagENS0_8identityIS9_EENS4_21always_true_predicateEEElLj1EEEvT0_T1_SH_, .Lfunc_end229-_ZN6thrust23THRUST_200600_302600_NS11hip_rocprim14__parallel_for6kernelILj256ENS1_11__transform17unary_transform_fINS0_10device_ptrINS0_5tupleIffNS0_9null_typeES8_S8_S8_S8_S8_S8_S8_EEEESA_NS4_14no_stencil_tagENS0_8identityIS9_EENS4_21always_true_predicateEEElLj1EEEvT0_T1_SH_
                                        ; -- End function
	.section	.AMDGPU.csdata,"",@progbits
; Kernel info:
; codeLenInByte = 244
; NumSgprs: 16
; NumVgprs: 6
; NumAgprs: 0
; TotalNumVgprs: 6
; ScratchSize: 0
; MemoryBound: 0
; FloatMode: 240
; IeeeMode: 1
; LDSByteSize: 0 bytes/workgroup (compile time only)
; SGPRBlocks: 1
; VGPRBlocks: 0
; NumSGPRsForWavesPerEU: 16
; NumVGPRsForWavesPerEU: 6
; AccumOffset: 8
; Occupancy: 8
; WaveLimiterHint : 0
; COMPUTE_PGM_RSRC2:SCRATCH_EN: 0
; COMPUTE_PGM_RSRC2:USER_SGPR: 6
; COMPUTE_PGM_RSRC2:TRAP_HANDLER: 0
; COMPUTE_PGM_RSRC2:TGID_X_EN: 1
; COMPUTE_PGM_RSRC2:TGID_Y_EN: 0
; COMPUTE_PGM_RSRC2:TGID_Z_EN: 0
; COMPUTE_PGM_RSRC2:TIDIG_COMP_CNT: 0
; COMPUTE_PGM_RSRC3_GFX90A:ACCUM_OFFSET: 1
; COMPUTE_PGM_RSRC3_GFX90A:TG_SPLIT: 0
	.section	.text._ZN7rocprim17ROCPRIM_400000_NS6detail17trampoline_kernelINS0_14default_configENS1_27lower_bound_config_selectorIjjEEZNS1_14transform_implILb0ES3_S5_N6thrust23THRUST_200600_302600_NS17counting_iteratorIjNS8_11use_defaultESA_SA_EENS8_6detail15normal_iteratorINS8_10device_ptrIjEEEEZNS1_13binary_searchIS3_S5_SG_SB_SG_NS1_21lower_bound_search_opENSC_16wrapped_functionINS0_4lessIvEEbEEEE10hipError_tPvRmT1_T2_T3_mmT4_T5_P12ihipStream_tbEUlRKjE_EESN_SR_SS_mST_SW_bEUlT_E_NS1_11comp_targetILNS1_3genE0ELNS1_11target_archE4294967295ELNS1_3gpuE0ELNS1_3repE0EEENS1_30default_config_static_selectorELNS0_4arch9wavefront6targetE1EEEvSQ_,"axG",@progbits,_ZN7rocprim17ROCPRIM_400000_NS6detail17trampoline_kernelINS0_14default_configENS1_27lower_bound_config_selectorIjjEEZNS1_14transform_implILb0ES3_S5_N6thrust23THRUST_200600_302600_NS17counting_iteratorIjNS8_11use_defaultESA_SA_EENS8_6detail15normal_iteratorINS8_10device_ptrIjEEEEZNS1_13binary_searchIS3_S5_SG_SB_SG_NS1_21lower_bound_search_opENSC_16wrapped_functionINS0_4lessIvEEbEEEE10hipError_tPvRmT1_T2_T3_mmT4_T5_P12ihipStream_tbEUlRKjE_EESN_SR_SS_mST_SW_bEUlT_E_NS1_11comp_targetILNS1_3genE0ELNS1_11target_archE4294967295ELNS1_3gpuE0ELNS1_3repE0EEENS1_30default_config_static_selectorELNS0_4arch9wavefront6targetE1EEEvSQ_,comdat
	.protected	_ZN7rocprim17ROCPRIM_400000_NS6detail17trampoline_kernelINS0_14default_configENS1_27lower_bound_config_selectorIjjEEZNS1_14transform_implILb0ES3_S5_N6thrust23THRUST_200600_302600_NS17counting_iteratorIjNS8_11use_defaultESA_SA_EENS8_6detail15normal_iteratorINS8_10device_ptrIjEEEEZNS1_13binary_searchIS3_S5_SG_SB_SG_NS1_21lower_bound_search_opENSC_16wrapped_functionINS0_4lessIvEEbEEEE10hipError_tPvRmT1_T2_T3_mmT4_T5_P12ihipStream_tbEUlRKjE_EESN_SR_SS_mST_SW_bEUlT_E_NS1_11comp_targetILNS1_3genE0ELNS1_11target_archE4294967295ELNS1_3gpuE0ELNS1_3repE0EEENS1_30default_config_static_selectorELNS0_4arch9wavefront6targetE1EEEvSQ_ ; -- Begin function _ZN7rocprim17ROCPRIM_400000_NS6detail17trampoline_kernelINS0_14default_configENS1_27lower_bound_config_selectorIjjEEZNS1_14transform_implILb0ES3_S5_N6thrust23THRUST_200600_302600_NS17counting_iteratorIjNS8_11use_defaultESA_SA_EENS8_6detail15normal_iteratorINS8_10device_ptrIjEEEEZNS1_13binary_searchIS3_S5_SG_SB_SG_NS1_21lower_bound_search_opENSC_16wrapped_functionINS0_4lessIvEEbEEEE10hipError_tPvRmT1_T2_T3_mmT4_T5_P12ihipStream_tbEUlRKjE_EESN_SR_SS_mST_SW_bEUlT_E_NS1_11comp_targetILNS1_3genE0ELNS1_11target_archE4294967295ELNS1_3gpuE0ELNS1_3repE0EEENS1_30default_config_static_selectorELNS0_4arch9wavefront6targetE1EEEvSQ_
	.globl	_ZN7rocprim17ROCPRIM_400000_NS6detail17trampoline_kernelINS0_14default_configENS1_27lower_bound_config_selectorIjjEEZNS1_14transform_implILb0ES3_S5_N6thrust23THRUST_200600_302600_NS17counting_iteratorIjNS8_11use_defaultESA_SA_EENS8_6detail15normal_iteratorINS8_10device_ptrIjEEEEZNS1_13binary_searchIS3_S5_SG_SB_SG_NS1_21lower_bound_search_opENSC_16wrapped_functionINS0_4lessIvEEbEEEE10hipError_tPvRmT1_T2_T3_mmT4_T5_P12ihipStream_tbEUlRKjE_EESN_SR_SS_mST_SW_bEUlT_E_NS1_11comp_targetILNS1_3genE0ELNS1_11target_archE4294967295ELNS1_3gpuE0ELNS1_3repE0EEENS1_30default_config_static_selectorELNS0_4arch9wavefront6targetE1EEEvSQ_
	.p2align	8
	.type	_ZN7rocprim17ROCPRIM_400000_NS6detail17trampoline_kernelINS0_14default_configENS1_27lower_bound_config_selectorIjjEEZNS1_14transform_implILb0ES3_S5_N6thrust23THRUST_200600_302600_NS17counting_iteratorIjNS8_11use_defaultESA_SA_EENS8_6detail15normal_iteratorINS8_10device_ptrIjEEEEZNS1_13binary_searchIS3_S5_SG_SB_SG_NS1_21lower_bound_search_opENSC_16wrapped_functionINS0_4lessIvEEbEEEE10hipError_tPvRmT1_T2_T3_mmT4_T5_P12ihipStream_tbEUlRKjE_EESN_SR_SS_mST_SW_bEUlT_E_NS1_11comp_targetILNS1_3genE0ELNS1_11target_archE4294967295ELNS1_3gpuE0ELNS1_3repE0EEENS1_30default_config_static_selectorELNS0_4arch9wavefront6targetE1EEEvSQ_,@function
_ZN7rocprim17ROCPRIM_400000_NS6detail17trampoline_kernelINS0_14default_configENS1_27lower_bound_config_selectorIjjEEZNS1_14transform_implILb0ES3_S5_N6thrust23THRUST_200600_302600_NS17counting_iteratorIjNS8_11use_defaultESA_SA_EENS8_6detail15normal_iteratorINS8_10device_ptrIjEEEEZNS1_13binary_searchIS3_S5_SG_SB_SG_NS1_21lower_bound_search_opENSC_16wrapped_functionINS0_4lessIvEEbEEEE10hipError_tPvRmT1_T2_T3_mmT4_T5_P12ihipStream_tbEUlRKjE_EESN_SR_SS_mST_SW_bEUlT_E_NS1_11comp_targetILNS1_3genE0ELNS1_11target_archE4294967295ELNS1_3gpuE0ELNS1_3repE0EEENS1_30default_config_static_selectorELNS0_4arch9wavefront6targetE1EEEvSQ_: ; @_ZN7rocprim17ROCPRIM_400000_NS6detail17trampoline_kernelINS0_14default_configENS1_27lower_bound_config_selectorIjjEEZNS1_14transform_implILb0ES3_S5_N6thrust23THRUST_200600_302600_NS17counting_iteratorIjNS8_11use_defaultESA_SA_EENS8_6detail15normal_iteratorINS8_10device_ptrIjEEEEZNS1_13binary_searchIS3_S5_SG_SB_SG_NS1_21lower_bound_search_opENSC_16wrapped_functionINS0_4lessIvEEbEEEE10hipError_tPvRmT1_T2_T3_mmT4_T5_P12ihipStream_tbEUlRKjE_EESN_SR_SS_mST_SW_bEUlT_E_NS1_11comp_targetILNS1_3genE0ELNS1_11target_archE4294967295ELNS1_3gpuE0ELNS1_3repE0EEENS1_30default_config_static_selectorELNS0_4arch9wavefront6targetE1EEEvSQ_
; %bb.0:
	.section	.rodata,"a",@progbits
	.p2align	6, 0x0
	.amdhsa_kernel _ZN7rocprim17ROCPRIM_400000_NS6detail17trampoline_kernelINS0_14default_configENS1_27lower_bound_config_selectorIjjEEZNS1_14transform_implILb0ES3_S5_N6thrust23THRUST_200600_302600_NS17counting_iteratorIjNS8_11use_defaultESA_SA_EENS8_6detail15normal_iteratorINS8_10device_ptrIjEEEEZNS1_13binary_searchIS3_S5_SG_SB_SG_NS1_21lower_bound_search_opENSC_16wrapped_functionINS0_4lessIvEEbEEEE10hipError_tPvRmT1_T2_T3_mmT4_T5_P12ihipStream_tbEUlRKjE_EESN_SR_SS_mST_SW_bEUlT_E_NS1_11comp_targetILNS1_3genE0ELNS1_11target_archE4294967295ELNS1_3gpuE0ELNS1_3repE0EEENS1_30default_config_static_selectorELNS0_4arch9wavefront6targetE1EEEvSQ_
		.amdhsa_group_segment_fixed_size 0
		.amdhsa_private_segment_fixed_size 0
		.amdhsa_kernarg_size 56
		.amdhsa_user_sgpr_count 6
		.amdhsa_user_sgpr_private_segment_buffer 1
		.amdhsa_user_sgpr_dispatch_ptr 0
		.amdhsa_user_sgpr_queue_ptr 0
		.amdhsa_user_sgpr_kernarg_segment_ptr 1
		.amdhsa_user_sgpr_dispatch_id 0
		.amdhsa_user_sgpr_flat_scratch_init 0
		.amdhsa_user_sgpr_kernarg_preload_length 0
		.amdhsa_user_sgpr_kernarg_preload_offset 0
		.amdhsa_user_sgpr_private_segment_size 0
		.amdhsa_uses_dynamic_stack 0
		.amdhsa_system_sgpr_private_segment_wavefront_offset 0
		.amdhsa_system_sgpr_workgroup_id_x 1
		.amdhsa_system_sgpr_workgroup_id_y 0
		.amdhsa_system_sgpr_workgroup_id_z 0
		.amdhsa_system_sgpr_workgroup_info 0
		.amdhsa_system_vgpr_workitem_id 0
		.amdhsa_next_free_vgpr 1
		.amdhsa_next_free_sgpr 0
		.amdhsa_accum_offset 4
		.amdhsa_reserve_vcc 0
		.amdhsa_reserve_flat_scratch 0
		.amdhsa_float_round_mode_32 0
		.amdhsa_float_round_mode_16_64 0
		.amdhsa_float_denorm_mode_32 3
		.amdhsa_float_denorm_mode_16_64 3
		.amdhsa_dx10_clamp 1
		.amdhsa_ieee_mode 1
		.amdhsa_fp16_overflow 0
		.amdhsa_tg_split 0
		.amdhsa_exception_fp_ieee_invalid_op 0
		.amdhsa_exception_fp_denorm_src 0
		.amdhsa_exception_fp_ieee_div_zero 0
		.amdhsa_exception_fp_ieee_overflow 0
		.amdhsa_exception_fp_ieee_underflow 0
		.amdhsa_exception_fp_ieee_inexact 0
		.amdhsa_exception_int_div_zero 0
	.end_amdhsa_kernel
	.section	.text._ZN7rocprim17ROCPRIM_400000_NS6detail17trampoline_kernelINS0_14default_configENS1_27lower_bound_config_selectorIjjEEZNS1_14transform_implILb0ES3_S5_N6thrust23THRUST_200600_302600_NS17counting_iteratorIjNS8_11use_defaultESA_SA_EENS8_6detail15normal_iteratorINS8_10device_ptrIjEEEEZNS1_13binary_searchIS3_S5_SG_SB_SG_NS1_21lower_bound_search_opENSC_16wrapped_functionINS0_4lessIvEEbEEEE10hipError_tPvRmT1_T2_T3_mmT4_T5_P12ihipStream_tbEUlRKjE_EESN_SR_SS_mST_SW_bEUlT_E_NS1_11comp_targetILNS1_3genE0ELNS1_11target_archE4294967295ELNS1_3gpuE0ELNS1_3repE0EEENS1_30default_config_static_selectorELNS0_4arch9wavefront6targetE1EEEvSQ_,"axG",@progbits,_ZN7rocprim17ROCPRIM_400000_NS6detail17trampoline_kernelINS0_14default_configENS1_27lower_bound_config_selectorIjjEEZNS1_14transform_implILb0ES3_S5_N6thrust23THRUST_200600_302600_NS17counting_iteratorIjNS8_11use_defaultESA_SA_EENS8_6detail15normal_iteratorINS8_10device_ptrIjEEEEZNS1_13binary_searchIS3_S5_SG_SB_SG_NS1_21lower_bound_search_opENSC_16wrapped_functionINS0_4lessIvEEbEEEE10hipError_tPvRmT1_T2_T3_mmT4_T5_P12ihipStream_tbEUlRKjE_EESN_SR_SS_mST_SW_bEUlT_E_NS1_11comp_targetILNS1_3genE0ELNS1_11target_archE4294967295ELNS1_3gpuE0ELNS1_3repE0EEENS1_30default_config_static_selectorELNS0_4arch9wavefront6targetE1EEEvSQ_,comdat
.Lfunc_end230:
	.size	_ZN7rocprim17ROCPRIM_400000_NS6detail17trampoline_kernelINS0_14default_configENS1_27lower_bound_config_selectorIjjEEZNS1_14transform_implILb0ES3_S5_N6thrust23THRUST_200600_302600_NS17counting_iteratorIjNS8_11use_defaultESA_SA_EENS8_6detail15normal_iteratorINS8_10device_ptrIjEEEEZNS1_13binary_searchIS3_S5_SG_SB_SG_NS1_21lower_bound_search_opENSC_16wrapped_functionINS0_4lessIvEEbEEEE10hipError_tPvRmT1_T2_T3_mmT4_T5_P12ihipStream_tbEUlRKjE_EESN_SR_SS_mST_SW_bEUlT_E_NS1_11comp_targetILNS1_3genE0ELNS1_11target_archE4294967295ELNS1_3gpuE0ELNS1_3repE0EEENS1_30default_config_static_selectorELNS0_4arch9wavefront6targetE1EEEvSQ_, .Lfunc_end230-_ZN7rocprim17ROCPRIM_400000_NS6detail17trampoline_kernelINS0_14default_configENS1_27lower_bound_config_selectorIjjEEZNS1_14transform_implILb0ES3_S5_N6thrust23THRUST_200600_302600_NS17counting_iteratorIjNS8_11use_defaultESA_SA_EENS8_6detail15normal_iteratorINS8_10device_ptrIjEEEEZNS1_13binary_searchIS3_S5_SG_SB_SG_NS1_21lower_bound_search_opENSC_16wrapped_functionINS0_4lessIvEEbEEEE10hipError_tPvRmT1_T2_T3_mmT4_T5_P12ihipStream_tbEUlRKjE_EESN_SR_SS_mST_SW_bEUlT_E_NS1_11comp_targetILNS1_3genE0ELNS1_11target_archE4294967295ELNS1_3gpuE0ELNS1_3repE0EEENS1_30default_config_static_selectorELNS0_4arch9wavefront6targetE1EEEvSQ_
                                        ; -- End function
	.section	.AMDGPU.csdata,"",@progbits
; Kernel info:
; codeLenInByte = 0
; NumSgprs: 4
; NumVgprs: 0
; NumAgprs: 0
; TotalNumVgprs: 0
; ScratchSize: 0
; MemoryBound: 0
; FloatMode: 240
; IeeeMode: 1
; LDSByteSize: 0 bytes/workgroup (compile time only)
; SGPRBlocks: 0
; VGPRBlocks: 0
; NumSGPRsForWavesPerEU: 4
; NumVGPRsForWavesPerEU: 1
; AccumOffset: 4
; Occupancy: 8
; WaveLimiterHint : 0
; COMPUTE_PGM_RSRC2:SCRATCH_EN: 0
; COMPUTE_PGM_RSRC2:USER_SGPR: 6
; COMPUTE_PGM_RSRC2:TRAP_HANDLER: 0
; COMPUTE_PGM_RSRC2:TGID_X_EN: 1
; COMPUTE_PGM_RSRC2:TGID_Y_EN: 0
; COMPUTE_PGM_RSRC2:TGID_Z_EN: 0
; COMPUTE_PGM_RSRC2:TIDIG_COMP_CNT: 0
; COMPUTE_PGM_RSRC3_GFX90A:ACCUM_OFFSET: 0
; COMPUTE_PGM_RSRC3_GFX90A:TG_SPLIT: 0
	.section	.text._ZN7rocprim17ROCPRIM_400000_NS6detail17trampoline_kernelINS0_14default_configENS1_27lower_bound_config_selectorIjjEEZNS1_14transform_implILb0ES3_S5_N6thrust23THRUST_200600_302600_NS17counting_iteratorIjNS8_11use_defaultESA_SA_EENS8_6detail15normal_iteratorINS8_10device_ptrIjEEEEZNS1_13binary_searchIS3_S5_SG_SB_SG_NS1_21lower_bound_search_opENSC_16wrapped_functionINS0_4lessIvEEbEEEE10hipError_tPvRmT1_T2_T3_mmT4_T5_P12ihipStream_tbEUlRKjE_EESN_SR_SS_mST_SW_bEUlT_E_NS1_11comp_targetILNS1_3genE5ELNS1_11target_archE942ELNS1_3gpuE9ELNS1_3repE0EEENS1_30default_config_static_selectorELNS0_4arch9wavefront6targetE1EEEvSQ_,"axG",@progbits,_ZN7rocprim17ROCPRIM_400000_NS6detail17trampoline_kernelINS0_14default_configENS1_27lower_bound_config_selectorIjjEEZNS1_14transform_implILb0ES3_S5_N6thrust23THRUST_200600_302600_NS17counting_iteratorIjNS8_11use_defaultESA_SA_EENS8_6detail15normal_iteratorINS8_10device_ptrIjEEEEZNS1_13binary_searchIS3_S5_SG_SB_SG_NS1_21lower_bound_search_opENSC_16wrapped_functionINS0_4lessIvEEbEEEE10hipError_tPvRmT1_T2_T3_mmT4_T5_P12ihipStream_tbEUlRKjE_EESN_SR_SS_mST_SW_bEUlT_E_NS1_11comp_targetILNS1_3genE5ELNS1_11target_archE942ELNS1_3gpuE9ELNS1_3repE0EEENS1_30default_config_static_selectorELNS0_4arch9wavefront6targetE1EEEvSQ_,comdat
	.protected	_ZN7rocprim17ROCPRIM_400000_NS6detail17trampoline_kernelINS0_14default_configENS1_27lower_bound_config_selectorIjjEEZNS1_14transform_implILb0ES3_S5_N6thrust23THRUST_200600_302600_NS17counting_iteratorIjNS8_11use_defaultESA_SA_EENS8_6detail15normal_iteratorINS8_10device_ptrIjEEEEZNS1_13binary_searchIS3_S5_SG_SB_SG_NS1_21lower_bound_search_opENSC_16wrapped_functionINS0_4lessIvEEbEEEE10hipError_tPvRmT1_T2_T3_mmT4_T5_P12ihipStream_tbEUlRKjE_EESN_SR_SS_mST_SW_bEUlT_E_NS1_11comp_targetILNS1_3genE5ELNS1_11target_archE942ELNS1_3gpuE9ELNS1_3repE0EEENS1_30default_config_static_selectorELNS0_4arch9wavefront6targetE1EEEvSQ_ ; -- Begin function _ZN7rocprim17ROCPRIM_400000_NS6detail17trampoline_kernelINS0_14default_configENS1_27lower_bound_config_selectorIjjEEZNS1_14transform_implILb0ES3_S5_N6thrust23THRUST_200600_302600_NS17counting_iteratorIjNS8_11use_defaultESA_SA_EENS8_6detail15normal_iteratorINS8_10device_ptrIjEEEEZNS1_13binary_searchIS3_S5_SG_SB_SG_NS1_21lower_bound_search_opENSC_16wrapped_functionINS0_4lessIvEEbEEEE10hipError_tPvRmT1_T2_T3_mmT4_T5_P12ihipStream_tbEUlRKjE_EESN_SR_SS_mST_SW_bEUlT_E_NS1_11comp_targetILNS1_3genE5ELNS1_11target_archE942ELNS1_3gpuE9ELNS1_3repE0EEENS1_30default_config_static_selectorELNS0_4arch9wavefront6targetE1EEEvSQ_
	.globl	_ZN7rocprim17ROCPRIM_400000_NS6detail17trampoline_kernelINS0_14default_configENS1_27lower_bound_config_selectorIjjEEZNS1_14transform_implILb0ES3_S5_N6thrust23THRUST_200600_302600_NS17counting_iteratorIjNS8_11use_defaultESA_SA_EENS8_6detail15normal_iteratorINS8_10device_ptrIjEEEEZNS1_13binary_searchIS3_S5_SG_SB_SG_NS1_21lower_bound_search_opENSC_16wrapped_functionINS0_4lessIvEEbEEEE10hipError_tPvRmT1_T2_T3_mmT4_T5_P12ihipStream_tbEUlRKjE_EESN_SR_SS_mST_SW_bEUlT_E_NS1_11comp_targetILNS1_3genE5ELNS1_11target_archE942ELNS1_3gpuE9ELNS1_3repE0EEENS1_30default_config_static_selectorELNS0_4arch9wavefront6targetE1EEEvSQ_
	.p2align	8
	.type	_ZN7rocprim17ROCPRIM_400000_NS6detail17trampoline_kernelINS0_14default_configENS1_27lower_bound_config_selectorIjjEEZNS1_14transform_implILb0ES3_S5_N6thrust23THRUST_200600_302600_NS17counting_iteratorIjNS8_11use_defaultESA_SA_EENS8_6detail15normal_iteratorINS8_10device_ptrIjEEEEZNS1_13binary_searchIS3_S5_SG_SB_SG_NS1_21lower_bound_search_opENSC_16wrapped_functionINS0_4lessIvEEbEEEE10hipError_tPvRmT1_T2_T3_mmT4_T5_P12ihipStream_tbEUlRKjE_EESN_SR_SS_mST_SW_bEUlT_E_NS1_11comp_targetILNS1_3genE5ELNS1_11target_archE942ELNS1_3gpuE9ELNS1_3repE0EEENS1_30default_config_static_selectorELNS0_4arch9wavefront6targetE1EEEvSQ_,@function
_ZN7rocprim17ROCPRIM_400000_NS6detail17trampoline_kernelINS0_14default_configENS1_27lower_bound_config_selectorIjjEEZNS1_14transform_implILb0ES3_S5_N6thrust23THRUST_200600_302600_NS17counting_iteratorIjNS8_11use_defaultESA_SA_EENS8_6detail15normal_iteratorINS8_10device_ptrIjEEEEZNS1_13binary_searchIS3_S5_SG_SB_SG_NS1_21lower_bound_search_opENSC_16wrapped_functionINS0_4lessIvEEbEEEE10hipError_tPvRmT1_T2_T3_mmT4_T5_P12ihipStream_tbEUlRKjE_EESN_SR_SS_mST_SW_bEUlT_E_NS1_11comp_targetILNS1_3genE5ELNS1_11target_archE942ELNS1_3gpuE9ELNS1_3repE0EEENS1_30default_config_static_selectorELNS0_4arch9wavefront6targetE1EEEvSQ_: ; @_ZN7rocprim17ROCPRIM_400000_NS6detail17trampoline_kernelINS0_14default_configENS1_27lower_bound_config_selectorIjjEEZNS1_14transform_implILb0ES3_S5_N6thrust23THRUST_200600_302600_NS17counting_iteratorIjNS8_11use_defaultESA_SA_EENS8_6detail15normal_iteratorINS8_10device_ptrIjEEEEZNS1_13binary_searchIS3_S5_SG_SB_SG_NS1_21lower_bound_search_opENSC_16wrapped_functionINS0_4lessIvEEbEEEE10hipError_tPvRmT1_T2_T3_mmT4_T5_P12ihipStream_tbEUlRKjE_EESN_SR_SS_mST_SW_bEUlT_E_NS1_11comp_targetILNS1_3genE5ELNS1_11target_archE942ELNS1_3gpuE9ELNS1_3repE0EEENS1_30default_config_static_selectorELNS0_4arch9wavefront6targetE1EEEvSQ_
; %bb.0:
	.section	.rodata,"a",@progbits
	.p2align	6, 0x0
	.amdhsa_kernel _ZN7rocprim17ROCPRIM_400000_NS6detail17trampoline_kernelINS0_14default_configENS1_27lower_bound_config_selectorIjjEEZNS1_14transform_implILb0ES3_S5_N6thrust23THRUST_200600_302600_NS17counting_iteratorIjNS8_11use_defaultESA_SA_EENS8_6detail15normal_iteratorINS8_10device_ptrIjEEEEZNS1_13binary_searchIS3_S5_SG_SB_SG_NS1_21lower_bound_search_opENSC_16wrapped_functionINS0_4lessIvEEbEEEE10hipError_tPvRmT1_T2_T3_mmT4_T5_P12ihipStream_tbEUlRKjE_EESN_SR_SS_mST_SW_bEUlT_E_NS1_11comp_targetILNS1_3genE5ELNS1_11target_archE942ELNS1_3gpuE9ELNS1_3repE0EEENS1_30default_config_static_selectorELNS0_4arch9wavefront6targetE1EEEvSQ_
		.amdhsa_group_segment_fixed_size 0
		.amdhsa_private_segment_fixed_size 0
		.amdhsa_kernarg_size 56
		.amdhsa_user_sgpr_count 6
		.amdhsa_user_sgpr_private_segment_buffer 1
		.amdhsa_user_sgpr_dispatch_ptr 0
		.amdhsa_user_sgpr_queue_ptr 0
		.amdhsa_user_sgpr_kernarg_segment_ptr 1
		.amdhsa_user_sgpr_dispatch_id 0
		.amdhsa_user_sgpr_flat_scratch_init 0
		.amdhsa_user_sgpr_kernarg_preload_length 0
		.amdhsa_user_sgpr_kernarg_preload_offset 0
		.amdhsa_user_sgpr_private_segment_size 0
		.amdhsa_uses_dynamic_stack 0
		.amdhsa_system_sgpr_private_segment_wavefront_offset 0
		.amdhsa_system_sgpr_workgroup_id_x 1
		.amdhsa_system_sgpr_workgroup_id_y 0
		.amdhsa_system_sgpr_workgroup_id_z 0
		.amdhsa_system_sgpr_workgroup_info 0
		.amdhsa_system_vgpr_workitem_id 0
		.amdhsa_next_free_vgpr 1
		.amdhsa_next_free_sgpr 0
		.amdhsa_accum_offset 4
		.amdhsa_reserve_vcc 0
		.amdhsa_reserve_flat_scratch 0
		.amdhsa_float_round_mode_32 0
		.amdhsa_float_round_mode_16_64 0
		.amdhsa_float_denorm_mode_32 3
		.amdhsa_float_denorm_mode_16_64 3
		.amdhsa_dx10_clamp 1
		.amdhsa_ieee_mode 1
		.amdhsa_fp16_overflow 0
		.amdhsa_tg_split 0
		.amdhsa_exception_fp_ieee_invalid_op 0
		.amdhsa_exception_fp_denorm_src 0
		.amdhsa_exception_fp_ieee_div_zero 0
		.amdhsa_exception_fp_ieee_overflow 0
		.amdhsa_exception_fp_ieee_underflow 0
		.amdhsa_exception_fp_ieee_inexact 0
		.amdhsa_exception_int_div_zero 0
	.end_amdhsa_kernel
	.section	.text._ZN7rocprim17ROCPRIM_400000_NS6detail17trampoline_kernelINS0_14default_configENS1_27lower_bound_config_selectorIjjEEZNS1_14transform_implILb0ES3_S5_N6thrust23THRUST_200600_302600_NS17counting_iteratorIjNS8_11use_defaultESA_SA_EENS8_6detail15normal_iteratorINS8_10device_ptrIjEEEEZNS1_13binary_searchIS3_S5_SG_SB_SG_NS1_21lower_bound_search_opENSC_16wrapped_functionINS0_4lessIvEEbEEEE10hipError_tPvRmT1_T2_T3_mmT4_T5_P12ihipStream_tbEUlRKjE_EESN_SR_SS_mST_SW_bEUlT_E_NS1_11comp_targetILNS1_3genE5ELNS1_11target_archE942ELNS1_3gpuE9ELNS1_3repE0EEENS1_30default_config_static_selectorELNS0_4arch9wavefront6targetE1EEEvSQ_,"axG",@progbits,_ZN7rocprim17ROCPRIM_400000_NS6detail17trampoline_kernelINS0_14default_configENS1_27lower_bound_config_selectorIjjEEZNS1_14transform_implILb0ES3_S5_N6thrust23THRUST_200600_302600_NS17counting_iteratorIjNS8_11use_defaultESA_SA_EENS8_6detail15normal_iteratorINS8_10device_ptrIjEEEEZNS1_13binary_searchIS3_S5_SG_SB_SG_NS1_21lower_bound_search_opENSC_16wrapped_functionINS0_4lessIvEEbEEEE10hipError_tPvRmT1_T2_T3_mmT4_T5_P12ihipStream_tbEUlRKjE_EESN_SR_SS_mST_SW_bEUlT_E_NS1_11comp_targetILNS1_3genE5ELNS1_11target_archE942ELNS1_3gpuE9ELNS1_3repE0EEENS1_30default_config_static_selectorELNS0_4arch9wavefront6targetE1EEEvSQ_,comdat
.Lfunc_end231:
	.size	_ZN7rocprim17ROCPRIM_400000_NS6detail17trampoline_kernelINS0_14default_configENS1_27lower_bound_config_selectorIjjEEZNS1_14transform_implILb0ES3_S5_N6thrust23THRUST_200600_302600_NS17counting_iteratorIjNS8_11use_defaultESA_SA_EENS8_6detail15normal_iteratorINS8_10device_ptrIjEEEEZNS1_13binary_searchIS3_S5_SG_SB_SG_NS1_21lower_bound_search_opENSC_16wrapped_functionINS0_4lessIvEEbEEEE10hipError_tPvRmT1_T2_T3_mmT4_T5_P12ihipStream_tbEUlRKjE_EESN_SR_SS_mST_SW_bEUlT_E_NS1_11comp_targetILNS1_3genE5ELNS1_11target_archE942ELNS1_3gpuE9ELNS1_3repE0EEENS1_30default_config_static_selectorELNS0_4arch9wavefront6targetE1EEEvSQ_, .Lfunc_end231-_ZN7rocprim17ROCPRIM_400000_NS6detail17trampoline_kernelINS0_14default_configENS1_27lower_bound_config_selectorIjjEEZNS1_14transform_implILb0ES3_S5_N6thrust23THRUST_200600_302600_NS17counting_iteratorIjNS8_11use_defaultESA_SA_EENS8_6detail15normal_iteratorINS8_10device_ptrIjEEEEZNS1_13binary_searchIS3_S5_SG_SB_SG_NS1_21lower_bound_search_opENSC_16wrapped_functionINS0_4lessIvEEbEEEE10hipError_tPvRmT1_T2_T3_mmT4_T5_P12ihipStream_tbEUlRKjE_EESN_SR_SS_mST_SW_bEUlT_E_NS1_11comp_targetILNS1_3genE5ELNS1_11target_archE942ELNS1_3gpuE9ELNS1_3repE0EEENS1_30default_config_static_selectorELNS0_4arch9wavefront6targetE1EEEvSQ_
                                        ; -- End function
	.section	.AMDGPU.csdata,"",@progbits
; Kernel info:
; codeLenInByte = 0
; NumSgprs: 4
; NumVgprs: 0
; NumAgprs: 0
; TotalNumVgprs: 0
; ScratchSize: 0
; MemoryBound: 0
; FloatMode: 240
; IeeeMode: 1
; LDSByteSize: 0 bytes/workgroup (compile time only)
; SGPRBlocks: 0
; VGPRBlocks: 0
; NumSGPRsForWavesPerEU: 4
; NumVGPRsForWavesPerEU: 1
; AccumOffset: 4
; Occupancy: 8
; WaveLimiterHint : 0
; COMPUTE_PGM_RSRC2:SCRATCH_EN: 0
; COMPUTE_PGM_RSRC2:USER_SGPR: 6
; COMPUTE_PGM_RSRC2:TRAP_HANDLER: 0
; COMPUTE_PGM_RSRC2:TGID_X_EN: 1
; COMPUTE_PGM_RSRC2:TGID_Y_EN: 0
; COMPUTE_PGM_RSRC2:TGID_Z_EN: 0
; COMPUTE_PGM_RSRC2:TIDIG_COMP_CNT: 0
; COMPUTE_PGM_RSRC3_GFX90A:ACCUM_OFFSET: 0
; COMPUTE_PGM_RSRC3_GFX90A:TG_SPLIT: 0
	.section	.text._ZN7rocprim17ROCPRIM_400000_NS6detail17trampoline_kernelINS0_14default_configENS1_27lower_bound_config_selectorIjjEEZNS1_14transform_implILb0ES3_S5_N6thrust23THRUST_200600_302600_NS17counting_iteratorIjNS8_11use_defaultESA_SA_EENS8_6detail15normal_iteratorINS8_10device_ptrIjEEEEZNS1_13binary_searchIS3_S5_SG_SB_SG_NS1_21lower_bound_search_opENSC_16wrapped_functionINS0_4lessIvEEbEEEE10hipError_tPvRmT1_T2_T3_mmT4_T5_P12ihipStream_tbEUlRKjE_EESN_SR_SS_mST_SW_bEUlT_E_NS1_11comp_targetILNS1_3genE4ELNS1_11target_archE910ELNS1_3gpuE8ELNS1_3repE0EEENS1_30default_config_static_selectorELNS0_4arch9wavefront6targetE1EEEvSQ_,"axG",@progbits,_ZN7rocprim17ROCPRIM_400000_NS6detail17trampoline_kernelINS0_14default_configENS1_27lower_bound_config_selectorIjjEEZNS1_14transform_implILb0ES3_S5_N6thrust23THRUST_200600_302600_NS17counting_iteratorIjNS8_11use_defaultESA_SA_EENS8_6detail15normal_iteratorINS8_10device_ptrIjEEEEZNS1_13binary_searchIS3_S5_SG_SB_SG_NS1_21lower_bound_search_opENSC_16wrapped_functionINS0_4lessIvEEbEEEE10hipError_tPvRmT1_T2_T3_mmT4_T5_P12ihipStream_tbEUlRKjE_EESN_SR_SS_mST_SW_bEUlT_E_NS1_11comp_targetILNS1_3genE4ELNS1_11target_archE910ELNS1_3gpuE8ELNS1_3repE0EEENS1_30default_config_static_selectorELNS0_4arch9wavefront6targetE1EEEvSQ_,comdat
	.protected	_ZN7rocprim17ROCPRIM_400000_NS6detail17trampoline_kernelINS0_14default_configENS1_27lower_bound_config_selectorIjjEEZNS1_14transform_implILb0ES3_S5_N6thrust23THRUST_200600_302600_NS17counting_iteratorIjNS8_11use_defaultESA_SA_EENS8_6detail15normal_iteratorINS8_10device_ptrIjEEEEZNS1_13binary_searchIS3_S5_SG_SB_SG_NS1_21lower_bound_search_opENSC_16wrapped_functionINS0_4lessIvEEbEEEE10hipError_tPvRmT1_T2_T3_mmT4_T5_P12ihipStream_tbEUlRKjE_EESN_SR_SS_mST_SW_bEUlT_E_NS1_11comp_targetILNS1_3genE4ELNS1_11target_archE910ELNS1_3gpuE8ELNS1_3repE0EEENS1_30default_config_static_selectorELNS0_4arch9wavefront6targetE1EEEvSQ_ ; -- Begin function _ZN7rocprim17ROCPRIM_400000_NS6detail17trampoline_kernelINS0_14default_configENS1_27lower_bound_config_selectorIjjEEZNS1_14transform_implILb0ES3_S5_N6thrust23THRUST_200600_302600_NS17counting_iteratorIjNS8_11use_defaultESA_SA_EENS8_6detail15normal_iteratorINS8_10device_ptrIjEEEEZNS1_13binary_searchIS3_S5_SG_SB_SG_NS1_21lower_bound_search_opENSC_16wrapped_functionINS0_4lessIvEEbEEEE10hipError_tPvRmT1_T2_T3_mmT4_T5_P12ihipStream_tbEUlRKjE_EESN_SR_SS_mST_SW_bEUlT_E_NS1_11comp_targetILNS1_3genE4ELNS1_11target_archE910ELNS1_3gpuE8ELNS1_3repE0EEENS1_30default_config_static_selectorELNS0_4arch9wavefront6targetE1EEEvSQ_
	.globl	_ZN7rocprim17ROCPRIM_400000_NS6detail17trampoline_kernelINS0_14default_configENS1_27lower_bound_config_selectorIjjEEZNS1_14transform_implILb0ES3_S5_N6thrust23THRUST_200600_302600_NS17counting_iteratorIjNS8_11use_defaultESA_SA_EENS8_6detail15normal_iteratorINS8_10device_ptrIjEEEEZNS1_13binary_searchIS3_S5_SG_SB_SG_NS1_21lower_bound_search_opENSC_16wrapped_functionINS0_4lessIvEEbEEEE10hipError_tPvRmT1_T2_T3_mmT4_T5_P12ihipStream_tbEUlRKjE_EESN_SR_SS_mST_SW_bEUlT_E_NS1_11comp_targetILNS1_3genE4ELNS1_11target_archE910ELNS1_3gpuE8ELNS1_3repE0EEENS1_30default_config_static_selectorELNS0_4arch9wavefront6targetE1EEEvSQ_
	.p2align	8
	.type	_ZN7rocprim17ROCPRIM_400000_NS6detail17trampoline_kernelINS0_14default_configENS1_27lower_bound_config_selectorIjjEEZNS1_14transform_implILb0ES3_S5_N6thrust23THRUST_200600_302600_NS17counting_iteratorIjNS8_11use_defaultESA_SA_EENS8_6detail15normal_iteratorINS8_10device_ptrIjEEEEZNS1_13binary_searchIS3_S5_SG_SB_SG_NS1_21lower_bound_search_opENSC_16wrapped_functionINS0_4lessIvEEbEEEE10hipError_tPvRmT1_T2_T3_mmT4_T5_P12ihipStream_tbEUlRKjE_EESN_SR_SS_mST_SW_bEUlT_E_NS1_11comp_targetILNS1_3genE4ELNS1_11target_archE910ELNS1_3gpuE8ELNS1_3repE0EEENS1_30default_config_static_selectorELNS0_4arch9wavefront6targetE1EEEvSQ_,@function
_ZN7rocprim17ROCPRIM_400000_NS6detail17trampoline_kernelINS0_14default_configENS1_27lower_bound_config_selectorIjjEEZNS1_14transform_implILb0ES3_S5_N6thrust23THRUST_200600_302600_NS17counting_iteratorIjNS8_11use_defaultESA_SA_EENS8_6detail15normal_iteratorINS8_10device_ptrIjEEEEZNS1_13binary_searchIS3_S5_SG_SB_SG_NS1_21lower_bound_search_opENSC_16wrapped_functionINS0_4lessIvEEbEEEE10hipError_tPvRmT1_T2_T3_mmT4_T5_P12ihipStream_tbEUlRKjE_EESN_SR_SS_mST_SW_bEUlT_E_NS1_11comp_targetILNS1_3genE4ELNS1_11target_archE910ELNS1_3gpuE8ELNS1_3repE0EEENS1_30default_config_static_selectorELNS0_4arch9wavefront6targetE1EEEvSQ_: ; @_ZN7rocprim17ROCPRIM_400000_NS6detail17trampoline_kernelINS0_14default_configENS1_27lower_bound_config_selectorIjjEEZNS1_14transform_implILb0ES3_S5_N6thrust23THRUST_200600_302600_NS17counting_iteratorIjNS8_11use_defaultESA_SA_EENS8_6detail15normal_iteratorINS8_10device_ptrIjEEEEZNS1_13binary_searchIS3_S5_SG_SB_SG_NS1_21lower_bound_search_opENSC_16wrapped_functionINS0_4lessIvEEbEEEE10hipError_tPvRmT1_T2_T3_mmT4_T5_P12ihipStream_tbEUlRKjE_EESN_SR_SS_mST_SW_bEUlT_E_NS1_11comp_targetILNS1_3genE4ELNS1_11target_archE910ELNS1_3gpuE8ELNS1_3repE0EEENS1_30default_config_static_selectorELNS0_4arch9wavefront6targetE1EEEvSQ_
; %bb.0:
	s_load_dword s16, s[4:5], 0x0
	s_load_dwordx2 s[8:9], s[4:5], 0x8
	s_load_dword s7, s[4:5], 0x38
	s_load_dwordx4 s[0:3], s[4:5], 0x18
	s_load_dwordx2 s[12:13], s[4:5], 0x28
	s_lshl_b32 s10, s6, 8
	s_waitcnt lgkmcnt(0)
	s_add_i32 s16, s16, s8
	s_add_i32 s7, s7, -1
	s_cmp_lg_u32 s6, s7
	s_mov_b32 s11, 0
	s_cbranch_scc0 .LBB232_5
; %bb.1:
	s_cmp_eq_u64 s[12:13], 0
	s_mov_b64 s[14:15], 0
	s_cbranch_scc1 .LBB232_6
; %bb.2:
	s_add_i32 s6, s16, s10
	v_add_u32_e32 v1, s6, v0
	s_mov_b64 s[6:7], 0
	v_pk_mov_b32 v[2:3], 0, 0
	v_pk_mov_b32 v[4:5], s[12:13], s[12:13] op_sel:[0,1]
	v_mov_b32_e32 v6, s3
.LBB232_3:                              ; =>This Inner Loop Header: Depth=1
	v_sub_co_u32_e32 v8, vcc, v4, v2
	v_subb_co_u32_e32 v9, vcc, v5, v3, vcc
	v_lshrrev_b64 v[10:11], 1, v[8:9]
	v_add_co_u32_e32 v7, vcc, v10, v2
	v_lshrrev_b64 v[8:9], 6, v[8:9]
	v_addc_co_u32_e32 v10, vcc, v11, v3, vcc
	v_add_co_u32_e32 v8, vcc, v7, v8
	v_addc_co_u32_e32 v9, vcc, v10, v9, vcc
	v_lshlrev_b64 v[10:11], 2, v[8:9]
	v_add_co_u32_e32 v10, vcc, s2, v10
	v_addc_co_u32_e32 v11, vcc, v6, v11, vcc
	global_load_dword v7, v[10:11], off
	v_add_co_u32_e32 v10, vcc, 1, v8
	v_addc_co_u32_e32 v11, vcc, 0, v9, vcc
	s_waitcnt vmcnt(0)
	v_cmp_lt_u32_e32 vcc, v7, v1
	v_cndmask_b32_e32 v5, v9, v5, vcc
	v_cndmask_b32_e32 v4, v8, v4, vcc
	;; [unrolled: 1-line block ×4, first 2 shown]
	v_cmp_ge_u64_e32 vcc, v[2:3], v[4:5]
	s_or_b64 s[6:7], vcc, s[6:7]
	s_andn2_b64 exec, exec, s[6:7]
	s_cbranch_execnz .LBB232_3
; %bb.4:
	s_or_b64 exec, exec, s[6:7]
	s_mov_b64 s[6:7], -1
	s_andn2_b64 vcc, exec, s[14:15]
	s_cbranch_vccz .LBB232_7
	s_branch .LBB232_14
.LBB232_5:
	s_mov_b64 s[6:7], 0
                                        ; implicit-def: $vgpr2
	s_branch .LBB232_7
.LBB232_6:
	v_mov_b32_e32 v2, 0
	s_mov_b64 s[6:7], -1
	s_andn2_b64 vcc, exec, s[14:15]
	s_cbranch_vccnz .LBB232_14
.LBB232_7:
	s_load_dword s4, s[4:5], 0x10
                                        ; implicit-def: $vgpr2
	s_waitcnt lgkmcnt(0)
	s_sub_i32 s4, s4, s10
	v_cmp_gt_u32_e64 s[6:7], s4, v0
	s_and_saveexec_b64 s[4:5], s[6:7]
	s_cbranch_execz .LBB232_13
; %bb.8:
	s_cmp_eq_u64 s[12:13], 0
	s_mov_b64 s[14:15], 0
	s_cbranch_scc1 .LBB232_12
; %bb.9:
	s_add_i32 s16, s16, s10
	v_add_u32_e32 v1, s16, v0
	v_pk_mov_b32 v[2:3], 0, 0
	v_pk_mov_b32 v[4:5], s[12:13], s[12:13] op_sel:[0,1]
	v_mov_b32_e32 v6, s3
.LBB232_10:                             ; =>This Inner Loop Header: Depth=1
	v_sub_co_u32_e32 v8, vcc, v4, v2
	v_subb_co_u32_e32 v9, vcc, v5, v3, vcc
	v_lshrrev_b64 v[10:11], 1, v[8:9]
	v_add_co_u32_e32 v7, vcc, v10, v2
	v_lshrrev_b64 v[8:9], 6, v[8:9]
	v_addc_co_u32_e32 v10, vcc, v11, v3, vcc
	v_add_co_u32_e32 v8, vcc, v7, v8
	v_addc_co_u32_e32 v9, vcc, v10, v9, vcc
	v_lshlrev_b64 v[10:11], 2, v[8:9]
	v_add_co_u32_e32 v10, vcc, s2, v10
	v_addc_co_u32_e32 v11, vcc, v6, v11, vcc
	global_load_dword v7, v[10:11], off
	v_add_co_u32_e32 v10, vcc, 1, v8
	v_addc_co_u32_e32 v11, vcc, 0, v9, vcc
	s_waitcnt vmcnt(0)
	v_cmp_lt_u32_e32 vcc, v7, v1
	v_cndmask_b32_e32 v5, v9, v5, vcc
	v_cndmask_b32_e32 v4, v8, v4, vcc
	;; [unrolled: 1-line block ×4, first 2 shown]
	v_cmp_ge_u64_e32 vcc, v[2:3], v[4:5]
	s_or_b64 s[14:15], vcc, s[14:15]
	s_andn2_b64 exec, exec, s[14:15]
	s_cbranch_execnz .LBB232_10
; %bb.11:
	s_or_b64 exec, exec, s[14:15]
	s_branch .LBB232_13
.LBB232_12:
	v_mov_b32_e32 v2, 0
.LBB232_13:
	s_or_b64 exec, exec, s[4:5]
.LBB232_14:
	s_and_saveexec_b64 s[2:3], s[6:7]
	s_cbranch_execnz .LBB232_16
; %bb.15:
	s_endpgm
.LBB232_16:
	s_lshl_b64 s[2:3], s[8:9], 2
	s_add_u32 s2, s0, s2
	s_addc_u32 s3, s1, s3
	s_lshl_b64 s[0:1], s[10:11], 2
	s_add_u32 s0, s2, s0
	s_addc_u32 s1, s3, s1
	v_lshlrev_b32_e32 v0, 2, v0
	v_mov_b32_e32 v1, s1
	v_add_co_u32_e32 v0, vcc, s0, v0
	v_addc_co_u32_e32 v1, vcc, 0, v1, vcc
	flat_store_dword v[0:1], v2
	s_endpgm
	.section	.rodata,"a",@progbits
	.p2align	6, 0x0
	.amdhsa_kernel _ZN7rocprim17ROCPRIM_400000_NS6detail17trampoline_kernelINS0_14default_configENS1_27lower_bound_config_selectorIjjEEZNS1_14transform_implILb0ES3_S5_N6thrust23THRUST_200600_302600_NS17counting_iteratorIjNS8_11use_defaultESA_SA_EENS8_6detail15normal_iteratorINS8_10device_ptrIjEEEEZNS1_13binary_searchIS3_S5_SG_SB_SG_NS1_21lower_bound_search_opENSC_16wrapped_functionINS0_4lessIvEEbEEEE10hipError_tPvRmT1_T2_T3_mmT4_T5_P12ihipStream_tbEUlRKjE_EESN_SR_SS_mST_SW_bEUlT_E_NS1_11comp_targetILNS1_3genE4ELNS1_11target_archE910ELNS1_3gpuE8ELNS1_3repE0EEENS1_30default_config_static_selectorELNS0_4arch9wavefront6targetE1EEEvSQ_
		.amdhsa_group_segment_fixed_size 0
		.amdhsa_private_segment_fixed_size 0
		.amdhsa_kernarg_size 312
		.amdhsa_user_sgpr_count 6
		.amdhsa_user_sgpr_private_segment_buffer 1
		.amdhsa_user_sgpr_dispatch_ptr 0
		.amdhsa_user_sgpr_queue_ptr 0
		.amdhsa_user_sgpr_kernarg_segment_ptr 1
		.amdhsa_user_sgpr_dispatch_id 0
		.amdhsa_user_sgpr_flat_scratch_init 0
		.amdhsa_user_sgpr_kernarg_preload_length 0
		.amdhsa_user_sgpr_kernarg_preload_offset 0
		.amdhsa_user_sgpr_private_segment_size 0
		.amdhsa_uses_dynamic_stack 0
		.amdhsa_system_sgpr_private_segment_wavefront_offset 0
		.amdhsa_system_sgpr_workgroup_id_x 1
		.amdhsa_system_sgpr_workgroup_id_y 0
		.amdhsa_system_sgpr_workgroup_id_z 0
		.amdhsa_system_sgpr_workgroup_info 0
		.amdhsa_system_vgpr_workitem_id 0
		.amdhsa_next_free_vgpr 12
		.amdhsa_next_free_sgpr 17
		.amdhsa_accum_offset 12
		.amdhsa_reserve_vcc 1
		.amdhsa_reserve_flat_scratch 0
		.amdhsa_float_round_mode_32 0
		.amdhsa_float_round_mode_16_64 0
		.amdhsa_float_denorm_mode_32 3
		.amdhsa_float_denorm_mode_16_64 3
		.amdhsa_dx10_clamp 1
		.amdhsa_ieee_mode 1
		.amdhsa_fp16_overflow 0
		.amdhsa_tg_split 0
		.amdhsa_exception_fp_ieee_invalid_op 0
		.amdhsa_exception_fp_denorm_src 0
		.amdhsa_exception_fp_ieee_div_zero 0
		.amdhsa_exception_fp_ieee_overflow 0
		.amdhsa_exception_fp_ieee_underflow 0
		.amdhsa_exception_fp_ieee_inexact 0
		.amdhsa_exception_int_div_zero 0
	.end_amdhsa_kernel
	.section	.text._ZN7rocprim17ROCPRIM_400000_NS6detail17trampoline_kernelINS0_14default_configENS1_27lower_bound_config_selectorIjjEEZNS1_14transform_implILb0ES3_S5_N6thrust23THRUST_200600_302600_NS17counting_iteratorIjNS8_11use_defaultESA_SA_EENS8_6detail15normal_iteratorINS8_10device_ptrIjEEEEZNS1_13binary_searchIS3_S5_SG_SB_SG_NS1_21lower_bound_search_opENSC_16wrapped_functionINS0_4lessIvEEbEEEE10hipError_tPvRmT1_T2_T3_mmT4_T5_P12ihipStream_tbEUlRKjE_EESN_SR_SS_mST_SW_bEUlT_E_NS1_11comp_targetILNS1_3genE4ELNS1_11target_archE910ELNS1_3gpuE8ELNS1_3repE0EEENS1_30default_config_static_selectorELNS0_4arch9wavefront6targetE1EEEvSQ_,"axG",@progbits,_ZN7rocprim17ROCPRIM_400000_NS6detail17trampoline_kernelINS0_14default_configENS1_27lower_bound_config_selectorIjjEEZNS1_14transform_implILb0ES3_S5_N6thrust23THRUST_200600_302600_NS17counting_iteratorIjNS8_11use_defaultESA_SA_EENS8_6detail15normal_iteratorINS8_10device_ptrIjEEEEZNS1_13binary_searchIS3_S5_SG_SB_SG_NS1_21lower_bound_search_opENSC_16wrapped_functionINS0_4lessIvEEbEEEE10hipError_tPvRmT1_T2_T3_mmT4_T5_P12ihipStream_tbEUlRKjE_EESN_SR_SS_mST_SW_bEUlT_E_NS1_11comp_targetILNS1_3genE4ELNS1_11target_archE910ELNS1_3gpuE8ELNS1_3repE0EEENS1_30default_config_static_selectorELNS0_4arch9wavefront6targetE1EEEvSQ_,comdat
.Lfunc_end232:
	.size	_ZN7rocprim17ROCPRIM_400000_NS6detail17trampoline_kernelINS0_14default_configENS1_27lower_bound_config_selectorIjjEEZNS1_14transform_implILb0ES3_S5_N6thrust23THRUST_200600_302600_NS17counting_iteratorIjNS8_11use_defaultESA_SA_EENS8_6detail15normal_iteratorINS8_10device_ptrIjEEEEZNS1_13binary_searchIS3_S5_SG_SB_SG_NS1_21lower_bound_search_opENSC_16wrapped_functionINS0_4lessIvEEbEEEE10hipError_tPvRmT1_T2_T3_mmT4_T5_P12ihipStream_tbEUlRKjE_EESN_SR_SS_mST_SW_bEUlT_E_NS1_11comp_targetILNS1_3genE4ELNS1_11target_archE910ELNS1_3gpuE8ELNS1_3repE0EEENS1_30default_config_static_selectorELNS0_4arch9wavefront6targetE1EEEvSQ_, .Lfunc_end232-_ZN7rocprim17ROCPRIM_400000_NS6detail17trampoline_kernelINS0_14default_configENS1_27lower_bound_config_selectorIjjEEZNS1_14transform_implILb0ES3_S5_N6thrust23THRUST_200600_302600_NS17counting_iteratorIjNS8_11use_defaultESA_SA_EENS8_6detail15normal_iteratorINS8_10device_ptrIjEEEEZNS1_13binary_searchIS3_S5_SG_SB_SG_NS1_21lower_bound_search_opENSC_16wrapped_functionINS0_4lessIvEEbEEEE10hipError_tPvRmT1_T2_T3_mmT4_T5_P12ihipStream_tbEUlRKjE_EESN_SR_SS_mST_SW_bEUlT_E_NS1_11comp_targetILNS1_3genE4ELNS1_11target_archE910ELNS1_3gpuE8ELNS1_3repE0EEENS1_30default_config_static_selectorELNS0_4arch9wavefront6targetE1EEEvSQ_
                                        ; -- End function
	.section	.AMDGPU.csdata,"",@progbits
; Kernel info:
; codeLenInByte = 532
; NumSgprs: 21
; NumVgprs: 12
; NumAgprs: 0
; TotalNumVgprs: 12
; ScratchSize: 0
; MemoryBound: 0
; FloatMode: 240
; IeeeMode: 1
; LDSByteSize: 0 bytes/workgroup (compile time only)
; SGPRBlocks: 2
; VGPRBlocks: 1
; NumSGPRsForWavesPerEU: 21
; NumVGPRsForWavesPerEU: 12
; AccumOffset: 12
; Occupancy: 8
; WaveLimiterHint : 0
; COMPUTE_PGM_RSRC2:SCRATCH_EN: 0
; COMPUTE_PGM_RSRC2:USER_SGPR: 6
; COMPUTE_PGM_RSRC2:TRAP_HANDLER: 0
; COMPUTE_PGM_RSRC2:TGID_X_EN: 1
; COMPUTE_PGM_RSRC2:TGID_Y_EN: 0
; COMPUTE_PGM_RSRC2:TGID_Z_EN: 0
; COMPUTE_PGM_RSRC2:TIDIG_COMP_CNT: 0
; COMPUTE_PGM_RSRC3_GFX90A:ACCUM_OFFSET: 2
; COMPUTE_PGM_RSRC3_GFX90A:TG_SPLIT: 0
	.section	.text._ZN7rocprim17ROCPRIM_400000_NS6detail17trampoline_kernelINS0_14default_configENS1_27lower_bound_config_selectorIjjEEZNS1_14transform_implILb0ES3_S5_N6thrust23THRUST_200600_302600_NS17counting_iteratorIjNS8_11use_defaultESA_SA_EENS8_6detail15normal_iteratorINS8_10device_ptrIjEEEEZNS1_13binary_searchIS3_S5_SG_SB_SG_NS1_21lower_bound_search_opENSC_16wrapped_functionINS0_4lessIvEEbEEEE10hipError_tPvRmT1_T2_T3_mmT4_T5_P12ihipStream_tbEUlRKjE_EESN_SR_SS_mST_SW_bEUlT_E_NS1_11comp_targetILNS1_3genE3ELNS1_11target_archE908ELNS1_3gpuE7ELNS1_3repE0EEENS1_30default_config_static_selectorELNS0_4arch9wavefront6targetE1EEEvSQ_,"axG",@progbits,_ZN7rocprim17ROCPRIM_400000_NS6detail17trampoline_kernelINS0_14default_configENS1_27lower_bound_config_selectorIjjEEZNS1_14transform_implILb0ES3_S5_N6thrust23THRUST_200600_302600_NS17counting_iteratorIjNS8_11use_defaultESA_SA_EENS8_6detail15normal_iteratorINS8_10device_ptrIjEEEEZNS1_13binary_searchIS3_S5_SG_SB_SG_NS1_21lower_bound_search_opENSC_16wrapped_functionINS0_4lessIvEEbEEEE10hipError_tPvRmT1_T2_T3_mmT4_T5_P12ihipStream_tbEUlRKjE_EESN_SR_SS_mST_SW_bEUlT_E_NS1_11comp_targetILNS1_3genE3ELNS1_11target_archE908ELNS1_3gpuE7ELNS1_3repE0EEENS1_30default_config_static_selectorELNS0_4arch9wavefront6targetE1EEEvSQ_,comdat
	.protected	_ZN7rocprim17ROCPRIM_400000_NS6detail17trampoline_kernelINS0_14default_configENS1_27lower_bound_config_selectorIjjEEZNS1_14transform_implILb0ES3_S5_N6thrust23THRUST_200600_302600_NS17counting_iteratorIjNS8_11use_defaultESA_SA_EENS8_6detail15normal_iteratorINS8_10device_ptrIjEEEEZNS1_13binary_searchIS3_S5_SG_SB_SG_NS1_21lower_bound_search_opENSC_16wrapped_functionINS0_4lessIvEEbEEEE10hipError_tPvRmT1_T2_T3_mmT4_T5_P12ihipStream_tbEUlRKjE_EESN_SR_SS_mST_SW_bEUlT_E_NS1_11comp_targetILNS1_3genE3ELNS1_11target_archE908ELNS1_3gpuE7ELNS1_3repE0EEENS1_30default_config_static_selectorELNS0_4arch9wavefront6targetE1EEEvSQ_ ; -- Begin function _ZN7rocprim17ROCPRIM_400000_NS6detail17trampoline_kernelINS0_14default_configENS1_27lower_bound_config_selectorIjjEEZNS1_14transform_implILb0ES3_S5_N6thrust23THRUST_200600_302600_NS17counting_iteratorIjNS8_11use_defaultESA_SA_EENS8_6detail15normal_iteratorINS8_10device_ptrIjEEEEZNS1_13binary_searchIS3_S5_SG_SB_SG_NS1_21lower_bound_search_opENSC_16wrapped_functionINS0_4lessIvEEbEEEE10hipError_tPvRmT1_T2_T3_mmT4_T5_P12ihipStream_tbEUlRKjE_EESN_SR_SS_mST_SW_bEUlT_E_NS1_11comp_targetILNS1_3genE3ELNS1_11target_archE908ELNS1_3gpuE7ELNS1_3repE0EEENS1_30default_config_static_selectorELNS0_4arch9wavefront6targetE1EEEvSQ_
	.globl	_ZN7rocprim17ROCPRIM_400000_NS6detail17trampoline_kernelINS0_14default_configENS1_27lower_bound_config_selectorIjjEEZNS1_14transform_implILb0ES3_S5_N6thrust23THRUST_200600_302600_NS17counting_iteratorIjNS8_11use_defaultESA_SA_EENS8_6detail15normal_iteratorINS8_10device_ptrIjEEEEZNS1_13binary_searchIS3_S5_SG_SB_SG_NS1_21lower_bound_search_opENSC_16wrapped_functionINS0_4lessIvEEbEEEE10hipError_tPvRmT1_T2_T3_mmT4_T5_P12ihipStream_tbEUlRKjE_EESN_SR_SS_mST_SW_bEUlT_E_NS1_11comp_targetILNS1_3genE3ELNS1_11target_archE908ELNS1_3gpuE7ELNS1_3repE0EEENS1_30default_config_static_selectorELNS0_4arch9wavefront6targetE1EEEvSQ_
	.p2align	8
	.type	_ZN7rocprim17ROCPRIM_400000_NS6detail17trampoline_kernelINS0_14default_configENS1_27lower_bound_config_selectorIjjEEZNS1_14transform_implILb0ES3_S5_N6thrust23THRUST_200600_302600_NS17counting_iteratorIjNS8_11use_defaultESA_SA_EENS8_6detail15normal_iteratorINS8_10device_ptrIjEEEEZNS1_13binary_searchIS3_S5_SG_SB_SG_NS1_21lower_bound_search_opENSC_16wrapped_functionINS0_4lessIvEEbEEEE10hipError_tPvRmT1_T2_T3_mmT4_T5_P12ihipStream_tbEUlRKjE_EESN_SR_SS_mST_SW_bEUlT_E_NS1_11comp_targetILNS1_3genE3ELNS1_11target_archE908ELNS1_3gpuE7ELNS1_3repE0EEENS1_30default_config_static_selectorELNS0_4arch9wavefront6targetE1EEEvSQ_,@function
_ZN7rocprim17ROCPRIM_400000_NS6detail17trampoline_kernelINS0_14default_configENS1_27lower_bound_config_selectorIjjEEZNS1_14transform_implILb0ES3_S5_N6thrust23THRUST_200600_302600_NS17counting_iteratorIjNS8_11use_defaultESA_SA_EENS8_6detail15normal_iteratorINS8_10device_ptrIjEEEEZNS1_13binary_searchIS3_S5_SG_SB_SG_NS1_21lower_bound_search_opENSC_16wrapped_functionINS0_4lessIvEEbEEEE10hipError_tPvRmT1_T2_T3_mmT4_T5_P12ihipStream_tbEUlRKjE_EESN_SR_SS_mST_SW_bEUlT_E_NS1_11comp_targetILNS1_3genE3ELNS1_11target_archE908ELNS1_3gpuE7ELNS1_3repE0EEENS1_30default_config_static_selectorELNS0_4arch9wavefront6targetE1EEEvSQ_: ; @_ZN7rocprim17ROCPRIM_400000_NS6detail17trampoline_kernelINS0_14default_configENS1_27lower_bound_config_selectorIjjEEZNS1_14transform_implILb0ES3_S5_N6thrust23THRUST_200600_302600_NS17counting_iteratorIjNS8_11use_defaultESA_SA_EENS8_6detail15normal_iteratorINS8_10device_ptrIjEEEEZNS1_13binary_searchIS3_S5_SG_SB_SG_NS1_21lower_bound_search_opENSC_16wrapped_functionINS0_4lessIvEEbEEEE10hipError_tPvRmT1_T2_T3_mmT4_T5_P12ihipStream_tbEUlRKjE_EESN_SR_SS_mST_SW_bEUlT_E_NS1_11comp_targetILNS1_3genE3ELNS1_11target_archE908ELNS1_3gpuE7ELNS1_3repE0EEENS1_30default_config_static_selectorELNS0_4arch9wavefront6targetE1EEEvSQ_
; %bb.0:
	.section	.rodata,"a",@progbits
	.p2align	6, 0x0
	.amdhsa_kernel _ZN7rocprim17ROCPRIM_400000_NS6detail17trampoline_kernelINS0_14default_configENS1_27lower_bound_config_selectorIjjEEZNS1_14transform_implILb0ES3_S5_N6thrust23THRUST_200600_302600_NS17counting_iteratorIjNS8_11use_defaultESA_SA_EENS8_6detail15normal_iteratorINS8_10device_ptrIjEEEEZNS1_13binary_searchIS3_S5_SG_SB_SG_NS1_21lower_bound_search_opENSC_16wrapped_functionINS0_4lessIvEEbEEEE10hipError_tPvRmT1_T2_T3_mmT4_T5_P12ihipStream_tbEUlRKjE_EESN_SR_SS_mST_SW_bEUlT_E_NS1_11comp_targetILNS1_3genE3ELNS1_11target_archE908ELNS1_3gpuE7ELNS1_3repE0EEENS1_30default_config_static_selectorELNS0_4arch9wavefront6targetE1EEEvSQ_
		.amdhsa_group_segment_fixed_size 0
		.amdhsa_private_segment_fixed_size 0
		.amdhsa_kernarg_size 56
		.amdhsa_user_sgpr_count 6
		.amdhsa_user_sgpr_private_segment_buffer 1
		.amdhsa_user_sgpr_dispatch_ptr 0
		.amdhsa_user_sgpr_queue_ptr 0
		.amdhsa_user_sgpr_kernarg_segment_ptr 1
		.amdhsa_user_sgpr_dispatch_id 0
		.amdhsa_user_sgpr_flat_scratch_init 0
		.amdhsa_user_sgpr_kernarg_preload_length 0
		.amdhsa_user_sgpr_kernarg_preload_offset 0
		.amdhsa_user_sgpr_private_segment_size 0
		.amdhsa_uses_dynamic_stack 0
		.amdhsa_system_sgpr_private_segment_wavefront_offset 0
		.amdhsa_system_sgpr_workgroup_id_x 1
		.amdhsa_system_sgpr_workgroup_id_y 0
		.amdhsa_system_sgpr_workgroup_id_z 0
		.amdhsa_system_sgpr_workgroup_info 0
		.amdhsa_system_vgpr_workitem_id 0
		.amdhsa_next_free_vgpr 1
		.amdhsa_next_free_sgpr 0
		.amdhsa_accum_offset 4
		.amdhsa_reserve_vcc 0
		.amdhsa_reserve_flat_scratch 0
		.amdhsa_float_round_mode_32 0
		.amdhsa_float_round_mode_16_64 0
		.amdhsa_float_denorm_mode_32 3
		.amdhsa_float_denorm_mode_16_64 3
		.amdhsa_dx10_clamp 1
		.amdhsa_ieee_mode 1
		.amdhsa_fp16_overflow 0
		.amdhsa_tg_split 0
		.amdhsa_exception_fp_ieee_invalid_op 0
		.amdhsa_exception_fp_denorm_src 0
		.amdhsa_exception_fp_ieee_div_zero 0
		.amdhsa_exception_fp_ieee_overflow 0
		.amdhsa_exception_fp_ieee_underflow 0
		.amdhsa_exception_fp_ieee_inexact 0
		.amdhsa_exception_int_div_zero 0
	.end_amdhsa_kernel
	.section	.text._ZN7rocprim17ROCPRIM_400000_NS6detail17trampoline_kernelINS0_14default_configENS1_27lower_bound_config_selectorIjjEEZNS1_14transform_implILb0ES3_S5_N6thrust23THRUST_200600_302600_NS17counting_iteratorIjNS8_11use_defaultESA_SA_EENS8_6detail15normal_iteratorINS8_10device_ptrIjEEEEZNS1_13binary_searchIS3_S5_SG_SB_SG_NS1_21lower_bound_search_opENSC_16wrapped_functionINS0_4lessIvEEbEEEE10hipError_tPvRmT1_T2_T3_mmT4_T5_P12ihipStream_tbEUlRKjE_EESN_SR_SS_mST_SW_bEUlT_E_NS1_11comp_targetILNS1_3genE3ELNS1_11target_archE908ELNS1_3gpuE7ELNS1_3repE0EEENS1_30default_config_static_selectorELNS0_4arch9wavefront6targetE1EEEvSQ_,"axG",@progbits,_ZN7rocprim17ROCPRIM_400000_NS6detail17trampoline_kernelINS0_14default_configENS1_27lower_bound_config_selectorIjjEEZNS1_14transform_implILb0ES3_S5_N6thrust23THRUST_200600_302600_NS17counting_iteratorIjNS8_11use_defaultESA_SA_EENS8_6detail15normal_iteratorINS8_10device_ptrIjEEEEZNS1_13binary_searchIS3_S5_SG_SB_SG_NS1_21lower_bound_search_opENSC_16wrapped_functionINS0_4lessIvEEbEEEE10hipError_tPvRmT1_T2_T3_mmT4_T5_P12ihipStream_tbEUlRKjE_EESN_SR_SS_mST_SW_bEUlT_E_NS1_11comp_targetILNS1_3genE3ELNS1_11target_archE908ELNS1_3gpuE7ELNS1_3repE0EEENS1_30default_config_static_selectorELNS0_4arch9wavefront6targetE1EEEvSQ_,comdat
.Lfunc_end233:
	.size	_ZN7rocprim17ROCPRIM_400000_NS6detail17trampoline_kernelINS0_14default_configENS1_27lower_bound_config_selectorIjjEEZNS1_14transform_implILb0ES3_S5_N6thrust23THRUST_200600_302600_NS17counting_iteratorIjNS8_11use_defaultESA_SA_EENS8_6detail15normal_iteratorINS8_10device_ptrIjEEEEZNS1_13binary_searchIS3_S5_SG_SB_SG_NS1_21lower_bound_search_opENSC_16wrapped_functionINS0_4lessIvEEbEEEE10hipError_tPvRmT1_T2_T3_mmT4_T5_P12ihipStream_tbEUlRKjE_EESN_SR_SS_mST_SW_bEUlT_E_NS1_11comp_targetILNS1_3genE3ELNS1_11target_archE908ELNS1_3gpuE7ELNS1_3repE0EEENS1_30default_config_static_selectorELNS0_4arch9wavefront6targetE1EEEvSQ_, .Lfunc_end233-_ZN7rocprim17ROCPRIM_400000_NS6detail17trampoline_kernelINS0_14default_configENS1_27lower_bound_config_selectorIjjEEZNS1_14transform_implILb0ES3_S5_N6thrust23THRUST_200600_302600_NS17counting_iteratorIjNS8_11use_defaultESA_SA_EENS8_6detail15normal_iteratorINS8_10device_ptrIjEEEEZNS1_13binary_searchIS3_S5_SG_SB_SG_NS1_21lower_bound_search_opENSC_16wrapped_functionINS0_4lessIvEEbEEEE10hipError_tPvRmT1_T2_T3_mmT4_T5_P12ihipStream_tbEUlRKjE_EESN_SR_SS_mST_SW_bEUlT_E_NS1_11comp_targetILNS1_3genE3ELNS1_11target_archE908ELNS1_3gpuE7ELNS1_3repE0EEENS1_30default_config_static_selectorELNS0_4arch9wavefront6targetE1EEEvSQ_
                                        ; -- End function
	.section	.AMDGPU.csdata,"",@progbits
; Kernel info:
; codeLenInByte = 0
; NumSgprs: 4
; NumVgprs: 0
; NumAgprs: 0
; TotalNumVgprs: 0
; ScratchSize: 0
; MemoryBound: 0
; FloatMode: 240
; IeeeMode: 1
; LDSByteSize: 0 bytes/workgroup (compile time only)
; SGPRBlocks: 0
; VGPRBlocks: 0
; NumSGPRsForWavesPerEU: 4
; NumVGPRsForWavesPerEU: 1
; AccumOffset: 4
; Occupancy: 8
; WaveLimiterHint : 0
; COMPUTE_PGM_RSRC2:SCRATCH_EN: 0
; COMPUTE_PGM_RSRC2:USER_SGPR: 6
; COMPUTE_PGM_RSRC2:TRAP_HANDLER: 0
; COMPUTE_PGM_RSRC2:TGID_X_EN: 1
; COMPUTE_PGM_RSRC2:TGID_Y_EN: 0
; COMPUTE_PGM_RSRC2:TGID_Z_EN: 0
; COMPUTE_PGM_RSRC2:TIDIG_COMP_CNT: 0
; COMPUTE_PGM_RSRC3_GFX90A:ACCUM_OFFSET: 0
; COMPUTE_PGM_RSRC3_GFX90A:TG_SPLIT: 0
	.section	.text._ZN7rocprim17ROCPRIM_400000_NS6detail17trampoline_kernelINS0_14default_configENS1_27lower_bound_config_selectorIjjEEZNS1_14transform_implILb0ES3_S5_N6thrust23THRUST_200600_302600_NS17counting_iteratorIjNS8_11use_defaultESA_SA_EENS8_6detail15normal_iteratorINS8_10device_ptrIjEEEEZNS1_13binary_searchIS3_S5_SG_SB_SG_NS1_21lower_bound_search_opENSC_16wrapped_functionINS0_4lessIvEEbEEEE10hipError_tPvRmT1_T2_T3_mmT4_T5_P12ihipStream_tbEUlRKjE_EESN_SR_SS_mST_SW_bEUlT_E_NS1_11comp_targetILNS1_3genE2ELNS1_11target_archE906ELNS1_3gpuE6ELNS1_3repE0EEENS1_30default_config_static_selectorELNS0_4arch9wavefront6targetE1EEEvSQ_,"axG",@progbits,_ZN7rocprim17ROCPRIM_400000_NS6detail17trampoline_kernelINS0_14default_configENS1_27lower_bound_config_selectorIjjEEZNS1_14transform_implILb0ES3_S5_N6thrust23THRUST_200600_302600_NS17counting_iteratorIjNS8_11use_defaultESA_SA_EENS8_6detail15normal_iteratorINS8_10device_ptrIjEEEEZNS1_13binary_searchIS3_S5_SG_SB_SG_NS1_21lower_bound_search_opENSC_16wrapped_functionINS0_4lessIvEEbEEEE10hipError_tPvRmT1_T2_T3_mmT4_T5_P12ihipStream_tbEUlRKjE_EESN_SR_SS_mST_SW_bEUlT_E_NS1_11comp_targetILNS1_3genE2ELNS1_11target_archE906ELNS1_3gpuE6ELNS1_3repE0EEENS1_30default_config_static_selectorELNS0_4arch9wavefront6targetE1EEEvSQ_,comdat
	.protected	_ZN7rocprim17ROCPRIM_400000_NS6detail17trampoline_kernelINS0_14default_configENS1_27lower_bound_config_selectorIjjEEZNS1_14transform_implILb0ES3_S5_N6thrust23THRUST_200600_302600_NS17counting_iteratorIjNS8_11use_defaultESA_SA_EENS8_6detail15normal_iteratorINS8_10device_ptrIjEEEEZNS1_13binary_searchIS3_S5_SG_SB_SG_NS1_21lower_bound_search_opENSC_16wrapped_functionINS0_4lessIvEEbEEEE10hipError_tPvRmT1_T2_T3_mmT4_T5_P12ihipStream_tbEUlRKjE_EESN_SR_SS_mST_SW_bEUlT_E_NS1_11comp_targetILNS1_3genE2ELNS1_11target_archE906ELNS1_3gpuE6ELNS1_3repE0EEENS1_30default_config_static_selectorELNS0_4arch9wavefront6targetE1EEEvSQ_ ; -- Begin function _ZN7rocprim17ROCPRIM_400000_NS6detail17trampoline_kernelINS0_14default_configENS1_27lower_bound_config_selectorIjjEEZNS1_14transform_implILb0ES3_S5_N6thrust23THRUST_200600_302600_NS17counting_iteratorIjNS8_11use_defaultESA_SA_EENS8_6detail15normal_iteratorINS8_10device_ptrIjEEEEZNS1_13binary_searchIS3_S5_SG_SB_SG_NS1_21lower_bound_search_opENSC_16wrapped_functionINS0_4lessIvEEbEEEE10hipError_tPvRmT1_T2_T3_mmT4_T5_P12ihipStream_tbEUlRKjE_EESN_SR_SS_mST_SW_bEUlT_E_NS1_11comp_targetILNS1_3genE2ELNS1_11target_archE906ELNS1_3gpuE6ELNS1_3repE0EEENS1_30default_config_static_selectorELNS0_4arch9wavefront6targetE1EEEvSQ_
	.globl	_ZN7rocprim17ROCPRIM_400000_NS6detail17trampoline_kernelINS0_14default_configENS1_27lower_bound_config_selectorIjjEEZNS1_14transform_implILb0ES3_S5_N6thrust23THRUST_200600_302600_NS17counting_iteratorIjNS8_11use_defaultESA_SA_EENS8_6detail15normal_iteratorINS8_10device_ptrIjEEEEZNS1_13binary_searchIS3_S5_SG_SB_SG_NS1_21lower_bound_search_opENSC_16wrapped_functionINS0_4lessIvEEbEEEE10hipError_tPvRmT1_T2_T3_mmT4_T5_P12ihipStream_tbEUlRKjE_EESN_SR_SS_mST_SW_bEUlT_E_NS1_11comp_targetILNS1_3genE2ELNS1_11target_archE906ELNS1_3gpuE6ELNS1_3repE0EEENS1_30default_config_static_selectorELNS0_4arch9wavefront6targetE1EEEvSQ_
	.p2align	8
	.type	_ZN7rocprim17ROCPRIM_400000_NS6detail17trampoline_kernelINS0_14default_configENS1_27lower_bound_config_selectorIjjEEZNS1_14transform_implILb0ES3_S5_N6thrust23THRUST_200600_302600_NS17counting_iteratorIjNS8_11use_defaultESA_SA_EENS8_6detail15normal_iteratorINS8_10device_ptrIjEEEEZNS1_13binary_searchIS3_S5_SG_SB_SG_NS1_21lower_bound_search_opENSC_16wrapped_functionINS0_4lessIvEEbEEEE10hipError_tPvRmT1_T2_T3_mmT4_T5_P12ihipStream_tbEUlRKjE_EESN_SR_SS_mST_SW_bEUlT_E_NS1_11comp_targetILNS1_3genE2ELNS1_11target_archE906ELNS1_3gpuE6ELNS1_3repE0EEENS1_30default_config_static_selectorELNS0_4arch9wavefront6targetE1EEEvSQ_,@function
_ZN7rocprim17ROCPRIM_400000_NS6detail17trampoline_kernelINS0_14default_configENS1_27lower_bound_config_selectorIjjEEZNS1_14transform_implILb0ES3_S5_N6thrust23THRUST_200600_302600_NS17counting_iteratorIjNS8_11use_defaultESA_SA_EENS8_6detail15normal_iteratorINS8_10device_ptrIjEEEEZNS1_13binary_searchIS3_S5_SG_SB_SG_NS1_21lower_bound_search_opENSC_16wrapped_functionINS0_4lessIvEEbEEEE10hipError_tPvRmT1_T2_T3_mmT4_T5_P12ihipStream_tbEUlRKjE_EESN_SR_SS_mST_SW_bEUlT_E_NS1_11comp_targetILNS1_3genE2ELNS1_11target_archE906ELNS1_3gpuE6ELNS1_3repE0EEENS1_30default_config_static_selectorELNS0_4arch9wavefront6targetE1EEEvSQ_: ; @_ZN7rocprim17ROCPRIM_400000_NS6detail17trampoline_kernelINS0_14default_configENS1_27lower_bound_config_selectorIjjEEZNS1_14transform_implILb0ES3_S5_N6thrust23THRUST_200600_302600_NS17counting_iteratorIjNS8_11use_defaultESA_SA_EENS8_6detail15normal_iteratorINS8_10device_ptrIjEEEEZNS1_13binary_searchIS3_S5_SG_SB_SG_NS1_21lower_bound_search_opENSC_16wrapped_functionINS0_4lessIvEEbEEEE10hipError_tPvRmT1_T2_T3_mmT4_T5_P12ihipStream_tbEUlRKjE_EESN_SR_SS_mST_SW_bEUlT_E_NS1_11comp_targetILNS1_3genE2ELNS1_11target_archE906ELNS1_3gpuE6ELNS1_3repE0EEENS1_30default_config_static_selectorELNS0_4arch9wavefront6targetE1EEEvSQ_
; %bb.0:
	.section	.rodata,"a",@progbits
	.p2align	6, 0x0
	.amdhsa_kernel _ZN7rocprim17ROCPRIM_400000_NS6detail17trampoline_kernelINS0_14default_configENS1_27lower_bound_config_selectorIjjEEZNS1_14transform_implILb0ES3_S5_N6thrust23THRUST_200600_302600_NS17counting_iteratorIjNS8_11use_defaultESA_SA_EENS8_6detail15normal_iteratorINS8_10device_ptrIjEEEEZNS1_13binary_searchIS3_S5_SG_SB_SG_NS1_21lower_bound_search_opENSC_16wrapped_functionINS0_4lessIvEEbEEEE10hipError_tPvRmT1_T2_T3_mmT4_T5_P12ihipStream_tbEUlRKjE_EESN_SR_SS_mST_SW_bEUlT_E_NS1_11comp_targetILNS1_3genE2ELNS1_11target_archE906ELNS1_3gpuE6ELNS1_3repE0EEENS1_30default_config_static_selectorELNS0_4arch9wavefront6targetE1EEEvSQ_
		.amdhsa_group_segment_fixed_size 0
		.amdhsa_private_segment_fixed_size 0
		.amdhsa_kernarg_size 56
		.amdhsa_user_sgpr_count 6
		.amdhsa_user_sgpr_private_segment_buffer 1
		.amdhsa_user_sgpr_dispatch_ptr 0
		.amdhsa_user_sgpr_queue_ptr 0
		.amdhsa_user_sgpr_kernarg_segment_ptr 1
		.amdhsa_user_sgpr_dispatch_id 0
		.amdhsa_user_sgpr_flat_scratch_init 0
		.amdhsa_user_sgpr_kernarg_preload_length 0
		.amdhsa_user_sgpr_kernarg_preload_offset 0
		.amdhsa_user_sgpr_private_segment_size 0
		.amdhsa_uses_dynamic_stack 0
		.amdhsa_system_sgpr_private_segment_wavefront_offset 0
		.amdhsa_system_sgpr_workgroup_id_x 1
		.amdhsa_system_sgpr_workgroup_id_y 0
		.amdhsa_system_sgpr_workgroup_id_z 0
		.amdhsa_system_sgpr_workgroup_info 0
		.amdhsa_system_vgpr_workitem_id 0
		.amdhsa_next_free_vgpr 1
		.amdhsa_next_free_sgpr 0
		.amdhsa_accum_offset 4
		.amdhsa_reserve_vcc 0
		.amdhsa_reserve_flat_scratch 0
		.amdhsa_float_round_mode_32 0
		.amdhsa_float_round_mode_16_64 0
		.amdhsa_float_denorm_mode_32 3
		.amdhsa_float_denorm_mode_16_64 3
		.amdhsa_dx10_clamp 1
		.amdhsa_ieee_mode 1
		.amdhsa_fp16_overflow 0
		.amdhsa_tg_split 0
		.amdhsa_exception_fp_ieee_invalid_op 0
		.amdhsa_exception_fp_denorm_src 0
		.amdhsa_exception_fp_ieee_div_zero 0
		.amdhsa_exception_fp_ieee_overflow 0
		.amdhsa_exception_fp_ieee_underflow 0
		.amdhsa_exception_fp_ieee_inexact 0
		.amdhsa_exception_int_div_zero 0
	.end_amdhsa_kernel
	.section	.text._ZN7rocprim17ROCPRIM_400000_NS6detail17trampoline_kernelINS0_14default_configENS1_27lower_bound_config_selectorIjjEEZNS1_14transform_implILb0ES3_S5_N6thrust23THRUST_200600_302600_NS17counting_iteratorIjNS8_11use_defaultESA_SA_EENS8_6detail15normal_iteratorINS8_10device_ptrIjEEEEZNS1_13binary_searchIS3_S5_SG_SB_SG_NS1_21lower_bound_search_opENSC_16wrapped_functionINS0_4lessIvEEbEEEE10hipError_tPvRmT1_T2_T3_mmT4_T5_P12ihipStream_tbEUlRKjE_EESN_SR_SS_mST_SW_bEUlT_E_NS1_11comp_targetILNS1_3genE2ELNS1_11target_archE906ELNS1_3gpuE6ELNS1_3repE0EEENS1_30default_config_static_selectorELNS0_4arch9wavefront6targetE1EEEvSQ_,"axG",@progbits,_ZN7rocprim17ROCPRIM_400000_NS6detail17trampoline_kernelINS0_14default_configENS1_27lower_bound_config_selectorIjjEEZNS1_14transform_implILb0ES3_S5_N6thrust23THRUST_200600_302600_NS17counting_iteratorIjNS8_11use_defaultESA_SA_EENS8_6detail15normal_iteratorINS8_10device_ptrIjEEEEZNS1_13binary_searchIS3_S5_SG_SB_SG_NS1_21lower_bound_search_opENSC_16wrapped_functionINS0_4lessIvEEbEEEE10hipError_tPvRmT1_T2_T3_mmT4_T5_P12ihipStream_tbEUlRKjE_EESN_SR_SS_mST_SW_bEUlT_E_NS1_11comp_targetILNS1_3genE2ELNS1_11target_archE906ELNS1_3gpuE6ELNS1_3repE0EEENS1_30default_config_static_selectorELNS0_4arch9wavefront6targetE1EEEvSQ_,comdat
.Lfunc_end234:
	.size	_ZN7rocprim17ROCPRIM_400000_NS6detail17trampoline_kernelINS0_14default_configENS1_27lower_bound_config_selectorIjjEEZNS1_14transform_implILb0ES3_S5_N6thrust23THRUST_200600_302600_NS17counting_iteratorIjNS8_11use_defaultESA_SA_EENS8_6detail15normal_iteratorINS8_10device_ptrIjEEEEZNS1_13binary_searchIS3_S5_SG_SB_SG_NS1_21lower_bound_search_opENSC_16wrapped_functionINS0_4lessIvEEbEEEE10hipError_tPvRmT1_T2_T3_mmT4_T5_P12ihipStream_tbEUlRKjE_EESN_SR_SS_mST_SW_bEUlT_E_NS1_11comp_targetILNS1_3genE2ELNS1_11target_archE906ELNS1_3gpuE6ELNS1_3repE0EEENS1_30default_config_static_selectorELNS0_4arch9wavefront6targetE1EEEvSQ_, .Lfunc_end234-_ZN7rocprim17ROCPRIM_400000_NS6detail17trampoline_kernelINS0_14default_configENS1_27lower_bound_config_selectorIjjEEZNS1_14transform_implILb0ES3_S5_N6thrust23THRUST_200600_302600_NS17counting_iteratorIjNS8_11use_defaultESA_SA_EENS8_6detail15normal_iteratorINS8_10device_ptrIjEEEEZNS1_13binary_searchIS3_S5_SG_SB_SG_NS1_21lower_bound_search_opENSC_16wrapped_functionINS0_4lessIvEEbEEEE10hipError_tPvRmT1_T2_T3_mmT4_T5_P12ihipStream_tbEUlRKjE_EESN_SR_SS_mST_SW_bEUlT_E_NS1_11comp_targetILNS1_3genE2ELNS1_11target_archE906ELNS1_3gpuE6ELNS1_3repE0EEENS1_30default_config_static_selectorELNS0_4arch9wavefront6targetE1EEEvSQ_
                                        ; -- End function
	.section	.AMDGPU.csdata,"",@progbits
; Kernel info:
; codeLenInByte = 0
; NumSgprs: 4
; NumVgprs: 0
; NumAgprs: 0
; TotalNumVgprs: 0
; ScratchSize: 0
; MemoryBound: 0
; FloatMode: 240
; IeeeMode: 1
; LDSByteSize: 0 bytes/workgroup (compile time only)
; SGPRBlocks: 0
; VGPRBlocks: 0
; NumSGPRsForWavesPerEU: 4
; NumVGPRsForWavesPerEU: 1
; AccumOffset: 4
; Occupancy: 8
; WaveLimiterHint : 0
; COMPUTE_PGM_RSRC2:SCRATCH_EN: 0
; COMPUTE_PGM_RSRC2:USER_SGPR: 6
; COMPUTE_PGM_RSRC2:TRAP_HANDLER: 0
; COMPUTE_PGM_RSRC2:TGID_X_EN: 1
; COMPUTE_PGM_RSRC2:TGID_Y_EN: 0
; COMPUTE_PGM_RSRC2:TGID_Z_EN: 0
; COMPUTE_PGM_RSRC2:TIDIG_COMP_CNT: 0
; COMPUTE_PGM_RSRC3_GFX90A:ACCUM_OFFSET: 0
; COMPUTE_PGM_RSRC3_GFX90A:TG_SPLIT: 0
	.section	.text._ZN7rocprim17ROCPRIM_400000_NS6detail17trampoline_kernelINS0_14default_configENS1_27lower_bound_config_selectorIjjEEZNS1_14transform_implILb0ES3_S5_N6thrust23THRUST_200600_302600_NS17counting_iteratorIjNS8_11use_defaultESA_SA_EENS8_6detail15normal_iteratorINS8_10device_ptrIjEEEEZNS1_13binary_searchIS3_S5_SG_SB_SG_NS1_21lower_bound_search_opENSC_16wrapped_functionINS0_4lessIvEEbEEEE10hipError_tPvRmT1_T2_T3_mmT4_T5_P12ihipStream_tbEUlRKjE_EESN_SR_SS_mST_SW_bEUlT_E_NS1_11comp_targetILNS1_3genE10ELNS1_11target_archE1201ELNS1_3gpuE5ELNS1_3repE0EEENS1_30default_config_static_selectorELNS0_4arch9wavefront6targetE1EEEvSQ_,"axG",@progbits,_ZN7rocprim17ROCPRIM_400000_NS6detail17trampoline_kernelINS0_14default_configENS1_27lower_bound_config_selectorIjjEEZNS1_14transform_implILb0ES3_S5_N6thrust23THRUST_200600_302600_NS17counting_iteratorIjNS8_11use_defaultESA_SA_EENS8_6detail15normal_iteratorINS8_10device_ptrIjEEEEZNS1_13binary_searchIS3_S5_SG_SB_SG_NS1_21lower_bound_search_opENSC_16wrapped_functionINS0_4lessIvEEbEEEE10hipError_tPvRmT1_T2_T3_mmT4_T5_P12ihipStream_tbEUlRKjE_EESN_SR_SS_mST_SW_bEUlT_E_NS1_11comp_targetILNS1_3genE10ELNS1_11target_archE1201ELNS1_3gpuE5ELNS1_3repE0EEENS1_30default_config_static_selectorELNS0_4arch9wavefront6targetE1EEEvSQ_,comdat
	.protected	_ZN7rocprim17ROCPRIM_400000_NS6detail17trampoline_kernelINS0_14default_configENS1_27lower_bound_config_selectorIjjEEZNS1_14transform_implILb0ES3_S5_N6thrust23THRUST_200600_302600_NS17counting_iteratorIjNS8_11use_defaultESA_SA_EENS8_6detail15normal_iteratorINS8_10device_ptrIjEEEEZNS1_13binary_searchIS3_S5_SG_SB_SG_NS1_21lower_bound_search_opENSC_16wrapped_functionINS0_4lessIvEEbEEEE10hipError_tPvRmT1_T2_T3_mmT4_T5_P12ihipStream_tbEUlRKjE_EESN_SR_SS_mST_SW_bEUlT_E_NS1_11comp_targetILNS1_3genE10ELNS1_11target_archE1201ELNS1_3gpuE5ELNS1_3repE0EEENS1_30default_config_static_selectorELNS0_4arch9wavefront6targetE1EEEvSQ_ ; -- Begin function _ZN7rocprim17ROCPRIM_400000_NS6detail17trampoline_kernelINS0_14default_configENS1_27lower_bound_config_selectorIjjEEZNS1_14transform_implILb0ES3_S5_N6thrust23THRUST_200600_302600_NS17counting_iteratorIjNS8_11use_defaultESA_SA_EENS8_6detail15normal_iteratorINS8_10device_ptrIjEEEEZNS1_13binary_searchIS3_S5_SG_SB_SG_NS1_21lower_bound_search_opENSC_16wrapped_functionINS0_4lessIvEEbEEEE10hipError_tPvRmT1_T2_T3_mmT4_T5_P12ihipStream_tbEUlRKjE_EESN_SR_SS_mST_SW_bEUlT_E_NS1_11comp_targetILNS1_3genE10ELNS1_11target_archE1201ELNS1_3gpuE5ELNS1_3repE0EEENS1_30default_config_static_selectorELNS0_4arch9wavefront6targetE1EEEvSQ_
	.globl	_ZN7rocprim17ROCPRIM_400000_NS6detail17trampoline_kernelINS0_14default_configENS1_27lower_bound_config_selectorIjjEEZNS1_14transform_implILb0ES3_S5_N6thrust23THRUST_200600_302600_NS17counting_iteratorIjNS8_11use_defaultESA_SA_EENS8_6detail15normal_iteratorINS8_10device_ptrIjEEEEZNS1_13binary_searchIS3_S5_SG_SB_SG_NS1_21lower_bound_search_opENSC_16wrapped_functionINS0_4lessIvEEbEEEE10hipError_tPvRmT1_T2_T3_mmT4_T5_P12ihipStream_tbEUlRKjE_EESN_SR_SS_mST_SW_bEUlT_E_NS1_11comp_targetILNS1_3genE10ELNS1_11target_archE1201ELNS1_3gpuE5ELNS1_3repE0EEENS1_30default_config_static_selectorELNS0_4arch9wavefront6targetE1EEEvSQ_
	.p2align	8
	.type	_ZN7rocprim17ROCPRIM_400000_NS6detail17trampoline_kernelINS0_14default_configENS1_27lower_bound_config_selectorIjjEEZNS1_14transform_implILb0ES3_S5_N6thrust23THRUST_200600_302600_NS17counting_iteratorIjNS8_11use_defaultESA_SA_EENS8_6detail15normal_iteratorINS8_10device_ptrIjEEEEZNS1_13binary_searchIS3_S5_SG_SB_SG_NS1_21lower_bound_search_opENSC_16wrapped_functionINS0_4lessIvEEbEEEE10hipError_tPvRmT1_T2_T3_mmT4_T5_P12ihipStream_tbEUlRKjE_EESN_SR_SS_mST_SW_bEUlT_E_NS1_11comp_targetILNS1_3genE10ELNS1_11target_archE1201ELNS1_3gpuE5ELNS1_3repE0EEENS1_30default_config_static_selectorELNS0_4arch9wavefront6targetE1EEEvSQ_,@function
_ZN7rocprim17ROCPRIM_400000_NS6detail17trampoline_kernelINS0_14default_configENS1_27lower_bound_config_selectorIjjEEZNS1_14transform_implILb0ES3_S5_N6thrust23THRUST_200600_302600_NS17counting_iteratorIjNS8_11use_defaultESA_SA_EENS8_6detail15normal_iteratorINS8_10device_ptrIjEEEEZNS1_13binary_searchIS3_S5_SG_SB_SG_NS1_21lower_bound_search_opENSC_16wrapped_functionINS0_4lessIvEEbEEEE10hipError_tPvRmT1_T2_T3_mmT4_T5_P12ihipStream_tbEUlRKjE_EESN_SR_SS_mST_SW_bEUlT_E_NS1_11comp_targetILNS1_3genE10ELNS1_11target_archE1201ELNS1_3gpuE5ELNS1_3repE0EEENS1_30default_config_static_selectorELNS0_4arch9wavefront6targetE1EEEvSQ_: ; @_ZN7rocprim17ROCPRIM_400000_NS6detail17trampoline_kernelINS0_14default_configENS1_27lower_bound_config_selectorIjjEEZNS1_14transform_implILb0ES3_S5_N6thrust23THRUST_200600_302600_NS17counting_iteratorIjNS8_11use_defaultESA_SA_EENS8_6detail15normal_iteratorINS8_10device_ptrIjEEEEZNS1_13binary_searchIS3_S5_SG_SB_SG_NS1_21lower_bound_search_opENSC_16wrapped_functionINS0_4lessIvEEbEEEE10hipError_tPvRmT1_T2_T3_mmT4_T5_P12ihipStream_tbEUlRKjE_EESN_SR_SS_mST_SW_bEUlT_E_NS1_11comp_targetILNS1_3genE10ELNS1_11target_archE1201ELNS1_3gpuE5ELNS1_3repE0EEENS1_30default_config_static_selectorELNS0_4arch9wavefront6targetE1EEEvSQ_
; %bb.0:
	.section	.rodata,"a",@progbits
	.p2align	6, 0x0
	.amdhsa_kernel _ZN7rocprim17ROCPRIM_400000_NS6detail17trampoline_kernelINS0_14default_configENS1_27lower_bound_config_selectorIjjEEZNS1_14transform_implILb0ES3_S5_N6thrust23THRUST_200600_302600_NS17counting_iteratorIjNS8_11use_defaultESA_SA_EENS8_6detail15normal_iteratorINS8_10device_ptrIjEEEEZNS1_13binary_searchIS3_S5_SG_SB_SG_NS1_21lower_bound_search_opENSC_16wrapped_functionINS0_4lessIvEEbEEEE10hipError_tPvRmT1_T2_T3_mmT4_T5_P12ihipStream_tbEUlRKjE_EESN_SR_SS_mST_SW_bEUlT_E_NS1_11comp_targetILNS1_3genE10ELNS1_11target_archE1201ELNS1_3gpuE5ELNS1_3repE0EEENS1_30default_config_static_selectorELNS0_4arch9wavefront6targetE1EEEvSQ_
		.amdhsa_group_segment_fixed_size 0
		.amdhsa_private_segment_fixed_size 0
		.amdhsa_kernarg_size 56
		.amdhsa_user_sgpr_count 6
		.amdhsa_user_sgpr_private_segment_buffer 1
		.amdhsa_user_sgpr_dispatch_ptr 0
		.amdhsa_user_sgpr_queue_ptr 0
		.amdhsa_user_sgpr_kernarg_segment_ptr 1
		.amdhsa_user_sgpr_dispatch_id 0
		.amdhsa_user_sgpr_flat_scratch_init 0
		.amdhsa_user_sgpr_kernarg_preload_length 0
		.amdhsa_user_sgpr_kernarg_preload_offset 0
		.amdhsa_user_sgpr_private_segment_size 0
		.amdhsa_uses_dynamic_stack 0
		.amdhsa_system_sgpr_private_segment_wavefront_offset 0
		.amdhsa_system_sgpr_workgroup_id_x 1
		.amdhsa_system_sgpr_workgroup_id_y 0
		.amdhsa_system_sgpr_workgroup_id_z 0
		.amdhsa_system_sgpr_workgroup_info 0
		.amdhsa_system_vgpr_workitem_id 0
		.amdhsa_next_free_vgpr 1
		.amdhsa_next_free_sgpr 0
		.amdhsa_accum_offset 4
		.amdhsa_reserve_vcc 0
		.amdhsa_reserve_flat_scratch 0
		.amdhsa_float_round_mode_32 0
		.amdhsa_float_round_mode_16_64 0
		.amdhsa_float_denorm_mode_32 3
		.amdhsa_float_denorm_mode_16_64 3
		.amdhsa_dx10_clamp 1
		.amdhsa_ieee_mode 1
		.amdhsa_fp16_overflow 0
		.amdhsa_tg_split 0
		.amdhsa_exception_fp_ieee_invalid_op 0
		.amdhsa_exception_fp_denorm_src 0
		.amdhsa_exception_fp_ieee_div_zero 0
		.amdhsa_exception_fp_ieee_overflow 0
		.amdhsa_exception_fp_ieee_underflow 0
		.amdhsa_exception_fp_ieee_inexact 0
		.amdhsa_exception_int_div_zero 0
	.end_amdhsa_kernel
	.section	.text._ZN7rocprim17ROCPRIM_400000_NS6detail17trampoline_kernelINS0_14default_configENS1_27lower_bound_config_selectorIjjEEZNS1_14transform_implILb0ES3_S5_N6thrust23THRUST_200600_302600_NS17counting_iteratorIjNS8_11use_defaultESA_SA_EENS8_6detail15normal_iteratorINS8_10device_ptrIjEEEEZNS1_13binary_searchIS3_S5_SG_SB_SG_NS1_21lower_bound_search_opENSC_16wrapped_functionINS0_4lessIvEEbEEEE10hipError_tPvRmT1_T2_T3_mmT4_T5_P12ihipStream_tbEUlRKjE_EESN_SR_SS_mST_SW_bEUlT_E_NS1_11comp_targetILNS1_3genE10ELNS1_11target_archE1201ELNS1_3gpuE5ELNS1_3repE0EEENS1_30default_config_static_selectorELNS0_4arch9wavefront6targetE1EEEvSQ_,"axG",@progbits,_ZN7rocprim17ROCPRIM_400000_NS6detail17trampoline_kernelINS0_14default_configENS1_27lower_bound_config_selectorIjjEEZNS1_14transform_implILb0ES3_S5_N6thrust23THRUST_200600_302600_NS17counting_iteratorIjNS8_11use_defaultESA_SA_EENS8_6detail15normal_iteratorINS8_10device_ptrIjEEEEZNS1_13binary_searchIS3_S5_SG_SB_SG_NS1_21lower_bound_search_opENSC_16wrapped_functionINS0_4lessIvEEbEEEE10hipError_tPvRmT1_T2_T3_mmT4_T5_P12ihipStream_tbEUlRKjE_EESN_SR_SS_mST_SW_bEUlT_E_NS1_11comp_targetILNS1_3genE10ELNS1_11target_archE1201ELNS1_3gpuE5ELNS1_3repE0EEENS1_30default_config_static_selectorELNS0_4arch9wavefront6targetE1EEEvSQ_,comdat
.Lfunc_end235:
	.size	_ZN7rocprim17ROCPRIM_400000_NS6detail17trampoline_kernelINS0_14default_configENS1_27lower_bound_config_selectorIjjEEZNS1_14transform_implILb0ES3_S5_N6thrust23THRUST_200600_302600_NS17counting_iteratorIjNS8_11use_defaultESA_SA_EENS8_6detail15normal_iteratorINS8_10device_ptrIjEEEEZNS1_13binary_searchIS3_S5_SG_SB_SG_NS1_21lower_bound_search_opENSC_16wrapped_functionINS0_4lessIvEEbEEEE10hipError_tPvRmT1_T2_T3_mmT4_T5_P12ihipStream_tbEUlRKjE_EESN_SR_SS_mST_SW_bEUlT_E_NS1_11comp_targetILNS1_3genE10ELNS1_11target_archE1201ELNS1_3gpuE5ELNS1_3repE0EEENS1_30default_config_static_selectorELNS0_4arch9wavefront6targetE1EEEvSQ_, .Lfunc_end235-_ZN7rocprim17ROCPRIM_400000_NS6detail17trampoline_kernelINS0_14default_configENS1_27lower_bound_config_selectorIjjEEZNS1_14transform_implILb0ES3_S5_N6thrust23THRUST_200600_302600_NS17counting_iteratorIjNS8_11use_defaultESA_SA_EENS8_6detail15normal_iteratorINS8_10device_ptrIjEEEEZNS1_13binary_searchIS3_S5_SG_SB_SG_NS1_21lower_bound_search_opENSC_16wrapped_functionINS0_4lessIvEEbEEEE10hipError_tPvRmT1_T2_T3_mmT4_T5_P12ihipStream_tbEUlRKjE_EESN_SR_SS_mST_SW_bEUlT_E_NS1_11comp_targetILNS1_3genE10ELNS1_11target_archE1201ELNS1_3gpuE5ELNS1_3repE0EEENS1_30default_config_static_selectorELNS0_4arch9wavefront6targetE1EEEvSQ_
                                        ; -- End function
	.section	.AMDGPU.csdata,"",@progbits
; Kernel info:
; codeLenInByte = 0
; NumSgprs: 4
; NumVgprs: 0
; NumAgprs: 0
; TotalNumVgprs: 0
; ScratchSize: 0
; MemoryBound: 0
; FloatMode: 240
; IeeeMode: 1
; LDSByteSize: 0 bytes/workgroup (compile time only)
; SGPRBlocks: 0
; VGPRBlocks: 0
; NumSGPRsForWavesPerEU: 4
; NumVGPRsForWavesPerEU: 1
; AccumOffset: 4
; Occupancy: 8
; WaveLimiterHint : 0
; COMPUTE_PGM_RSRC2:SCRATCH_EN: 0
; COMPUTE_PGM_RSRC2:USER_SGPR: 6
; COMPUTE_PGM_RSRC2:TRAP_HANDLER: 0
; COMPUTE_PGM_RSRC2:TGID_X_EN: 1
; COMPUTE_PGM_RSRC2:TGID_Y_EN: 0
; COMPUTE_PGM_RSRC2:TGID_Z_EN: 0
; COMPUTE_PGM_RSRC2:TIDIG_COMP_CNT: 0
; COMPUTE_PGM_RSRC3_GFX90A:ACCUM_OFFSET: 0
; COMPUTE_PGM_RSRC3_GFX90A:TG_SPLIT: 0
	.section	.text._ZN7rocprim17ROCPRIM_400000_NS6detail17trampoline_kernelINS0_14default_configENS1_27lower_bound_config_selectorIjjEEZNS1_14transform_implILb0ES3_S5_N6thrust23THRUST_200600_302600_NS17counting_iteratorIjNS8_11use_defaultESA_SA_EENS8_6detail15normal_iteratorINS8_10device_ptrIjEEEEZNS1_13binary_searchIS3_S5_SG_SB_SG_NS1_21lower_bound_search_opENSC_16wrapped_functionINS0_4lessIvEEbEEEE10hipError_tPvRmT1_T2_T3_mmT4_T5_P12ihipStream_tbEUlRKjE_EESN_SR_SS_mST_SW_bEUlT_E_NS1_11comp_targetILNS1_3genE10ELNS1_11target_archE1200ELNS1_3gpuE4ELNS1_3repE0EEENS1_30default_config_static_selectorELNS0_4arch9wavefront6targetE1EEEvSQ_,"axG",@progbits,_ZN7rocprim17ROCPRIM_400000_NS6detail17trampoline_kernelINS0_14default_configENS1_27lower_bound_config_selectorIjjEEZNS1_14transform_implILb0ES3_S5_N6thrust23THRUST_200600_302600_NS17counting_iteratorIjNS8_11use_defaultESA_SA_EENS8_6detail15normal_iteratorINS8_10device_ptrIjEEEEZNS1_13binary_searchIS3_S5_SG_SB_SG_NS1_21lower_bound_search_opENSC_16wrapped_functionINS0_4lessIvEEbEEEE10hipError_tPvRmT1_T2_T3_mmT4_T5_P12ihipStream_tbEUlRKjE_EESN_SR_SS_mST_SW_bEUlT_E_NS1_11comp_targetILNS1_3genE10ELNS1_11target_archE1200ELNS1_3gpuE4ELNS1_3repE0EEENS1_30default_config_static_selectorELNS0_4arch9wavefront6targetE1EEEvSQ_,comdat
	.protected	_ZN7rocprim17ROCPRIM_400000_NS6detail17trampoline_kernelINS0_14default_configENS1_27lower_bound_config_selectorIjjEEZNS1_14transform_implILb0ES3_S5_N6thrust23THRUST_200600_302600_NS17counting_iteratorIjNS8_11use_defaultESA_SA_EENS8_6detail15normal_iteratorINS8_10device_ptrIjEEEEZNS1_13binary_searchIS3_S5_SG_SB_SG_NS1_21lower_bound_search_opENSC_16wrapped_functionINS0_4lessIvEEbEEEE10hipError_tPvRmT1_T2_T3_mmT4_T5_P12ihipStream_tbEUlRKjE_EESN_SR_SS_mST_SW_bEUlT_E_NS1_11comp_targetILNS1_3genE10ELNS1_11target_archE1200ELNS1_3gpuE4ELNS1_3repE0EEENS1_30default_config_static_selectorELNS0_4arch9wavefront6targetE1EEEvSQ_ ; -- Begin function _ZN7rocprim17ROCPRIM_400000_NS6detail17trampoline_kernelINS0_14default_configENS1_27lower_bound_config_selectorIjjEEZNS1_14transform_implILb0ES3_S5_N6thrust23THRUST_200600_302600_NS17counting_iteratorIjNS8_11use_defaultESA_SA_EENS8_6detail15normal_iteratorINS8_10device_ptrIjEEEEZNS1_13binary_searchIS3_S5_SG_SB_SG_NS1_21lower_bound_search_opENSC_16wrapped_functionINS0_4lessIvEEbEEEE10hipError_tPvRmT1_T2_T3_mmT4_T5_P12ihipStream_tbEUlRKjE_EESN_SR_SS_mST_SW_bEUlT_E_NS1_11comp_targetILNS1_3genE10ELNS1_11target_archE1200ELNS1_3gpuE4ELNS1_3repE0EEENS1_30default_config_static_selectorELNS0_4arch9wavefront6targetE1EEEvSQ_
	.globl	_ZN7rocprim17ROCPRIM_400000_NS6detail17trampoline_kernelINS0_14default_configENS1_27lower_bound_config_selectorIjjEEZNS1_14transform_implILb0ES3_S5_N6thrust23THRUST_200600_302600_NS17counting_iteratorIjNS8_11use_defaultESA_SA_EENS8_6detail15normal_iteratorINS8_10device_ptrIjEEEEZNS1_13binary_searchIS3_S5_SG_SB_SG_NS1_21lower_bound_search_opENSC_16wrapped_functionINS0_4lessIvEEbEEEE10hipError_tPvRmT1_T2_T3_mmT4_T5_P12ihipStream_tbEUlRKjE_EESN_SR_SS_mST_SW_bEUlT_E_NS1_11comp_targetILNS1_3genE10ELNS1_11target_archE1200ELNS1_3gpuE4ELNS1_3repE0EEENS1_30default_config_static_selectorELNS0_4arch9wavefront6targetE1EEEvSQ_
	.p2align	8
	.type	_ZN7rocprim17ROCPRIM_400000_NS6detail17trampoline_kernelINS0_14default_configENS1_27lower_bound_config_selectorIjjEEZNS1_14transform_implILb0ES3_S5_N6thrust23THRUST_200600_302600_NS17counting_iteratorIjNS8_11use_defaultESA_SA_EENS8_6detail15normal_iteratorINS8_10device_ptrIjEEEEZNS1_13binary_searchIS3_S5_SG_SB_SG_NS1_21lower_bound_search_opENSC_16wrapped_functionINS0_4lessIvEEbEEEE10hipError_tPvRmT1_T2_T3_mmT4_T5_P12ihipStream_tbEUlRKjE_EESN_SR_SS_mST_SW_bEUlT_E_NS1_11comp_targetILNS1_3genE10ELNS1_11target_archE1200ELNS1_3gpuE4ELNS1_3repE0EEENS1_30default_config_static_selectorELNS0_4arch9wavefront6targetE1EEEvSQ_,@function
_ZN7rocprim17ROCPRIM_400000_NS6detail17trampoline_kernelINS0_14default_configENS1_27lower_bound_config_selectorIjjEEZNS1_14transform_implILb0ES3_S5_N6thrust23THRUST_200600_302600_NS17counting_iteratorIjNS8_11use_defaultESA_SA_EENS8_6detail15normal_iteratorINS8_10device_ptrIjEEEEZNS1_13binary_searchIS3_S5_SG_SB_SG_NS1_21lower_bound_search_opENSC_16wrapped_functionINS0_4lessIvEEbEEEE10hipError_tPvRmT1_T2_T3_mmT4_T5_P12ihipStream_tbEUlRKjE_EESN_SR_SS_mST_SW_bEUlT_E_NS1_11comp_targetILNS1_3genE10ELNS1_11target_archE1200ELNS1_3gpuE4ELNS1_3repE0EEENS1_30default_config_static_selectorELNS0_4arch9wavefront6targetE1EEEvSQ_: ; @_ZN7rocprim17ROCPRIM_400000_NS6detail17trampoline_kernelINS0_14default_configENS1_27lower_bound_config_selectorIjjEEZNS1_14transform_implILb0ES3_S5_N6thrust23THRUST_200600_302600_NS17counting_iteratorIjNS8_11use_defaultESA_SA_EENS8_6detail15normal_iteratorINS8_10device_ptrIjEEEEZNS1_13binary_searchIS3_S5_SG_SB_SG_NS1_21lower_bound_search_opENSC_16wrapped_functionINS0_4lessIvEEbEEEE10hipError_tPvRmT1_T2_T3_mmT4_T5_P12ihipStream_tbEUlRKjE_EESN_SR_SS_mST_SW_bEUlT_E_NS1_11comp_targetILNS1_3genE10ELNS1_11target_archE1200ELNS1_3gpuE4ELNS1_3repE0EEENS1_30default_config_static_selectorELNS0_4arch9wavefront6targetE1EEEvSQ_
; %bb.0:
	.section	.rodata,"a",@progbits
	.p2align	6, 0x0
	.amdhsa_kernel _ZN7rocprim17ROCPRIM_400000_NS6detail17trampoline_kernelINS0_14default_configENS1_27lower_bound_config_selectorIjjEEZNS1_14transform_implILb0ES3_S5_N6thrust23THRUST_200600_302600_NS17counting_iteratorIjNS8_11use_defaultESA_SA_EENS8_6detail15normal_iteratorINS8_10device_ptrIjEEEEZNS1_13binary_searchIS3_S5_SG_SB_SG_NS1_21lower_bound_search_opENSC_16wrapped_functionINS0_4lessIvEEbEEEE10hipError_tPvRmT1_T2_T3_mmT4_T5_P12ihipStream_tbEUlRKjE_EESN_SR_SS_mST_SW_bEUlT_E_NS1_11comp_targetILNS1_3genE10ELNS1_11target_archE1200ELNS1_3gpuE4ELNS1_3repE0EEENS1_30default_config_static_selectorELNS0_4arch9wavefront6targetE1EEEvSQ_
		.amdhsa_group_segment_fixed_size 0
		.amdhsa_private_segment_fixed_size 0
		.amdhsa_kernarg_size 56
		.amdhsa_user_sgpr_count 6
		.amdhsa_user_sgpr_private_segment_buffer 1
		.amdhsa_user_sgpr_dispatch_ptr 0
		.amdhsa_user_sgpr_queue_ptr 0
		.amdhsa_user_sgpr_kernarg_segment_ptr 1
		.amdhsa_user_sgpr_dispatch_id 0
		.amdhsa_user_sgpr_flat_scratch_init 0
		.amdhsa_user_sgpr_kernarg_preload_length 0
		.amdhsa_user_sgpr_kernarg_preload_offset 0
		.amdhsa_user_sgpr_private_segment_size 0
		.amdhsa_uses_dynamic_stack 0
		.amdhsa_system_sgpr_private_segment_wavefront_offset 0
		.amdhsa_system_sgpr_workgroup_id_x 1
		.amdhsa_system_sgpr_workgroup_id_y 0
		.amdhsa_system_sgpr_workgroup_id_z 0
		.amdhsa_system_sgpr_workgroup_info 0
		.amdhsa_system_vgpr_workitem_id 0
		.amdhsa_next_free_vgpr 1
		.amdhsa_next_free_sgpr 0
		.amdhsa_accum_offset 4
		.amdhsa_reserve_vcc 0
		.amdhsa_reserve_flat_scratch 0
		.amdhsa_float_round_mode_32 0
		.amdhsa_float_round_mode_16_64 0
		.amdhsa_float_denorm_mode_32 3
		.amdhsa_float_denorm_mode_16_64 3
		.amdhsa_dx10_clamp 1
		.amdhsa_ieee_mode 1
		.amdhsa_fp16_overflow 0
		.amdhsa_tg_split 0
		.amdhsa_exception_fp_ieee_invalid_op 0
		.amdhsa_exception_fp_denorm_src 0
		.amdhsa_exception_fp_ieee_div_zero 0
		.amdhsa_exception_fp_ieee_overflow 0
		.amdhsa_exception_fp_ieee_underflow 0
		.amdhsa_exception_fp_ieee_inexact 0
		.amdhsa_exception_int_div_zero 0
	.end_amdhsa_kernel
	.section	.text._ZN7rocprim17ROCPRIM_400000_NS6detail17trampoline_kernelINS0_14default_configENS1_27lower_bound_config_selectorIjjEEZNS1_14transform_implILb0ES3_S5_N6thrust23THRUST_200600_302600_NS17counting_iteratorIjNS8_11use_defaultESA_SA_EENS8_6detail15normal_iteratorINS8_10device_ptrIjEEEEZNS1_13binary_searchIS3_S5_SG_SB_SG_NS1_21lower_bound_search_opENSC_16wrapped_functionINS0_4lessIvEEbEEEE10hipError_tPvRmT1_T2_T3_mmT4_T5_P12ihipStream_tbEUlRKjE_EESN_SR_SS_mST_SW_bEUlT_E_NS1_11comp_targetILNS1_3genE10ELNS1_11target_archE1200ELNS1_3gpuE4ELNS1_3repE0EEENS1_30default_config_static_selectorELNS0_4arch9wavefront6targetE1EEEvSQ_,"axG",@progbits,_ZN7rocprim17ROCPRIM_400000_NS6detail17trampoline_kernelINS0_14default_configENS1_27lower_bound_config_selectorIjjEEZNS1_14transform_implILb0ES3_S5_N6thrust23THRUST_200600_302600_NS17counting_iteratorIjNS8_11use_defaultESA_SA_EENS8_6detail15normal_iteratorINS8_10device_ptrIjEEEEZNS1_13binary_searchIS3_S5_SG_SB_SG_NS1_21lower_bound_search_opENSC_16wrapped_functionINS0_4lessIvEEbEEEE10hipError_tPvRmT1_T2_T3_mmT4_T5_P12ihipStream_tbEUlRKjE_EESN_SR_SS_mST_SW_bEUlT_E_NS1_11comp_targetILNS1_3genE10ELNS1_11target_archE1200ELNS1_3gpuE4ELNS1_3repE0EEENS1_30default_config_static_selectorELNS0_4arch9wavefront6targetE1EEEvSQ_,comdat
.Lfunc_end236:
	.size	_ZN7rocprim17ROCPRIM_400000_NS6detail17trampoline_kernelINS0_14default_configENS1_27lower_bound_config_selectorIjjEEZNS1_14transform_implILb0ES3_S5_N6thrust23THRUST_200600_302600_NS17counting_iteratorIjNS8_11use_defaultESA_SA_EENS8_6detail15normal_iteratorINS8_10device_ptrIjEEEEZNS1_13binary_searchIS3_S5_SG_SB_SG_NS1_21lower_bound_search_opENSC_16wrapped_functionINS0_4lessIvEEbEEEE10hipError_tPvRmT1_T2_T3_mmT4_T5_P12ihipStream_tbEUlRKjE_EESN_SR_SS_mST_SW_bEUlT_E_NS1_11comp_targetILNS1_3genE10ELNS1_11target_archE1200ELNS1_3gpuE4ELNS1_3repE0EEENS1_30default_config_static_selectorELNS0_4arch9wavefront6targetE1EEEvSQ_, .Lfunc_end236-_ZN7rocprim17ROCPRIM_400000_NS6detail17trampoline_kernelINS0_14default_configENS1_27lower_bound_config_selectorIjjEEZNS1_14transform_implILb0ES3_S5_N6thrust23THRUST_200600_302600_NS17counting_iteratorIjNS8_11use_defaultESA_SA_EENS8_6detail15normal_iteratorINS8_10device_ptrIjEEEEZNS1_13binary_searchIS3_S5_SG_SB_SG_NS1_21lower_bound_search_opENSC_16wrapped_functionINS0_4lessIvEEbEEEE10hipError_tPvRmT1_T2_T3_mmT4_T5_P12ihipStream_tbEUlRKjE_EESN_SR_SS_mST_SW_bEUlT_E_NS1_11comp_targetILNS1_3genE10ELNS1_11target_archE1200ELNS1_3gpuE4ELNS1_3repE0EEENS1_30default_config_static_selectorELNS0_4arch9wavefront6targetE1EEEvSQ_
                                        ; -- End function
	.section	.AMDGPU.csdata,"",@progbits
; Kernel info:
; codeLenInByte = 0
; NumSgprs: 4
; NumVgprs: 0
; NumAgprs: 0
; TotalNumVgprs: 0
; ScratchSize: 0
; MemoryBound: 0
; FloatMode: 240
; IeeeMode: 1
; LDSByteSize: 0 bytes/workgroup (compile time only)
; SGPRBlocks: 0
; VGPRBlocks: 0
; NumSGPRsForWavesPerEU: 4
; NumVGPRsForWavesPerEU: 1
; AccumOffset: 4
; Occupancy: 8
; WaveLimiterHint : 0
; COMPUTE_PGM_RSRC2:SCRATCH_EN: 0
; COMPUTE_PGM_RSRC2:USER_SGPR: 6
; COMPUTE_PGM_RSRC2:TRAP_HANDLER: 0
; COMPUTE_PGM_RSRC2:TGID_X_EN: 1
; COMPUTE_PGM_RSRC2:TGID_Y_EN: 0
; COMPUTE_PGM_RSRC2:TGID_Z_EN: 0
; COMPUTE_PGM_RSRC2:TIDIG_COMP_CNT: 0
; COMPUTE_PGM_RSRC3_GFX90A:ACCUM_OFFSET: 0
; COMPUTE_PGM_RSRC3_GFX90A:TG_SPLIT: 0
	.section	.text._ZN7rocprim17ROCPRIM_400000_NS6detail17trampoline_kernelINS0_14default_configENS1_27lower_bound_config_selectorIjjEEZNS1_14transform_implILb0ES3_S5_N6thrust23THRUST_200600_302600_NS17counting_iteratorIjNS8_11use_defaultESA_SA_EENS8_6detail15normal_iteratorINS8_10device_ptrIjEEEEZNS1_13binary_searchIS3_S5_SG_SB_SG_NS1_21lower_bound_search_opENSC_16wrapped_functionINS0_4lessIvEEbEEEE10hipError_tPvRmT1_T2_T3_mmT4_T5_P12ihipStream_tbEUlRKjE_EESN_SR_SS_mST_SW_bEUlT_E_NS1_11comp_targetILNS1_3genE9ELNS1_11target_archE1100ELNS1_3gpuE3ELNS1_3repE0EEENS1_30default_config_static_selectorELNS0_4arch9wavefront6targetE1EEEvSQ_,"axG",@progbits,_ZN7rocprim17ROCPRIM_400000_NS6detail17trampoline_kernelINS0_14default_configENS1_27lower_bound_config_selectorIjjEEZNS1_14transform_implILb0ES3_S5_N6thrust23THRUST_200600_302600_NS17counting_iteratorIjNS8_11use_defaultESA_SA_EENS8_6detail15normal_iteratorINS8_10device_ptrIjEEEEZNS1_13binary_searchIS3_S5_SG_SB_SG_NS1_21lower_bound_search_opENSC_16wrapped_functionINS0_4lessIvEEbEEEE10hipError_tPvRmT1_T2_T3_mmT4_T5_P12ihipStream_tbEUlRKjE_EESN_SR_SS_mST_SW_bEUlT_E_NS1_11comp_targetILNS1_3genE9ELNS1_11target_archE1100ELNS1_3gpuE3ELNS1_3repE0EEENS1_30default_config_static_selectorELNS0_4arch9wavefront6targetE1EEEvSQ_,comdat
	.protected	_ZN7rocprim17ROCPRIM_400000_NS6detail17trampoline_kernelINS0_14default_configENS1_27lower_bound_config_selectorIjjEEZNS1_14transform_implILb0ES3_S5_N6thrust23THRUST_200600_302600_NS17counting_iteratorIjNS8_11use_defaultESA_SA_EENS8_6detail15normal_iteratorINS8_10device_ptrIjEEEEZNS1_13binary_searchIS3_S5_SG_SB_SG_NS1_21lower_bound_search_opENSC_16wrapped_functionINS0_4lessIvEEbEEEE10hipError_tPvRmT1_T2_T3_mmT4_T5_P12ihipStream_tbEUlRKjE_EESN_SR_SS_mST_SW_bEUlT_E_NS1_11comp_targetILNS1_3genE9ELNS1_11target_archE1100ELNS1_3gpuE3ELNS1_3repE0EEENS1_30default_config_static_selectorELNS0_4arch9wavefront6targetE1EEEvSQ_ ; -- Begin function _ZN7rocprim17ROCPRIM_400000_NS6detail17trampoline_kernelINS0_14default_configENS1_27lower_bound_config_selectorIjjEEZNS1_14transform_implILb0ES3_S5_N6thrust23THRUST_200600_302600_NS17counting_iteratorIjNS8_11use_defaultESA_SA_EENS8_6detail15normal_iteratorINS8_10device_ptrIjEEEEZNS1_13binary_searchIS3_S5_SG_SB_SG_NS1_21lower_bound_search_opENSC_16wrapped_functionINS0_4lessIvEEbEEEE10hipError_tPvRmT1_T2_T3_mmT4_T5_P12ihipStream_tbEUlRKjE_EESN_SR_SS_mST_SW_bEUlT_E_NS1_11comp_targetILNS1_3genE9ELNS1_11target_archE1100ELNS1_3gpuE3ELNS1_3repE0EEENS1_30default_config_static_selectorELNS0_4arch9wavefront6targetE1EEEvSQ_
	.globl	_ZN7rocprim17ROCPRIM_400000_NS6detail17trampoline_kernelINS0_14default_configENS1_27lower_bound_config_selectorIjjEEZNS1_14transform_implILb0ES3_S5_N6thrust23THRUST_200600_302600_NS17counting_iteratorIjNS8_11use_defaultESA_SA_EENS8_6detail15normal_iteratorINS8_10device_ptrIjEEEEZNS1_13binary_searchIS3_S5_SG_SB_SG_NS1_21lower_bound_search_opENSC_16wrapped_functionINS0_4lessIvEEbEEEE10hipError_tPvRmT1_T2_T3_mmT4_T5_P12ihipStream_tbEUlRKjE_EESN_SR_SS_mST_SW_bEUlT_E_NS1_11comp_targetILNS1_3genE9ELNS1_11target_archE1100ELNS1_3gpuE3ELNS1_3repE0EEENS1_30default_config_static_selectorELNS0_4arch9wavefront6targetE1EEEvSQ_
	.p2align	8
	.type	_ZN7rocprim17ROCPRIM_400000_NS6detail17trampoline_kernelINS0_14default_configENS1_27lower_bound_config_selectorIjjEEZNS1_14transform_implILb0ES3_S5_N6thrust23THRUST_200600_302600_NS17counting_iteratorIjNS8_11use_defaultESA_SA_EENS8_6detail15normal_iteratorINS8_10device_ptrIjEEEEZNS1_13binary_searchIS3_S5_SG_SB_SG_NS1_21lower_bound_search_opENSC_16wrapped_functionINS0_4lessIvEEbEEEE10hipError_tPvRmT1_T2_T3_mmT4_T5_P12ihipStream_tbEUlRKjE_EESN_SR_SS_mST_SW_bEUlT_E_NS1_11comp_targetILNS1_3genE9ELNS1_11target_archE1100ELNS1_3gpuE3ELNS1_3repE0EEENS1_30default_config_static_selectorELNS0_4arch9wavefront6targetE1EEEvSQ_,@function
_ZN7rocprim17ROCPRIM_400000_NS6detail17trampoline_kernelINS0_14default_configENS1_27lower_bound_config_selectorIjjEEZNS1_14transform_implILb0ES3_S5_N6thrust23THRUST_200600_302600_NS17counting_iteratorIjNS8_11use_defaultESA_SA_EENS8_6detail15normal_iteratorINS8_10device_ptrIjEEEEZNS1_13binary_searchIS3_S5_SG_SB_SG_NS1_21lower_bound_search_opENSC_16wrapped_functionINS0_4lessIvEEbEEEE10hipError_tPvRmT1_T2_T3_mmT4_T5_P12ihipStream_tbEUlRKjE_EESN_SR_SS_mST_SW_bEUlT_E_NS1_11comp_targetILNS1_3genE9ELNS1_11target_archE1100ELNS1_3gpuE3ELNS1_3repE0EEENS1_30default_config_static_selectorELNS0_4arch9wavefront6targetE1EEEvSQ_: ; @_ZN7rocprim17ROCPRIM_400000_NS6detail17trampoline_kernelINS0_14default_configENS1_27lower_bound_config_selectorIjjEEZNS1_14transform_implILb0ES3_S5_N6thrust23THRUST_200600_302600_NS17counting_iteratorIjNS8_11use_defaultESA_SA_EENS8_6detail15normal_iteratorINS8_10device_ptrIjEEEEZNS1_13binary_searchIS3_S5_SG_SB_SG_NS1_21lower_bound_search_opENSC_16wrapped_functionINS0_4lessIvEEbEEEE10hipError_tPvRmT1_T2_T3_mmT4_T5_P12ihipStream_tbEUlRKjE_EESN_SR_SS_mST_SW_bEUlT_E_NS1_11comp_targetILNS1_3genE9ELNS1_11target_archE1100ELNS1_3gpuE3ELNS1_3repE0EEENS1_30default_config_static_selectorELNS0_4arch9wavefront6targetE1EEEvSQ_
; %bb.0:
	.section	.rodata,"a",@progbits
	.p2align	6, 0x0
	.amdhsa_kernel _ZN7rocprim17ROCPRIM_400000_NS6detail17trampoline_kernelINS0_14default_configENS1_27lower_bound_config_selectorIjjEEZNS1_14transform_implILb0ES3_S5_N6thrust23THRUST_200600_302600_NS17counting_iteratorIjNS8_11use_defaultESA_SA_EENS8_6detail15normal_iteratorINS8_10device_ptrIjEEEEZNS1_13binary_searchIS3_S5_SG_SB_SG_NS1_21lower_bound_search_opENSC_16wrapped_functionINS0_4lessIvEEbEEEE10hipError_tPvRmT1_T2_T3_mmT4_T5_P12ihipStream_tbEUlRKjE_EESN_SR_SS_mST_SW_bEUlT_E_NS1_11comp_targetILNS1_3genE9ELNS1_11target_archE1100ELNS1_3gpuE3ELNS1_3repE0EEENS1_30default_config_static_selectorELNS0_4arch9wavefront6targetE1EEEvSQ_
		.amdhsa_group_segment_fixed_size 0
		.amdhsa_private_segment_fixed_size 0
		.amdhsa_kernarg_size 56
		.amdhsa_user_sgpr_count 6
		.amdhsa_user_sgpr_private_segment_buffer 1
		.amdhsa_user_sgpr_dispatch_ptr 0
		.amdhsa_user_sgpr_queue_ptr 0
		.amdhsa_user_sgpr_kernarg_segment_ptr 1
		.amdhsa_user_sgpr_dispatch_id 0
		.amdhsa_user_sgpr_flat_scratch_init 0
		.amdhsa_user_sgpr_kernarg_preload_length 0
		.amdhsa_user_sgpr_kernarg_preload_offset 0
		.amdhsa_user_sgpr_private_segment_size 0
		.amdhsa_uses_dynamic_stack 0
		.amdhsa_system_sgpr_private_segment_wavefront_offset 0
		.amdhsa_system_sgpr_workgroup_id_x 1
		.amdhsa_system_sgpr_workgroup_id_y 0
		.amdhsa_system_sgpr_workgroup_id_z 0
		.amdhsa_system_sgpr_workgroup_info 0
		.amdhsa_system_vgpr_workitem_id 0
		.amdhsa_next_free_vgpr 1
		.amdhsa_next_free_sgpr 0
		.amdhsa_accum_offset 4
		.amdhsa_reserve_vcc 0
		.amdhsa_reserve_flat_scratch 0
		.amdhsa_float_round_mode_32 0
		.amdhsa_float_round_mode_16_64 0
		.amdhsa_float_denorm_mode_32 3
		.amdhsa_float_denorm_mode_16_64 3
		.amdhsa_dx10_clamp 1
		.amdhsa_ieee_mode 1
		.amdhsa_fp16_overflow 0
		.amdhsa_tg_split 0
		.amdhsa_exception_fp_ieee_invalid_op 0
		.amdhsa_exception_fp_denorm_src 0
		.amdhsa_exception_fp_ieee_div_zero 0
		.amdhsa_exception_fp_ieee_overflow 0
		.amdhsa_exception_fp_ieee_underflow 0
		.amdhsa_exception_fp_ieee_inexact 0
		.amdhsa_exception_int_div_zero 0
	.end_amdhsa_kernel
	.section	.text._ZN7rocprim17ROCPRIM_400000_NS6detail17trampoline_kernelINS0_14default_configENS1_27lower_bound_config_selectorIjjEEZNS1_14transform_implILb0ES3_S5_N6thrust23THRUST_200600_302600_NS17counting_iteratorIjNS8_11use_defaultESA_SA_EENS8_6detail15normal_iteratorINS8_10device_ptrIjEEEEZNS1_13binary_searchIS3_S5_SG_SB_SG_NS1_21lower_bound_search_opENSC_16wrapped_functionINS0_4lessIvEEbEEEE10hipError_tPvRmT1_T2_T3_mmT4_T5_P12ihipStream_tbEUlRKjE_EESN_SR_SS_mST_SW_bEUlT_E_NS1_11comp_targetILNS1_3genE9ELNS1_11target_archE1100ELNS1_3gpuE3ELNS1_3repE0EEENS1_30default_config_static_selectorELNS0_4arch9wavefront6targetE1EEEvSQ_,"axG",@progbits,_ZN7rocprim17ROCPRIM_400000_NS6detail17trampoline_kernelINS0_14default_configENS1_27lower_bound_config_selectorIjjEEZNS1_14transform_implILb0ES3_S5_N6thrust23THRUST_200600_302600_NS17counting_iteratorIjNS8_11use_defaultESA_SA_EENS8_6detail15normal_iteratorINS8_10device_ptrIjEEEEZNS1_13binary_searchIS3_S5_SG_SB_SG_NS1_21lower_bound_search_opENSC_16wrapped_functionINS0_4lessIvEEbEEEE10hipError_tPvRmT1_T2_T3_mmT4_T5_P12ihipStream_tbEUlRKjE_EESN_SR_SS_mST_SW_bEUlT_E_NS1_11comp_targetILNS1_3genE9ELNS1_11target_archE1100ELNS1_3gpuE3ELNS1_3repE0EEENS1_30default_config_static_selectorELNS0_4arch9wavefront6targetE1EEEvSQ_,comdat
.Lfunc_end237:
	.size	_ZN7rocprim17ROCPRIM_400000_NS6detail17trampoline_kernelINS0_14default_configENS1_27lower_bound_config_selectorIjjEEZNS1_14transform_implILb0ES3_S5_N6thrust23THRUST_200600_302600_NS17counting_iteratorIjNS8_11use_defaultESA_SA_EENS8_6detail15normal_iteratorINS8_10device_ptrIjEEEEZNS1_13binary_searchIS3_S5_SG_SB_SG_NS1_21lower_bound_search_opENSC_16wrapped_functionINS0_4lessIvEEbEEEE10hipError_tPvRmT1_T2_T3_mmT4_T5_P12ihipStream_tbEUlRKjE_EESN_SR_SS_mST_SW_bEUlT_E_NS1_11comp_targetILNS1_3genE9ELNS1_11target_archE1100ELNS1_3gpuE3ELNS1_3repE0EEENS1_30default_config_static_selectorELNS0_4arch9wavefront6targetE1EEEvSQ_, .Lfunc_end237-_ZN7rocprim17ROCPRIM_400000_NS6detail17trampoline_kernelINS0_14default_configENS1_27lower_bound_config_selectorIjjEEZNS1_14transform_implILb0ES3_S5_N6thrust23THRUST_200600_302600_NS17counting_iteratorIjNS8_11use_defaultESA_SA_EENS8_6detail15normal_iteratorINS8_10device_ptrIjEEEEZNS1_13binary_searchIS3_S5_SG_SB_SG_NS1_21lower_bound_search_opENSC_16wrapped_functionINS0_4lessIvEEbEEEE10hipError_tPvRmT1_T2_T3_mmT4_T5_P12ihipStream_tbEUlRKjE_EESN_SR_SS_mST_SW_bEUlT_E_NS1_11comp_targetILNS1_3genE9ELNS1_11target_archE1100ELNS1_3gpuE3ELNS1_3repE0EEENS1_30default_config_static_selectorELNS0_4arch9wavefront6targetE1EEEvSQ_
                                        ; -- End function
	.section	.AMDGPU.csdata,"",@progbits
; Kernel info:
; codeLenInByte = 0
; NumSgprs: 4
; NumVgprs: 0
; NumAgprs: 0
; TotalNumVgprs: 0
; ScratchSize: 0
; MemoryBound: 0
; FloatMode: 240
; IeeeMode: 1
; LDSByteSize: 0 bytes/workgroup (compile time only)
; SGPRBlocks: 0
; VGPRBlocks: 0
; NumSGPRsForWavesPerEU: 4
; NumVGPRsForWavesPerEU: 1
; AccumOffset: 4
; Occupancy: 8
; WaveLimiterHint : 0
; COMPUTE_PGM_RSRC2:SCRATCH_EN: 0
; COMPUTE_PGM_RSRC2:USER_SGPR: 6
; COMPUTE_PGM_RSRC2:TRAP_HANDLER: 0
; COMPUTE_PGM_RSRC2:TGID_X_EN: 1
; COMPUTE_PGM_RSRC2:TGID_Y_EN: 0
; COMPUTE_PGM_RSRC2:TGID_Z_EN: 0
; COMPUTE_PGM_RSRC2:TIDIG_COMP_CNT: 0
; COMPUTE_PGM_RSRC3_GFX90A:ACCUM_OFFSET: 0
; COMPUTE_PGM_RSRC3_GFX90A:TG_SPLIT: 0
	.section	.text._ZN7rocprim17ROCPRIM_400000_NS6detail17trampoline_kernelINS0_14default_configENS1_27lower_bound_config_selectorIjjEEZNS1_14transform_implILb0ES3_S5_N6thrust23THRUST_200600_302600_NS17counting_iteratorIjNS8_11use_defaultESA_SA_EENS8_6detail15normal_iteratorINS8_10device_ptrIjEEEEZNS1_13binary_searchIS3_S5_SG_SB_SG_NS1_21lower_bound_search_opENSC_16wrapped_functionINS0_4lessIvEEbEEEE10hipError_tPvRmT1_T2_T3_mmT4_T5_P12ihipStream_tbEUlRKjE_EESN_SR_SS_mST_SW_bEUlT_E_NS1_11comp_targetILNS1_3genE8ELNS1_11target_archE1030ELNS1_3gpuE2ELNS1_3repE0EEENS1_30default_config_static_selectorELNS0_4arch9wavefront6targetE1EEEvSQ_,"axG",@progbits,_ZN7rocprim17ROCPRIM_400000_NS6detail17trampoline_kernelINS0_14default_configENS1_27lower_bound_config_selectorIjjEEZNS1_14transform_implILb0ES3_S5_N6thrust23THRUST_200600_302600_NS17counting_iteratorIjNS8_11use_defaultESA_SA_EENS8_6detail15normal_iteratorINS8_10device_ptrIjEEEEZNS1_13binary_searchIS3_S5_SG_SB_SG_NS1_21lower_bound_search_opENSC_16wrapped_functionINS0_4lessIvEEbEEEE10hipError_tPvRmT1_T2_T3_mmT4_T5_P12ihipStream_tbEUlRKjE_EESN_SR_SS_mST_SW_bEUlT_E_NS1_11comp_targetILNS1_3genE8ELNS1_11target_archE1030ELNS1_3gpuE2ELNS1_3repE0EEENS1_30default_config_static_selectorELNS0_4arch9wavefront6targetE1EEEvSQ_,comdat
	.protected	_ZN7rocprim17ROCPRIM_400000_NS6detail17trampoline_kernelINS0_14default_configENS1_27lower_bound_config_selectorIjjEEZNS1_14transform_implILb0ES3_S5_N6thrust23THRUST_200600_302600_NS17counting_iteratorIjNS8_11use_defaultESA_SA_EENS8_6detail15normal_iteratorINS8_10device_ptrIjEEEEZNS1_13binary_searchIS3_S5_SG_SB_SG_NS1_21lower_bound_search_opENSC_16wrapped_functionINS0_4lessIvEEbEEEE10hipError_tPvRmT1_T2_T3_mmT4_T5_P12ihipStream_tbEUlRKjE_EESN_SR_SS_mST_SW_bEUlT_E_NS1_11comp_targetILNS1_3genE8ELNS1_11target_archE1030ELNS1_3gpuE2ELNS1_3repE0EEENS1_30default_config_static_selectorELNS0_4arch9wavefront6targetE1EEEvSQ_ ; -- Begin function _ZN7rocprim17ROCPRIM_400000_NS6detail17trampoline_kernelINS0_14default_configENS1_27lower_bound_config_selectorIjjEEZNS1_14transform_implILb0ES3_S5_N6thrust23THRUST_200600_302600_NS17counting_iteratorIjNS8_11use_defaultESA_SA_EENS8_6detail15normal_iteratorINS8_10device_ptrIjEEEEZNS1_13binary_searchIS3_S5_SG_SB_SG_NS1_21lower_bound_search_opENSC_16wrapped_functionINS0_4lessIvEEbEEEE10hipError_tPvRmT1_T2_T3_mmT4_T5_P12ihipStream_tbEUlRKjE_EESN_SR_SS_mST_SW_bEUlT_E_NS1_11comp_targetILNS1_3genE8ELNS1_11target_archE1030ELNS1_3gpuE2ELNS1_3repE0EEENS1_30default_config_static_selectorELNS0_4arch9wavefront6targetE1EEEvSQ_
	.globl	_ZN7rocprim17ROCPRIM_400000_NS6detail17trampoline_kernelINS0_14default_configENS1_27lower_bound_config_selectorIjjEEZNS1_14transform_implILb0ES3_S5_N6thrust23THRUST_200600_302600_NS17counting_iteratorIjNS8_11use_defaultESA_SA_EENS8_6detail15normal_iteratorINS8_10device_ptrIjEEEEZNS1_13binary_searchIS3_S5_SG_SB_SG_NS1_21lower_bound_search_opENSC_16wrapped_functionINS0_4lessIvEEbEEEE10hipError_tPvRmT1_T2_T3_mmT4_T5_P12ihipStream_tbEUlRKjE_EESN_SR_SS_mST_SW_bEUlT_E_NS1_11comp_targetILNS1_3genE8ELNS1_11target_archE1030ELNS1_3gpuE2ELNS1_3repE0EEENS1_30default_config_static_selectorELNS0_4arch9wavefront6targetE1EEEvSQ_
	.p2align	8
	.type	_ZN7rocprim17ROCPRIM_400000_NS6detail17trampoline_kernelINS0_14default_configENS1_27lower_bound_config_selectorIjjEEZNS1_14transform_implILb0ES3_S5_N6thrust23THRUST_200600_302600_NS17counting_iteratorIjNS8_11use_defaultESA_SA_EENS8_6detail15normal_iteratorINS8_10device_ptrIjEEEEZNS1_13binary_searchIS3_S5_SG_SB_SG_NS1_21lower_bound_search_opENSC_16wrapped_functionINS0_4lessIvEEbEEEE10hipError_tPvRmT1_T2_T3_mmT4_T5_P12ihipStream_tbEUlRKjE_EESN_SR_SS_mST_SW_bEUlT_E_NS1_11comp_targetILNS1_3genE8ELNS1_11target_archE1030ELNS1_3gpuE2ELNS1_3repE0EEENS1_30default_config_static_selectorELNS0_4arch9wavefront6targetE1EEEvSQ_,@function
_ZN7rocprim17ROCPRIM_400000_NS6detail17trampoline_kernelINS0_14default_configENS1_27lower_bound_config_selectorIjjEEZNS1_14transform_implILb0ES3_S5_N6thrust23THRUST_200600_302600_NS17counting_iteratorIjNS8_11use_defaultESA_SA_EENS8_6detail15normal_iteratorINS8_10device_ptrIjEEEEZNS1_13binary_searchIS3_S5_SG_SB_SG_NS1_21lower_bound_search_opENSC_16wrapped_functionINS0_4lessIvEEbEEEE10hipError_tPvRmT1_T2_T3_mmT4_T5_P12ihipStream_tbEUlRKjE_EESN_SR_SS_mST_SW_bEUlT_E_NS1_11comp_targetILNS1_3genE8ELNS1_11target_archE1030ELNS1_3gpuE2ELNS1_3repE0EEENS1_30default_config_static_selectorELNS0_4arch9wavefront6targetE1EEEvSQ_: ; @_ZN7rocprim17ROCPRIM_400000_NS6detail17trampoline_kernelINS0_14default_configENS1_27lower_bound_config_selectorIjjEEZNS1_14transform_implILb0ES3_S5_N6thrust23THRUST_200600_302600_NS17counting_iteratorIjNS8_11use_defaultESA_SA_EENS8_6detail15normal_iteratorINS8_10device_ptrIjEEEEZNS1_13binary_searchIS3_S5_SG_SB_SG_NS1_21lower_bound_search_opENSC_16wrapped_functionINS0_4lessIvEEbEEEE10hipError_tPvRmT1_T2_T3_mmT4_T5_P12ihipStream_tbEUlRKjE_EESN_SR_SS_mST_SW_bEUlT_E_NS1_11comp_targetILNS1_3genE8ELNS1_11target_archE1030ELNS1_3gpuE2ELNS1_3repE0EEENS1_30default_config_static_selectorELNS0_4arch9wavefront6targetE1EEEvSQ_
; %bb.0:
	.section	.rodata,"a",@progbits
	.p2align	6, 0x0
	.amdhsa_kernel _ZN7rocprim17ROCPRIM_400000_NS6detail17trampoline_kernelINS0_14default_configENS1_27lower_bound_config_selectorIjjEEZNS1_14transform_implILb0ES3_S5_N6thrust23THRUST_200600_302600_NS17counting_iteratorIjNS8_11use_defaultESA_SA_EENS8_6detail15normal_iteratorINS8_10device_ptrIjEEEEZNS1_13binary_searchIS3_S5_SG_SB_SG_NS1_21lower_bound_search_opENSC_16wrapped_functionINS0_4lessIvEEbEEEE10hipError_tPvRmT1_T2_T3_mmT4_T5_P12ihipStream_tbEUlRKjE_EESN_SR_SS_mST_SW_bEUlT_E_NS1_11comp_targetILNS1_3genE8ELNS1_11target_archE1030ELNS1_3gpuE2ELNS1_3repE0EEENS1_30default_config_static_selectorELNS0_4arch9wavefront6targetE1EEEvSQ_
		.amdhsa_group_segment_fixed_size 0
		.amdhsa_private_segment_fixed_size 0
		.amdhsa_kernarg_size 56
		.amdhsa_user_sgpr_count 6
		.amdhsa_user_sgpr_private_segment_buffer 1
		.amdhsa_user_sgpr_dispatch_ptr 0
		.amdhsa_user_sgpr_queue_ptr 0
		.amdhsa_user_sgpr_kernarg_segment_ptr 1
		.amdhsa_user_sgpr_dispatch_id 0
		.amdhsa_user_sgpr_flat_scratch_init 0
		.amdhsa_user_sgpr_kernarg_preload_length 0
		.amdhsa_user_sgpr_kernarg_preload_offset 0
		.amdhsa_user_sgpr_private_segment_size 0
		.amdhsa_uses_dynamic_stack 0
		.amdhsa_system_sgpr_private_segment_wavefront_offset 0
		.amdhsa_system_sgpr_workgroup_id_x 1
		.amdhsa_system_sgpr_workgroup_id_y 0
		.amdhsa_system_sgpr_workgroup_id_z 0
		.amdhsa_system_sgpr_workgroup_info 0
		.amdhsa_system_vgpr_workitem_id 0
		.amdhsa_next_free_vgpr 1
		.amdhsa_next_free_sgpr 0
		.amdhsa_accum_offset 4
		.amdhsa_reserve_vcc 0
		.amdhsa_reserve_flat_scratch 0
		.amdhsa_float_round_mode_32 0
		.amdhsa_float_round_mode_16_64 0
		.amdhsa_float_denorm_mode_32 3
		.amdhsa_float_denorm_mode_16_64 3
		.amdhsa_dx10_clamp 1
		.amdhsa_ieee_mode 1
		.amdhsa_fp16_overflow 0
		.amdhsa_tg_split 0
		.amdhsa_exception_fp_ieee_invalid_op 0
		.amdhsa_exception_fp_denorm_src 0
		.amdhsa_exception_fp_ieee_div_zero 0
		.amdhsa_exception_fp_ieee_overflow 0
		.amdhsa_exception_fp_ieee_underflow 0
		.amdhsa_exception_fp_ieee_inexact 0
		.amdhsa_exception_int_div_zero 0
	.end_amdhsa_kernel
	.section	.text._ZN7rocprim17ROCPRIM_400000_NS6detail17trampoline_kernelINS0_14default_configENS1_27lower_bound_config_selectorIjjEEZNS1_14transform_implILb0ES3_S5_N6thrust23THRUST_200600_302600_NS17counting_iteratorIjNS8_11use_defaultESA_SA_EENS8_6detail15normal_iteratorINS8_10device_ptrIjEEEEZNS1_13binary_searchIS3_S5_SG_SB_SG_NS1_21lower_bound_search_opENSC_16wrapped_functionINS0_4lessIvEEbEEEE10hipError_tPvRmT1_T2_T3_mmT4_T5_P12ihipStream_tbEUlRKjE_EESN_SR_SS_mST_SW_bEUlT_E_NS1_11comp_targetILNS1_3genE8ELNS1_11target_archE1030ELNS1_3gpuE2ELNS1_3repE0EEENS1_30default_config_static_selectorELNS0_4arch9wavefront6targetE1EEEvSQ_,"axG",@progbits,_ZN7rocprim17ROCPRIM_400000_NS6detail17trampoline_kernelINS0_14default_configENS1_27lower_bound_config_selectorIjjEEZNS1_14transform_implILb0ES3_S5_N6thrust23THRUST_200600_302600_NS17counting_iteratorIjNS8_11use_defaultESA_SA_EENS8_6detail15normal_iteratorINS8_10device_ptrIjEEEEZNS1_13binary_searchIS3_S5_SG_SB_SG_NS1_21lower_bound_search_opENSC_16wrapped_functionINS0_4lessIvEEbEEEE10hipError_tPvRmT1_T2_T3_mmT4_T5_P12ihipStream_tbEUlRKjE_EESN_SR_SS_mST_SW_bEUlT_E_NS1_11comp_targetILNS1_3genE8ELNS1_11target_archE1030ELNS1_3gpuE2ELNS1_3repE0EEENS1_30default_config_static_selectorELNS0_4arch9wavefront6targetE1EEEvSQ_,comdat
.Lfunc_end238:
	.size	_ZN7rocprim17ROCPRIM_400000_NS6detail17trampoline_kernelINS0_14default_configENS1_27lower_bound_config_selectorIjjEEZNS1_14transform_implILb0ES3_S5_N6thrust23THRUST_200600_302600_NS17counting_iteratorIjNS8_11use_defaultESA_SA_EENS8_6detail15normal_iteratorINS8_10device_ptrIjEEEEZNS1_13binary_searchIS3_S5_SG_SB_SG_NS1_21lower_bound_search_opENSC_16wrapped_functionINS0_4lessIvEEbEEEE10hipError_tPvRmT1_T2_T3_mmT4_T5_P12ihipStream_tbEUlRKjE_EESN_SR_SS_mST_SW_bEUlT_E_NS1_11comp_targetILNS1_3genE8ELNS1_11target_archE1030ELNS1_3gpuE2ELNS1_3repE0EEENS1_30default_config_static_selectorELNS0_4arch9wavefront6targetE1EEEvSQ_, .Lfunc_end238-_ZN7rocprim17ROCPRIM_400000_NS6detail17trampoline_kernelINS0_14default_configENS1_27lower_bound_config_selectorIjjEEZNS1_14transform_implILb0ES3_S5_N6thrust23THRUST_200600_302600_NS17counting_iteratorIjNS8_11use_defaultESA_SA_EENS8_6detail15normal_iteratorINS8_10device_ptrIjEEEEZNS1_13binary_searchIS3_S5_SG_SB_SG_NS1_21lower_bound_search_opENSC_16wrapped_functionINS0_4lessIvEEbEEEE10hipError_tPvRmT1_T2_T3_mmT4_T5_P12ihipStream_tbEUlRKjE_EESN_SR_SS_mST_SW_bEUlT_E_NS1_11comp_targetILNS1_3genE8ELNS1_11target_archE1030ELNS1_3gpuE2ELNS1_3repE0EEENS1_30default_config_static_selectorELNS0_4arch9wavefront6targetE1EEEvSQ_
                                        ; -- End function
	.section	.AMDGPU.csdata,"",@progbits
; Kernel info:
; codeLenInByte = 0
; NumSgprs: 4
; NumVgprs: 0
; NumAgprs: 0
; TotalNumVgprs: 0
; ScratchSize: 0
; MemoryBound: 0
; FloatMode: 240
; IeeeMode: 1
; LDSByteSize: 0 bytes/workgroup (compile time only)
; SGPRBlocks: 0
; VGPRBlocks: 0
; NumSGPRsForWavesPerEU: 4
; NumVGPRsForWavesPerEU: 1
; AccumOffset: 4
; Occupancy: 8
; WaveLimiterHint : 0
; COMPUTE_PGM_RSRC2:SCRATCH_EN: 0
; COMPUTE_PGM_RSRC2:USER_SGPR: 6
; COMPUTE_PGM_RSRC2:TRAP_HANDLER: 0
; COMPUTE_PGM_RSRC2:TGID_X_EN: 1
; COMPUTE_PGM_RSRC2:TGID_Y_EN: 0
; COMPUTE_PGM_RSRC2:TGID_Z_EN: 0
; COMPUTE_PGM_RSRC2:TIDIG_COMP_CNT: 0
; COMPUTE_PGM_RSRC3_GFX90A:ACCUM_OFFSET: 0
; COMPUTE_PGM_RSRC3_GFX90A:TG_SPLIT: 0
	.section	.text._ZN7rocprim17ROCPRIM_400000_NS6detail17trampoline_kernelINS0_14default_configENS1_27upper_bound_config_selectorIjjEEZNS1_14transform_implILb0ES3_S5_N6thrust23THRUST_200600_302600_NS17counting_iteratorIjNS8_11use_defaultESA_SA_EENS8_6detail15normal_iteratorINS8_10device_ptrIjEEEEZNS1_13binary_searchIS3_S5_SG_SB_SG_NS1_21upper_bound_search_opENSC_16wrapped_functionINS0_4lessIvEEbEEEE10hipError_tPvRmT1_T2_T3_mmT4_T5_P12ihipStream_tbEUlRKjE_EESN_SR_SS_mST_SW_bEUlT_E_NS1_11comp_targetILNS1_3genE0ELNS1_11target_archE4294967295ELNS1_3gpuE0ELNS1_3repE0EEENS1_30default_config_static_selectorELNS0_4arch9wavefront6targetE1EEEvSQ_,"axG",@progbits,_ZN7rocprim17ROCPRIM_400000_NS6detail17trampoline_kernelINS0_14default_configENS1_27upper_bound_config_selectorIjjEEZNS1_14transform_implILb0ES3_S5_N6thrust23THRUST_200600_302600_NS17counting_iteratorIjNS8_11use_defaultESA_SA_EENS8_6detail15normal_iteratorINS8_10device_ptrIjEEEEZNS1_13binary_searchIS3_S5_SG_SB_SG_NS1_21upper_bound_search_opENSC_16wrapped_functionINS0_4lessIvEEbEEEE10hipError_tPvRmT1_T2_T3_mmT4_T5_P12ihipStream_tbEUlRKjE_EESN_SR_SS_mST_SW_bEUlT_E_NS1_11comp_targetILNS1_3genE0ELNS1_11target_archE4294967295ELNS1_3gpuE0ELNS1_3repE0EEENS1_30default_config_static_selectorELNS0_4arch9wavefront6targetE1EEEvSQ_,comdat
	.protected	_ZN7rocprim17ROCPRIM_400000_NS6detail17trampoline_kernelINS0_14default_configENS1_27upper_bound_config_selectorIjjEEZNS1_14transform_implILb0ES3_S5_N6thrust23THRUST_200600_302600_NS17counting_iteratorIjNS8_11use_defaultESA_SA_EENS8_6detail15normal_iteratorINS8_10device_ptrIjEEEEZNS1_13binary_searchIS3_S5_SG_SB_SG_NS1_21upper_bound_search_opENSC_16wrapped_functionINS0_4lessIvEEbEEEE10hipError_tPvRmT1_T2_T3_mmT4_T5_P12ihipStream_tbEUlRKjE_EESN_SR_SS_mST_SW_bEUlT_E_NS1_11comp_targetILNS1_3genE0ELNS1_11target_archE4294967295ELNS1_3gpuE0ELNS1_3repE0EEENS1_30default_config_static_selectorELNS0_4arch9wavefront6targetE1EEEvSQ_ ; -- Begin function _ZN7rocprim17ROCPRIM_400000_NS6detail17trampoline_kernelINS0_14default_configENS1_27upper_bound_config_selectorIjjEEZNS1_14transform_implILb0ES3_S5_N6thrust23THRUST_200600_302600_NS17counting_iteratorIjNS8_11use_defaultESA_SA_EENS8_6detail15normal_iteratorINS8_10device_ptrIjEEEEZNS1_13binary_searchIS3_S5_SG_SB_SG_NS1_21upper_bound_search_opENSC_16wrapped_functionINS0_4lessIvEEbEEEE10hipError_tPvRmT1_T2_T3_mmT4_T5_P12ihipStream_tbEUlRKjE_EESN_SR_SS_mST_SW_bEUlT_E_NS1_11comp_targetILNS1_3genE0ELNS1_11target_archE4294967295ELNS1_3gpuE0ELNS1_3repE0EEENS1_30default_config_static_selectorELNS0_4arch9wavefront6targetE1EEEvSQ_
	.globl	_ZN7rocprim17ROCPRIM_400000_NS6detail17trampoline_kernelINS0_14default_configENS1_27upper_bound_config_selectorIjjEEZNS1_14transform_implILb0ES3_S5_N6thrust23THRUST_200600_302600_NS17counting_iteratorIjNS8_11use_defaultESA_SA_EENS8_6detail15normal_iteratorINS8_10device_ptrIjEEEEZNS1_13binary_searchIS3_S5_SG_SB_SG_NS1_21upper_bound_search_opENSC_16wrapped_functionINS0_4lessIvEEbEEEE10hipError_tPvRmT1_T2_T3_mmT4_T5_P12ihipStream_tbEUlRKjE_EESN_SR_SS_mST_SW_bEUlT_E_NS1_11comp_targetILNS1_3genE0ELNS1_11target_archE4294967295ELNS1_3gpuE0ELNS1_3repE0EEENS1_30default_config_static_selectorELNS0_4arch9wavefront6targetE1EEEvSQ_
	.p2align	8
	.type	_ZN7rocprim17ROCPRIM_400000_NS6detail17trampoline_kernelINS0_14default_configENS1_27upper_bound_config_selectorIjjEEZNS1_14transform_implILb0ES3_S5_N6thrust23THRUST_200600_302600_NS17counting_iteratorIjNS8_11use_defaultESA_SA_EENS8_6detail15normal_iteratorINS8_10device_ptrIjEEEEZNS1_13binary_searchIS3_S5_SG_SB_SG_NS1_21upper_bound_search_opENSC_16wrapped_functionINS0_4lessIvEEbEEEE10hipError_tPvRmT1_T2_T3_mmT4_T5_P12ihipStream_tbEUlRKjE_EESN_SR_SS_mST_SW_bEUlT_E_NS1_11comp_targetILNS1_3genE0ELNS1_11target_archE4294967295ELNS1_3gpuE0ELNS1_3repE0EEENS1_30default_config_static_selectorELNS0_4arch9wavefront6targetE1EEEvSQ_,@function
_ZN7rocprim17ROCPRIM_400000_NS6detail17trampoline_kernelINS0_14default_configENS1_27upper_bound_config_selectorIjjEEZNS1_14transform_implILb0ES3_S5_N6thrust23THRUST_200600_302600_NS17counting_iteratorIjNS8_11use_defaultESA_SA_EENS8_6detail15normal_iteratorINS8_10device_ptrIjEEEEZNS1_13binary_searchIS3_S5_SG_SB_SG_NS1_21upper_bound_search_opENSC_16wrapped_functionINS0_4lessIvEEbEEEE10hipError_tPvRmT1_T2_T3_mmT4_T5_P12ihipStream_tbEUlRKjE_EESN_SR_SS_mST_SW_bEUlT_E_NS1_11comp_targetILNS1_3genE0ELNS1_11target_archE4294967295ELNS1_3gpuE0ELNS1_3repE0EEENS1_30default_config_static_selectorELNS0_4arch9wavefront6targetE1EEEvSQ_: ; @_ZN7rocprim17ROCPRIM_400000_NS6detail17trampoline_kernelINS0_14default_configENS1_27upper_bound_config_selectorIjjEEZNS1_14transform_implILb0ES3_S5_N6thrust23THRUST_200600_302600_NS17counting_iteratorIjNS8_11use_defaultESA_SA_EENS8_6detail15normal_iteratorINS8_10device_ptrIjEEEEZNS1_13binary_searchIS3_S5_SG_SB_SG_NS1_21upper_bound_search_opENSC_16wrapped_functionINS0_4lessIvEEbEEEE10hipError_tPvRmT1_T2_T3_mmT4_T5_P12ihipStream_tbEUlRKjE_EESN_SR_SS_mST_SW_bEUlT_E_NS1_11comp_targetILNS1_3genE0ELNS1_11target_archE4294967295ELNS1_3gpuE0ELNS1_3repE0EEENS1_30default_config_static_selectorELNS0_4arch9wavefront6targetE1EEEvSQ_
; %bb.0:
	.section	.rodata,"a",@progbits
	.p2align	6, 0x0
	.amdhsa_kernel _ZN7rocprim17ROCPRIM_400000_NS6detail17trampoline_kernelINS0_14default_configENS1_27upper_bound_config_selectorIjjEEZNS1_14transform_implILb0ES3_S5_N6thrust23THRUST_200600_302600_NS17counting_iteratorIjNS8_11use_defaultESA_SA_EENS8_6detail15normal_iteratorINS8_10device_ptrIjEEEEZNS1_13binary_searchIS3_S5_SG_SB_SG_NS1_21upper_bound_search_opENSC_16wrapped_functionINS0_4lessIvEEbEEEE10hipError_tPvRmT1_T2_T3_mmT4_T5_P12ihipStream_tbEUlRKjE_EESN_SR_SS_mST_SW_bEUlT_E_NS1_11comp_targetILNS1_3genE0ELNS1_11target_archE4294967295ELNS1_3gpuE0ELNS1_3repE0EEENS1_30default_config_static_selectorELNS0_4arch9wavefront6targetE1EEEvSQ_
		.amdhsa_group_segment_fixed_size 0
		.amdhsa_private_segment_fixed_size 0
		.amdhsa_kernarg_size 56
		.amdhsa_user_sgpr_count 6
		.amdhsa_user_sgpr_private_segment_buffer 1
		.amdhsa_user_sgpr_dispatch_ptr 0
		.amdhsa_user_sgpr_queue_ptr 0
		.amdhsa_user_sgpr_kernarg_segment_ptr 1
		.amdhsa_user_sgpr_dispatch_id 0
		.amdhsa_user_sgpr_flat_scratch_init 0
		.amdhsa_user_sgpr_kernarg_preload_length 0
		.amdhsa_user_sgpr_kernarg_preload_offset 0
		.amdhsa_user_sgpr_private_segment_size 0
		.amdhsa_uses_dynamic_stack 0
		.amdhsa_system_sgpr_private_segment_wavefront_offset 0
		.amdhsa_system_sgpr_workgroup_id_x 1
		.amdhsa_system_sgpr_workgroup_id_y 0
		.amdhsa_system_sgpr_workgroup_id_z 0
		.amdhsa_system_sgpr_workgroup_info 0
		.amdhsa_system_vgpr_workitem_id 0
		.amdhsa_next_free_vgpr 1
		.amdhsa_next_free_sgpr 0
		.amdhsa_accum_offset 4
		.amdhsa_reserve_vcc 0
		.amdhsa_reserve_flat_scratch 0
		.amdhsa_float_round_mode_32 0
		.amdhsa_float_round_mode_16_64 0
		.amdhsa_float_denorm_mode_32 3
		.amdhsa_float_denorm_mode_16_64 3
		.amdhsa_dx10_clamp 1
		.amdhsa_ieee_mode 1
		.amdhsa_fp16_overflow 0
		.amdhsa_tg_split 0
		.amdhsa_exception_fp_ieee_invalid_op 0
		.amdhsa_exception_fp_denorm_src 0
		.amdhsa_exception_fp_ieee_div_zero 0
		.amdhsa_exception_fp_ieee_overflow 0
		.amdhsa_exception_fp_ieee_underflow 0
		.amdhsa_exception_fp_ieee_inexact 0
		.amdhsa_exception_int_div_zero 0
	.end_amdhsa_kernel
	.section	.text._ZN7rocprim17ROCPRIM_400000_NS6detail17trampoline_kernelINS0_14default_configENS1_27upper_bound_config_selectorIjjEEZNS1_14transform_implILb0ES3_S5_N6thrust23THRUST_200600_302600_NS17counting_iteratorIjNS8_11use_defaultESA_SA_EENS8_6detail15normal_iteratorINS8_10device_ptrIjEEEEZNS1_13binary_searchIS3_S5_SG_SB_SG_NS1_21upper_bound_search_opENSC_16wrapped_functionINS0_4lessIvEEbEEEE10hipError_tPvRmT1_T2_T3_mmT4_T5_P12ihipStream_tbEUlRKjE_EESN_SR_SS_mST_SW_bEUlT_E_NS1_11comp_targetILNS1_3genE0ELNS1_11target_archE4294967295ELNS1_3gpuE0ELNS1_3repE0EEENS1_30default_config_static_selectorELNS0_4arch9wavefront6targetE1EEEvSQ_,"axG",@progbits,_ZN7rocprim17ROCPRIM_400000_NS6detail17trampoline_kernelINS0_14default_configENS1_27upper_bound_config_selectorIjjEEZNS1_14transform_implILb0ES3_S5_N6thrust23THRUST_200600_302600_NS17counting_iteratorIjNS8_11use_defaultESA_SA_EENS8_6detail15normal_iteratorINS8_10device_ptrIjEEEEZNS1_13binary_searchIS3_S5_SG_SB_SG_NS1_21upper_bound_search_opENSC_16wrapped_functionINS0_4lessIvEEbEEEE10hipError_tPvRmT1_T2_T3_mmT4_T5_P12ihipStream_tbEUlRKjE_EESN_SR_SS_mST_SW_bEUlT_E_NS1_11comp_targetILNS1_3genE0ELNS1_11target_archE4294967295ELNS1_3gpuE0ELNS1_3repE0EEENS1_30default_config_static_selectorELNS0_4arch9wavefront6targetE1EEEvSQ_,comdat
.Lfunc_end239:
	.size	_ZN7rocprim17ROCPRIM_400000_NS6detail17trampoline_kernelINS0_14default_configENS1_27upper_bound_config_selectorIjjEEZNS1_14transform_implILb0ES3_S5_N6thrust23THRUST_200600_302600_NS17counting_iteratorIjNS8_11use_defaultESA_SA_EENS8_6detail15normal_iteratorINS8_10device_ptrIjEEEEZNS1_13binary_searchIS3_S5_SG_SB_SG_NS1_21upper_bound_search_opENSC_16wrapped_functionINS0_4lessIvEEbEEEE10hipError_tPvRmT1_T2_T3_mmT4_T5_P12ihipStream_tbEUlRKjE_EESN_SR_SS_mST_SW_bEUlT_E_NS1_11comp_targetILNS1_3genE0ELNS1_11target_archE4294967295ELNS1_3gpuE0ELNS1_3repE0EEENS1_30default_config_static_selectorELNS0_4arch9wavefront6targetE1EEEvSQ_, .Lfunc_end239-_ZN7rocprim17ROCPRIM_400000_NS6detail17trampoline_kernelINS0_14default_configENS1_27upper_bound_config_selectorIjjEEZNS1_14transform_implILb0ES3_S5_N6thrust23THRUST_200600_302600_NS17counting_iteratorIjNS8_11use_defaultESA_SA_EENS8_6detail15normal_iteratorINS8_10device_ptrIjEEEEZNS1_13binary_searchIS3_S5_SG_SB_SG_NS1_21upper_bound_search_opENSC_16wrapped_functionINS0_4lessIvEEbEEEE10hipError_tPvRmT1_T2_T3_mmT4_T5_P12ihipStream_tbEUlRKjE_EESN_SR_SS_mST_SW_bEUlT_E_NS1_11comp_targetILNS1_3genE0ELNS1_11target_archE4294967295ELNS1_3gpuE0ELNS1_3repE0EEENS1_30default_config_static_selectorELNS0_4arch9wavefront6targetE1EEEvSQ_
                                        ; -- End function
	.section	.AMDGPU.csdata,"",@progbits
; Kernel info:
; codeLenInByte = 0
; NumSgprs: 4
; NumVgprs: 0
; NumAgprs: 0
; TotalNumVgprs: 0
; ScratchSize: 0
; MemoryBound: 0
; FloatMode: 240
; IeeeMode: 1
; LDSByteSize: 0 bytes/workgroup (compile time only)
; SGPRBlocks: 0
; VGPRBlocks: 0
; NumSGPRsForWavesPerEU: 4
; NumVGPRsForWavesPerEU: 1
; AccumOffset: 4
; Occupancy: 8
; WaveLimiterHint : 0
; COMPUTE_PGM_RSRC2:SCRATCH_EN: 0
; COMPUTE_PGM_RSRC2:USER_SGPR: 6
; COMPUTE_PGM_RSRC2:TRAP_HANDLER: 0
; COMPUTE_PGM_RSRC2:TGID_X_EN: 1
; COMPUTE_PGM_RSRC2:TGID_Y_EN: 0
; COMPUTE_PGM_RSRC2:TGID_Z_EN: 0
; COMPUTE_PGM_RSRC2:TIDIG_COMP_CNT: 0
; COMPUTE_PGM_RSRC3_GFX90A:ACCUM_OFFSET: 0
; COMPUTE_PGM_RSRC3_GFX90A:TG_SPLIT: 0
	.section	.text._ZN7rocprim17ROCPRIM_400000_NS6detail17trampoline_kernelINS0_14default_configENS1_27upper_bound_config_selectorIjjEEZNS1_14transform_implILb0ES3_S5_N6thrust23THRUST_200600_302600_NS17counting_iteratorIjNS8_11use_defaultESA_SA_EENS8_6detail15normal_iteratorINS8_10device_ptrIjEEEEZNS1_13binary_searchIS3_S5_SG_SB_SG_NS1_21upper_bound_search_opENSC_16wrapped_functionINS0_4lessIvEEbEEEE10hipError_tPvRmT1_T2_T3_mmT4_T5_P12ihipStream_tbEUlRKjE_EESN_SR_SS_mST_SW_bEUlT_E_NS1_11comp_targetILNS1_3genE5ELNS1_11target_archE942ELNS1_3gpuE9ELNS1_3repE0EEENS1_30default_config_static_selectorELNS0_4arch9wavefront6targetE1EEEvSQ_,"axG",@progbits,_ZN7rocprim17ROCPRIM_400000_NS6detail17trampoline_kernelINS0_14default_configENS1_27upper_bound_config_selectorIjjEEZNS1_14transform_implILb0ES3_S5_N6thrust23THRUST_200600_302600_NS17counting_iteratorIjNS8_11use_defaultESA_SA_EENS8_6detail15normal_iteratorINS8_10device_ptrIjEEEEZNS1_13binary_searchIS3_S5_SG_SB_SG_NS1_21upper_bound_search_opENSC_16wrapped_functionINS0_4lessIvEEbEEEE10hipError_tPvRmT1_T2_T3_mmT4_T5_P12ihipStream_tbEUlRKjE_EESN_SR_SS_mST_SW_bEUlT_E_NS1_11comp_targetILNS1_3genE5ELNS1_11target_archE942ELNS1_3gpuE9ELNS1_3repE0EEENS1_30default_config_static_selectorELNS0_4arch9wavefront6targetE1EEEvSQ_,comdat
	.protected	_ZN7rocprim17ROCPRIM_400000_NS6detail17trampoline_kernelINS0_14default_configENS1_27upper_bound_config_selectorIjjEEZNS1_14transform_implILb0ES3_S5_N6thrust23THRUST_200600_302600_NS17counting_iteratorIjNS8_11use_defaultESA_SA_EENS8_6detail15normal_iteratorINS8_10device_ptrIjEEEEZNS1_13binary_searchIS3_S5_SG_SB_SG_NS1_21upper_bound_search_opENSC_16wrapped_functionINS0_4lessIvEEbEEEE10hipError_tPvRmT1_T2_T3_mmT4_T5_P12ihipStream_tbEUlRKjE_EESN_SR_SS_mST_SW_bEUlT_E_NS1_11comp_targetILNS1_3genE5ELNS1_11target_archE942ELNS1_3gpuE9ELNS1_3repE0EEENS1_30default_config_static_selectorELNS0_4arch9wavefront6targetE1EEEvSQ_ ; -- Begin function _ZN7rocprim17ROCPRIM_400000_NS6detail17trampoline_kernelINS0_14default_configENS1_27upper_bound_config_selectorIjjEEZNS1_14transform_implILb0ES3_S5_N6thrust23THRUST_200600_302600_NS17counting_iteratorIjNS8_11use_defaultESA_SA_EENS8_6detail15normal_iteratorINS8_10device_ptrIjEEEEZNS1_13binary_searchIS3_S5_SG_SB_SG_NS1_21upper_bound_search_opENSC_16wrapped_functionINS0_4lessIvEEbEEEE10hipError_tPvRmT1_T2_T3_mmT4_T5_P12ihipStream_tbEUlRKjE_EESN_SR_SS_mST_SW_bEUlT_E_NS1_11comp_targetILNS1_3genE5ELNS1_11target_archE942ELNS1_3gpuE9ELNS1_3repE0EEENS1_30default_config_static_selectorELNS0_4arch9wavefront6targetE1EEEvSQ_
	.globl	_ZN7rocprim17ROCPRIM_400000_NS6detail17trampoline_kernelINS0_14default_configENS1_27upper_bound_config_selectorIjjEEZNS1_14transform_implILb0ES3_S5_N6thrust23THRUST_200600_302600_NS17counting_iteratorIjNS8_11use_defaultESA_SA_EENS8_6detail15normal_iteratorINS8_10device_ptrIjEEEEZNS1_13binary_searchIS3_S5_SG_SB_SG_NS1_21upper_bound_search_opENSC_16wrapped_functionINS0_4lessIvEEbEEEE10hipError_tPvRmT1_T2_T3_mmT4_T5_P12ihipStream_tbEUlRKjE_EESN_SR_SS_mST_SW_bEUlT_E_NS1_11comp_targetILNS1_3genE5ELNS1_11target_archE942ELNS1_3gpuE9ELNS1_3repE0EEENS1_30default_config_static_selectorELNS0_4arch9wavefront6targetE1EEEvSQ_
	.p2align	8
	.type	_ZN7rocprim17ROCPRIM_400000_NS6detail17trampoline_kernelINS0_14default_configENS1_27upper_bound_config_selectorIjjEEZNS1_14transform_implILb0ES3_S5_N6thrust23THRUST_200600_302600_NS17counting_iteratorIjNS8_11use_defaultESA_SA_EENS8_6detail15normal_iteratorINS8_10device_ptrIjEEEEZNS1_13binary_searchIS3_S5_SG_SB_SG_NS1_21upper_bound_search_opENSC_16wrapped_functionINS0_4lessIvEEbEEEE10hipError_tPvRmT1_T2_T3_mmT4_T5_P12ihipStream_tbEUlRKjE_EESN_SR_SS_mST_SW_bEUlT_E_NS1_11comp_targetILNS1_3genE5ELNS1_11target_archE942ELNS1_3gpuE9ELNS1_3repE0EEENS1_30default_config_static_selectorELNS0_4arch9wavefront6targetE1EEEvSQ_,@function
_ZN7rocprim17ROCPRIM_400000_NS6detail17trampoline_kernelINS0_14default_configENS1_27upper_bound_config_selectorIjjEEZNS1_14transform_implILb0ES3_S5_N6thrust23THRUST_200600_302600_NS17counting_iteratorIjNS8_11use_defaultESA_SA_EENS8_6detail15normal_iteratorINS8_10device_ptrIjEEEEZNS1_13binary_searchIS3_S5_SG_SB_SG_NS1_21upper_bound_search_opENSC_16wrapped_functionINS0_4lessIvEEbEEEE10hipError_tPvRmT1_T2_T3_mmT4_T5_P12ihipStream_tbEUlRKjE_EESN_SR_SS_mST_SW_bEUlT_E_NS1_11comp_targetILNS1_3genE5ELNS1_11target_archE942ELNS1_3gpuE9ELNS1_3repE0EEENS1_30default_config_static_selectorELNS0_4arch9wavefront6targetE1EEEvSQ_: ; @_ZN7rocprim17ROCPRIM_400000_NS6detail17trampoline_kernelINS0_14default_configENS1_27upper_bound_config_selectorIjjEEZNS1_14transform_implILb0ES3_S5_N6thrust23THRUST_200600_302600_NS17counting_iteratorIjNS8_11use_defaultESA_SA_EENS8_6detail15normal_iteratorINS8_10device_ptrIjEEEEZNS1_13binary_searchIS3_S5_SG_SB_SG_NS1_21upper_bound_search_opENSC_16wrapped_functionINS0_4lessIvEEbEEEE10hipError_tPvRmT1_T2_T3_mmT4_T5_P12ihipStream_tbEUlRKjE_EESN_SR_SS_mST_SW_bEUlT_E_NS1_11comp_targetILNS1_3genE5ELNS1_11target_archE942ELNS1_3gpuE9ELNS1_3repE0EEENS1_30default_config_static_selectorELNS0_4arch9wavefront6targetE1EEEvSQ_
; %bb.0:
	.section	.rodata,"a",@progbits
	.p2align	6, 0x0
	.amdhsa_kernel _ZN7rocprim17ROCPRIM_400000_NS6detail17trampoline_kernelINS0_14default_configENS1_27upper_bound_config_selectorIjjEEZNS1_14transform_implILb0ES3_S5_N6thrust23THRUST_200600_302600_NS17counting_iteratorIjNS8_11use_defaultESA_SA_EENS8_6detail15normal_iteratorINS8_10device_ptrIjEEEEZNS1_13binary_searchIS3_S5_SG_SB_SG_NS1_21upper_bound_search_opENSC_16wrapped_functionINS0_4lessIvEEbEEEE10hipError_tPvRmT1_T2_T3_mmT4_T5_P12ihipStream_tbEUlRKjE_EESN_SR_SS_mST_SW_bEUlT_E_NS1_11comp_targetILNS1_3genE5ELNS1_11target_archE942ELNS1_3gpuE9ELNS1_3repE0EEENS1_30default_config_static_selectorELNS0_4arch9wavefront6targetE1EEEvSQ_
		.amdhsa_group_segment_fixed_size 0
		.amdhsa_private_segment_fixed_size 0
		.amdhsa_kernarg_size 56
		.amdhsa_user_sgpr_count 6
		.amdhsa_user_sgpr_private_segment_buffer 1
		.amdhsa_user_sgpr_dispatch_ptr 0
		.amdhsa_user_sgpr_queue_ptr 0
		.amdhsa_user_sgpr_kernarg_segment_ptr 1
		.amdhsa_user_sgpr_dispatch_id 0
		.amdhsa_user_sgpr_flat_scratch_init 0
		.amdhsa_user_sgpr_kernarg_preload_length 0
		.amdhsa_user_sgpr_kernarg_preload_offset 0
		.amdhsa_user_sgpr_private_segment_size 0
		.amdhsa_uses_dynamic_stack 0
		.amdhsa_system_sgpr_private_segment_wavefront_offset 0
		.amdhsa_system_sgpr_workgroup_id_x 1
		.amdhsa_system_sgpr_workgroup_id_y 0
		.amdhsa_system_sgpr_workgroup_id_z 0
		.amdhsa_system_sgpr_workgroup_info 0
		.amdhsa_system_vgpr_workitem_id 0
		.amdhsa_next_free_vgpr 1
		.amdhsa_next_free_sgpr 0
		.amdhsa_accum_offset 4
		.amdhsa_reserve_vcc 0
		.amdhsa_reserve_flat_scratch 0
		.amdhsa_float_round_mode_32 0
		.amdhsa_float_round_mode_16_64 0
		.amdhsa_float_denorm_mode_32 3
		.amdhsa_float_denorm_mode_16_64 3
		.amdhsa_dx10_clamp 1
		.amdhsa_ieee_mode 1
		.amdhsa_fp16_overflow 0
		.amdhsa_tg_split 0
		.amdhsa_exception_fp_ieee_invalid_op 0
		.amdhsa_exception_fp_denorm_src 0
		.amdhsa_exception_fp_ieee_div_zero 0
		.amdhsa_exception_fp_ieee_overflow 0
		.amdhsa_exception_fp_ieee_underflow 0
		.amdhsa_exception_fp_ieee_inexact 0
		.amdhsa_exception_int_div_zero 0
	.end_amdhsa_kernel
	.section	.text._ZN7rocprim17ROCPRIM_400000_NS6detail17trampoline_kernelINS0_14default_configENS1_27upper_bound_config_selectorIjjEEZNS1_14transform_implILb0ES3_S5_N6thrust23THRUST_200600_302600_NS17counting_iteratorIjNS8_11use_defaultESA_SA_EENS8_6detail15normal_iteratorINS8_10device_ptrIjEEEEZNS1_13binary_searchIS3_S5_SG_SB_SG_NS1_21upper_bound_search_opENSC_16wrapped_functionINS0_4lessIvEEbEEEE10hipError_tPvRmT1_T2_T3_mmT4_T5_P12ihipStream_tbEUlRKjE_EESN_SR_SS_mST_SW_bEUlT_E_NS1_11comp_targetILNS1_3genE5ELNS1_11target_archE942ELNS1_3gpuE9ELNS1_3repE0EEENS1_30default_config_static_selectorELNS0_4arch9wavefront6targetE1EEEvSQ_,"axG",@progbits,_ZN7rocprim17ROCPRIM_400000_NS6detail17trampoline_kernelINS0_14default_configENS1_27upper_bound_config_selectorIjjEEZNS1_14transform_implILb0ES3_S5_N6thrust23THRUST_200600_302600_NS17counting_iteratorIjNS8_11use_defaultESA_SA_EENS8_6detail15normal_iteratorINS8_10device_ptrIjEEEEZNS1_13binary_searchIS3_S5_SG_SB_SG_NS1_21upper_bound_search_opENSC_16wrapped_functionINS0_4lessIvEEbEEEE10hipError_tPvRmT1_T2_T3_mmT4_T5_P12ihipStream_tbEUlRKjE_EESN_SR_SS_mST_SW_bEUlT_E_NS1_11comp_targetILNS1_3genE5ELNS1_11target_archE942ELNS1_3gpuE9ELNS1_3repE0EEENS1_30default_config_static_selectorELNS0_4arch9wavefront6targetE1EEEvSQ_,comdat
.Lfunc_end240:
	.size	_ZN7rocprim17ROCPRIM_400000_NS6detail17trampoline_kernelINS0_14default_configENS1_27upper_bound_config_selectorIjjEEZNS1_14transform_implILb0ES3_S5_N6thrust23THRUST_200600_302600_NS17counting_iteratorIjNS8_11use_defaultESA_SA_EENS8_6detail15normal_iteratorINS8_10device_ptrIjEEEEZNS1_13binary_searchIS3_S5_SG_SB_SG_NS1_21upper_bound_search_opENSC_16wrapped_functionINS0_4lessIvEEbEEEE10hipError_tPvRmT1_T2_T3_mmT4_T5_P12ihipStream_tbEUlRKjE_EESN_SR_SS_mST_SW_bEUlT_E_NS1_11comp_targetILNS1_3genE5ELNS1_11target_archE942ELNS1_3gpuE9ELNS1_3repE0EEENS1_30default_config_static_selectorELNS0_4arch9wavefront6targetE1EEEvSQ_, .Lfunc_end240-_ZN7rocprim17ROCPRIM_400000_NS6detail17trampoline_kernelINS0_14default_configENS1_27upper_bound_config_selectorIjjEEZNS1_14transform_implILb0ES3_S5_N6thrust23THRUST_200600_302600_NS17counting_iteratorIjNS8_11use_defaultESA_SA_EENS8_6detail15normal_iteratorINS8_10device_ptrIjEEEEZNS1_13binary_searchIS3_S5_SG_SB_SG_NS1_21upper_bound_search_opENSC_16wrapped_functionINS0_4lessIvEEbEEEE10hipError_tPvRmT1_T2_T3_mmT4_T5_P12ihipStream_tbEUlRKjE_EESN_SR_SS_mST_SW_bEUlT_E_NS1_11comp_targetILNS1_3genE5ELNS1_11target_archE942ELNS1_3gpuE9ELNS1_3repE0EEENS1_30default_config_static_selectorELNS0_4arch9wavefront6targetE1EEEvSQ_
                                        ; -- End function
	.section	.AMDGPU.csdata,"",@progbits
; Kernel info:
; codeLenInByte = 0
; NumSgprs: 4
; NumVgprs: 0
; NumAgprs: 0
; TotalNumVgprs: 0
; ScratchSize: 0
; MemoryBound: 0
; FloatMode: 240
; IeeeMode: 1
; LDSByteSize: 0 bytes/workgroup (compile time only)
; SGPRBlocks: 0
; VGPRBlocks: 0
; NumSGPRsForWavesPerEU: 4
; NumVGPRsForWavesPerEU: 1
; AccumOffset: 4
; Occupancy: 8
; WaveLimiterHint : 0
; COMPUTE_PGM_RSRC2:SCRATCH_EN: 0
; COMPUTE_PGM_RSRC2:USER_SGPR: 6
; COMPUTE_PGM_RSRC2:TRAP_HANDLER: 0
; COMPUTE_PGM_RSRC2:TGID_X_EN: 1
; COMPUTE_PGM_RSRC2:TGID_Y_EN: 0
; COMPUTE_PGM_RSRC2:TGID_Z_EN: 0
; COMPUTE_PGM_RSRC2:TIDIG_COMP_CNT: 0
; COMPUTE_PGM_RSRC3_GFX90A:ACCUM_OFFSET: 0
; COMPUTE_PGM_RSRC3_GFX90A:TG_SPLIT: 0
	.section	.text._ZN7rocprim17ROCPRIM_400000_NS6detail17trampoline_kernelINS0_14default_configENS1_27upper_bound_config_selectorIjjEEZNS1_14transform_implILb0ES3_S5_N6thrust23THRUST_200600_302600_NS17counting_iteratorIjNS8_11use_defaultESA_SA_EENS8_6detail15normal_iteratorINS8_10device_ptrIjEEEEZNS1_13binary_searchIS3_S5_SG_SB_SG_NS1_21upper_bound_search_opENSC_16wrapped_functionINS0_4lessIvEEbEEEE10hipError_tPvRmT1_T2_T3_mmT4_T5_P12ihipStream_tbEUlRKjE_EESN_SR_SS_mST_SW_bEUlT_E_NS1_11comp_targetILNS1_3genE4ELNS1_11target_archE910ELNS1_3gpuE8ELNS1_3repE0EEENS1_30default_config_static_selectorELNS0_4arch9wavefront6targetE1EEEvSQ_,"axG",@progbits,_ZN7rocprim17ROCPRIM_400000_NS6detail17trampoline_kernelINS0_14default_configENS1_27upper_bound_config_selectorIjjEEZNS1_14transform_implILb0ES3_S5_N6thrust23THRUST_200600_302600_NS17counting_iteratorIjNS8_11use_defaultESA_SA_EENS8_6detail15normal_iteratorINS8_10device_ptrIjEEEEZNS1_13binary_searchIS3_S5_SG_SB_SG_NS1_21upper_bound_search_opENSC_16wrapped_functionINS0_4lessIvEEbEEEE10hipError_tPvRmT1_T2_T3_mmT4_T5_P12ihipStream_tbEUlRKjE_EESN_SR_SS_mST_SW_bEUlT_E_NS1_11comp_targetILNS1_3genE4ELNS1_11target_archE910ELNS1_3gpuE8ELNS1_3repE0EEENS1_30default_config_static_selectorELNS0_4arch9wavefront6targetE1EEEvSQ_,comdat
	.protected	_ZN7rocprim17ROCPRIM_400000_NS6detail17trampoline_kernelINS0_14default_configENS1_27upper_bound_config_selectorIjjEEZNS1_14transform_implILb0ES3_S5_N6thrust23THRUST_200600_302600_NS17counting_iteratorIjNS8_11use_defaultESA_SA_EENS8_6detail15normal_iteratorINS8_10device_ptrIjEEEEZNS1_13binary_searchIS3_S5_SG_SB_SG_NS1_21upper_bound_search_opENSC_16wrapped_functionINS0_4lessIvEEbEEEE10hipError_tPvRmT1_T2_T3_mmT4_T5_P12ihipStream_tbEUlRKjE_EESN_SR_SS_mST_SW_bEUlT_E_NS1_11comp_targetILNS1_3genE4ELNS1_11target_archE910ELNS1_3gpuE8ELNS1_3repE0EEENS1_30default_config_static_selectorELNS0_4arch9wavefront6targetE1EEEvSQ_ ; -- Begin function _ZN7rocprim17ROCPRIM_400000_NS6detail17trampoline_kernelINS0_14default_configENS1_27upper_bound_config_selectorIjjEEZNS1_14transform_implILb0ES3_S5_N6thrust23THRUST_200600_302600_NS17counting_iteratorIjNS8_11use_defaultESA_SA_EENS8_6detail15normal_iteratorINS8_10device_ptrIjEEEEZNS1_13binary_searchIS3_S5_SG_SB_SG_NS1_21upper_bound_search_opENSC_16wrapped_functionINS0_4lessIvEEbEEEE10hipError_tPvRmT1_T2_T3_mmT4_T5_P12ihipStream_tbEUlRKjE_EESN_SR_SS_mST_SW_bEUlT_E_NS1_11comp_targetILNS1_3genE4ELNS1_11target_archE910ELNS1_3gpuE8ELNS1_3repE0EEENS1_30default_config_static_selectorELNS0_4arch9wavefront6targetE1EEEvSQ_
	.globl	_ZN7rocprim17ROCPRIM_400000_NS6detail17trampoline_kernelINS0_14default_configENS1_27upper_bound_config_selectorIjjEEZNS1_14transform_implILb0ES3_S5_N6thrust23THRUST_200600_302600_NS17counting_iteratorIjNS8_11use_defaultESA_SA_EENS8_6detail15normal_iteratorINS8_10device_ptrIjEEEEZNS1_13binary_searchIS3_S5_SG_SB_SG_NS1_21upper_bound_search_opENSC_16wrapped_functionINS0_4lessIvEEbEEEE10hipError_tPvRmT1_T2_T3_mmT4_T5_P12ihipStream_tbEUlRKjE_EESN_SR_SS_mST_SW_bEUlT_E_NS1_11comp_targetILNS1_3genE4ELNS1_11target_archE910ELNS1_3gpuE8ELNS1_3repE0EEENS1_30default_config_static_selectorELNS0_4arch9wavefront6targetE1EEEvSQ_
	.p2align	8
	.type	_ZN7rocprim17ROCPRIM_400000_NS6detail17trampoline_kernelINS0_14default_configENS1_27upper_bound_config_selectorIjjEEZNS1_14transform_implILb0ES3_S5_N6thrust23THRUST_200600_302600_NS17counting_iteratorIjNS8_11use_defaultESA_SA_EENS8_6detail15normal_iteratorINS8_10device_ptrIjEEEEZNS1_13binary_searchIS3_S5_SG_SB_SG_NS1_21upper_bound_search_opENSC_16wrapped_functionINS0_4lessIvEEbEEEE10hipError_tPvRmT1_T2_T3_mmT4_T5_P12ihipStream_tbEUlRKjE_EESN_SR_SS_mST_SW_bEUlT_E_NS1_11comp_targetILNS1_3genE4ELNS1_11target_archE910ELNS1_3gpuE8ELNS1_3repE0EEENS1_30default_config_static_selectorELNS0_4arch9wavefront6targetE1EEEvSQ_,@function
_ZN7rocprim17ROCPRIM_400000_NS6detail17trampoline_kernelINS0_14default_configENS1_27upper_bound_config_selectorIjjEEZNS1_14transform_implILb0ES3_S5_N6thrust23THRUST_200600_302600_NS17counting_iteratorIjNS8_11use_defaultESA_SA_EENS8_6detail15normal_iteratorINS8_10device_ptrIjEEEEZNS1_13binary_searchIS3_S5_SG_SB_SG_NS1_21upper_bound_search_opENSC_16wrapped_functionINS0_4lessIvEEbEEEE10hipError_tPvRmT1_T2_T3_mmT4_T5_P12ihipStream_tbEUlRKjE_EESN_SR_SS_mST_SW_bEUlT_E_NS1_11comp_targetILNS1_3genE4ELNS1_11target_archE910ELNS1_3gpuE8ELNS1_3repE0EEENS1_30default_config_static_selectorELNS0_4arch9wavefront6targetE1EEEvSQ_: ; @_ZN7rocprim17ROCPRIM_400000_NS6detail17trampoline_kernelINS0_14default_configENS1_27upper_bound_config_selectorIjjEEZNS1_14transform_implILb0ES3_S5_N6thrust23THRUST_200600_302600_NS17counting_iteratorIjNS8_11use_defaultESA_SA_EENS8_6detail15normal_iteratorINS8_10device_ptrIjEEEEZNS1_13binary_searchIS3_S5_SG_SB_SG_NS1_21upper_bound_search_opENSC_16wrapped_functionINS0_4lessIvEEbEEEE10hipError_tPvRmT1_T2_T3_mmT4_T5_P12ihipStream_tbEUlRKjE_EESN_SR_SS_mST_SW_bEUlT_E_NS1_11comp_targetILNS1_3genE4ELNS1_11target_archE910ELNS1_3gpuE8ELNS1_3repE0EEENS1_30default_config_static_selectorELNS0_4arch9wavefront6targetE1EEEvSQ_
; %bb.0:
	s_load_dword s16, s[4:5], 0x0
	s_load_dwordx2 s[8:9], s[4:5], 0x8
	s_load_dword s7, s[4:5], 0x38
	s_load_dwordx4 s[0:3], s[4:5], 0x18
	s_load_dwordx2 s[12:13], s[4:5], 0x28
	s_lshl_b32 s10, s6, 8
	s_waitcnt lgkmcnt(0)
	s_add_i32 s16, s16, s8
	s_add_i32 s7, s7, -1
	s_cmp_lg_u32 s6, s7
	s_mov_b32 s11, 0
	s_cbranch_scc0 .LBB241_5
; %bb.1:
	s_cmp_eq_u64 s[12:13], 0
	s_mov_b64 s[14:15], 0
	s_cbranch_scc1 .LBB241_6
; %bb.2:
	s_add_i32 s6, s16, s10
	v_add_u32_e32 v1, s6, v0
	s_mov_b64 s[6:7], 0
	v_pk_mov_b32 v[2:3], 0, 0
	v_pk_mov_b32 v[4:5], s[12:13], s[12:13] op_sel:[0,1]
	v_mov_b32_e32 v6, s3
.LBB241_3:                              ; =>This Inner Loop Header: Depth=1
	v_sub_co_u32_e32 v8, vcc, v4, v2
	v_subb_co_u32_e32 v9, vcc, v5, v3, vcc
	v_lshrrev_b64 v[10:11], 1, v[8:9]
	v_add_co_u32_e32 v7, vcc, v10, v2
	v_lshrrev_b64 v[8:9], 6, v[8:9]
	v_addc_co_u32_e32 v10, vcc, v11, v3, vcc
	v_add_co_u32_e32 v8, vcc, v7, v8
	v_addc_co_u32_e32 v9, vcc, v10, v9, vcc
	v_lshlrev_b64 v[10:11], 2, v[8:9]
	v_add_co_u32_e32 v10, vcc, s2, v10
	v_addc_co_u32_e32 v11, vcc, v6, v11, vcc
	global_load_dword v7, v[10:11], off
	v_add_co_u32_e32 v10, vcc, 1, v8
	v_addc_co_u32_e32 v11, vcc, 0, v9, vcc
	s_waitcnt vmcnt(0)
	v_cmp_gt_u32_e32 vcc, v7, v1
	v_cndmask_b32_e32 v5, v5, v9, vcc
	v_cndmask_b32_e32 v4, v4, v8, vcc
	;; [unrolled: 1-line block ×4, first 2 shown]
	v_cmp_ge_u64_e32 vcc, v[2:3], v[4:5]
	s_or_b64 s[6:7], vcc, s[6:7]
	s_andn2_b64 exec, exec, s[6:7]
	s_cbranch_execnz .LBB241_3
; %bb.4:
	s_or_b64 exec, exec, s[6:7]
	s_mov_b64 s[6:7], -1
	s_andn2_b64 vcc, exec, s[14:15]
	s_cbranch_vccz .LBB241_7
	s_branch .LBB241_14
.LBB241_5:
	s_mov_b64 s[6:7], 0
                                        ; implicit-def: $vgpr2
	s_branch .LBB241_7
.LBB241_6:
	v_mov_b32_e32 v2, 0
	s_mov_b64 s[6:7], -1
	s_andn2_b64 vcc, exec, s[14:15]
	s_cbranch_vccnz .LBB241_14
.LBB241_7:
	s_load_dword s4, s[4:5], 0x10
                                        ; implicit-def: $vgpr2
	s_waitcnt lgkmcnt(0)
	s_sub_i32 s4, s4, s10
	v_cmp_gt_u32_e64 s[6:7], s4, v0
	s_and_saveexec_b64 s[4:5], s[6:7]
	s_cbranch_execz .LBB241_13
; %bb.8:
	s_cmp_eq_u64 s[12:13], 0
	s_mov_b64 s[14:15], 0
	s_cbranch_scc1 .LBB241_12
; %bb.9:
	s_add_i32 s16, s16, s10
	v_add_u32_e32 v1, s16, v0
	v_pk_mov_b32 v[2:3], 0, 0
	v_pk_mov_b32 v[4:5], s[12:13], s[12:13] op_sel:[0,1]
	v_mov_b32_e32 v6, s3
.LBB241_10:                             ; =>This Inner Loop Header: Depth=1
	v_sub_co_u32_e32 v8, vcc, v4, v2
	v_subb_co_u32_e32 v9, vcc, v5, v3, vcc
	v_lshrrev_b64 v[10:11], 1, v[8:9]
	v_add_co_u32_e32 v7, vcc, v10, v2
	v_lshrrev_b64 v[8:9], 6, v[8:9]
	v_addc_co_u32_e32 v10, vcc, v11, v3, vcc
	v_add_co_u32_e32 v8, vcc, v7, v8
	v_addc_co_u32_e32 v9, vcc, v10, v9, vcc
	v_lshlrev_b64 v[10:11], 2, v[8:9]
	v_add_co_u32_e32 v10, vcc, s2, v10
	v_addc_co_u32_e32 v11, vcc, v6, v11, vcc
	global_load_dword v7, v[10:11], off
	v_add_co_u32_e32 v10, vcc, 1, v8
	v_addc_co_u32_e32 v11, vcc, 0, v9, vcc
	s_waitcnt vmcnt(0)
	v_cmp_gt_u32_e32 vcc, v7, v1
	v_cndmask_b32_e32 v5, v5, v9, vcc
	v_cndmask_b32_e32 v4, v4, v8, vcc
	;; [unrolled: 1-line block ×4, first 2 shown]
	v_cmp_ge_u64_e32 vcc, v[2:3], v[4:5]
	s_or_b64 s[14:15], vcc, s[14:15]
	s_andn2_b64 exec, exec, s[14:15]
	s_cbranch_execnz .LBB241_10
; %bb.11:
	s_or_b64 exec, exec, s[14:15]
	s_branch .LBB241_13
.LBB241_12:
	v_mov_b32_e32 v2, 0
.LBB241_13:
	s_or_b64 exec, exec, s[4:5]
.LBB241_14:
	s_and_saveexec_b64 s[2:3], s[6:7]
	s_cbranch_execnz .LBB241_16
; %bb.15:
	s_endpgm
.LBB241_16:
	s_lshl_b64 s[2:3], s[8:9], 2
	s_add_u32 s2, s0, s2
	s_addc_u32 s3, s1, s3
	s_lshl_b64 s[0:1], s[10:11], 2
	s_add_u32 s0, s2, s0
	s_addc_u32 s1, s3, s1
	v_lshlrev_b32_e32 v0, 2, v0
	v_mov_b32_e32 v1, s1
	v_add_co_u32_e32 v0, vcc, s0, v0
	v_addc_co_u32_e32 v1, vcc, 0, v1, vcc
	flat_store_dword v[0:1], v2
	s_endpgm
	.section	.rodata,"a",@progbits
	.p2align	6, 0x0
	.amdhsa_kernel _ZN7rocprim17ROCPRIM_400000_NS6detail17trampoline_kernelINS0_14default_configENS1_27upper_bound_config_selectorIjjEEZNS1_14transform_implILb0ES3_S5_N6thrust23THRUST_200600_302600_NS17counting_iteratorIjNS8_11use_defaultESA_SA_EENS8_6detail15normal_iteratorINS8_10device_ptrIjEEEEZNS1_13binary_searchIS3_S5_SG_SB_SG_NS1_21upper_bound_search_opENSC_16wrapped_functionINS0_4lessIvEEbEEEE10hipError_tPvRmT1_T2_T3_mmT4_T5_P12ihipStream_tbEUlRKjE_EESN_SR_SS_mST_SW_bEUlT_E_NS1_11comp_targetILNS1_3genE4ELNS1_11target_archE910ELNS1_3gpuE8ELNS1_3repE0EEENS1_30default_config_static_selectorELNS0_4arch9wavefront6targetE1EEEvSQ_
		.amdhsa_group_segment_fixed_size 0
		.amdhsa_private_segment_fixed_size 0
		.amdhsa_kernarg_size 312
		.amdhsa_user_sgpr_count 6
		.amdhsa_user_sgpr_private_segment_buffer 1
		.amdhsa_user_sgpr_dispatch_ptr 0
		.amdhsa_user_sgpr_queue_ptr 0
		.amdhsa_user_sgpr_kernarg_segment_ptr 1
		.amdhsa_user_sgpr_dispatch_id 0
		.amdhsa_user_sgpr_flat_scratch_init 0
		.amdhsa_user_sgpr_kernarg_preload_length 0
		.amdhsa_user_sgpr_kernarg_preload_offset 0
		.amdhsa_user_sgpr_private_segment_size 0
		.amdhsa_uses_dynamic_stack 0
		.amdhsa_system_sgpr_private_segment_wavefront_offset 0
		.amdhsa_system_sgpr_workgroup_id_x 1
		.amdhsa_system_sgpr_workgroup_id_y 0
		.amdhsa_system_sgpr_workgroup_id_z 0
		.amdhsa_system_sgpr_workgroup_info 0
		.amdhsa_system_vgpr_workitem_id 0
		.amdhsa_next_free_vgpr 12
		.amdhsa_next_free_sgpr 17
		.amdhsa_accum_offset 12
		.amdhsa_reserve_vcc 1
		.amdhsa_reserve_flat_scratch 0
		.amdhsa_float_round_mode_32 0
		.amdhsa_float_round_mode_16_64 0
		.amdhsa_float_denorm_mode_32 3
		.amdhsa_float_denorm_mode_16_64 3
		.amdhsa_dx10_clamp 1
		.amdhsa_ieee_mode 1
		.amdhsa_fp16_overflow 0
		.amdhsa_tg_split 0
		.amdhsa_exception_fp_ieee_invalid_op 0
		.amdhsa_exception_fp_denorm_src 0
		.amdhsa_exception_fp_ieee_div_zero 0
		.amdhsa_exception_fp_ieee_overflow 0
		.amdhsa_exception_fp_ieee_underflow 0
		.amdhsa_exception_fp_ieee_inexact 0
		.amdhsa_exception_int_div_zero 0
	.end_amdhsa_kernel
	.section	.text._ZN7rocprim17ROCPRIM_400000_NS6detail17trampoline_kernelINS0_14default_configENS1_27upper_bound_config_selectorIjjEEZNS1_14transform_implILb0ES3_S5_N6thrust23THRUST_200600_302600_NS17counting_iteratorIjNS8_11use_defaultESA_SA_EENS8_6detail15normal_iteratorINS8_10device_ptrIjEEEEZNS1_13binary_searchIS3_S5_SG_SB_SG_NS1_21upper_bound_search_opENSC_16wrapped_functionINS0_4lessIvEEbEEEE10hipError_tPvRmT1_T2_T3_mmT4_T5_P12ihipStream_tbEUlRKjE_EESN_SR_SS_mST_SW_bEUlT_E_NS1_11comp_targetILNS1_3genE4ELNS1_11target_archE910ELNS1_3gpuE8ELNS1_3repE0EEENS1_30default_config_static_selectorELNS0_4arch9wavefront6targetE1EEEvSQ_,"axG",@progbits,_ZN7rocprim17ROCPRIM_400000_NS6detail17trampoline_kernelINS0_14default_configENS1_27upper_bound_config_selectorIjjEEZNS1_14transform_implILb0ES3_S5_N6thrust23THRUST_200600_302600_NS17counting_iteratorIjNS8_11use_defaultESA_SA_EENS8_6detail15normal_iteratorINS8_10device_ptrIjEEEEZNS1_13binary_searchIS3_S5_SG_SB_SG_NS1_21upper_bound_search_opENSC_16wrapped_functionINS0_4lessIvEEbEEEE10hipError_tPvRmT1_T2_T3_mmT4_T5_P12ihipStream_tbEUlRKjE_EESN_SR_SS_mST_SW_bEUlT_E_NS1_11comp_targetILNS1_3genE4ELNS1_11target_archE910ELNS1_3gpuE8ELNS1_3repE0EEENS1_30default_config_static_selectorELNS0_4arch9wavefront6targetE1EEEvSQ_,comdat
.Lfunc_end241:
	.size	_ZN7rocprim17ROCPRIM_400000_NS6detail17trampoline_kernelINS0_14default_configENS1_27upper_bound_config_selectorIjjEEZNS1_14transform_implILb0ES3_S5_N6thrust23THRUST_200600_302600_NS17counting_iteratorIjNS8_11use_defaultESA_SA_EENS8_6detail15normal_iteratorINS8_10device_ptrIjEEEEZNS1_13binary_searchIS3_S5_SG_SB_SG_NS1_21upper_bound_search_opENSC_16wrapped_functionINS0_4lessIvEEbEEEE10hipError_tPvRmT1_T2_T3_mmT4_T5_P12ihipStream_tbEUlRKjE_EESN_SR_SS_mST_SW_bEUlT_E_NS1_11comp_targetILNS1_3genE4ELNS1_11target_archE910ELNS1_3gpuE8ELNS1_3repE0EEENS1_30default_config_static_selectorELNS0_4arch9wavefront6targetE1EEEvSQ_, .Lfunc_end241-_ZN7rocprim17ROCPRIM_400000_NS6detail17trampoline_kernelINS0_14default_configENS1_27upper_bound_config_selectorIjjEEZNS1_14transform_implILb0ES3_S5_N6thrust23THRUST_200600_302600_NS17counting_iteratorIjNS8_11use_defaultESA_SA_EENS8_6detail15normal_iteratorINS8_10device_ptrIjEEEEZNS1_13binary_searchIS3_S5_SG_SB_SG_NS1_21upper_bound_search_opENSC_16wrapped_functionINS0_4lessIvEEbEEEE10hipError_tPvRmT1_T2_T3_mmT4_T5_P12ihipStream_tbEUlRKjE_EESN_SR_SS_mST_SW_bEUlT_E_NS1_11comp_targetILNS1_3genE4ELNS1_11target_archE910ELNS1_3gpuE8ELNS1_3repE0EEENS1_30default_config_static_selectorELNS0_4arch9wavefront6targetE1EEEvSQ_
                                        ; -- End function
	.section	.AMDGPU.csdata,"",@progbits
; Kernel info:
; codeLenInByte = 532
; NumSgprs: 21
; NumVgprs: 12
; NumAgprs: 0
; TotalNumVgprs: 12
; ScratchSize: 0
; MemoryBound: 0
; FloatMode: 240
; IeeeMode: 1
; LDSByteSize: 0 bytes/workgroup (compile time only)
; SGPRBlocks: 2
; VGPRBlocks: 1
; NumSGPRsForWavesPerEU: 21
; NumVGPRsForWavesPerEU: 12
; AccumOffset: 12
; Occupancy: 8
; WaveLimiterHint : 0
; COMPUTE_PGM_RSRC2:SCRATCH_EN: 0
; COMPUTE_PGM_RSRC2:USER_SGPR: 6
; COMPUTE_PGM_RSRC2:TRAP_HANDLER: 0
; COMPUTE_PGM_RSRC2:TGID_X_EN: 1
; COMPUTE_PGM_RSRC2:TGID_Y_EN: 0
; COMPUTE_PGM_RSRC2:TGID_Z_EN: 0
; COMPUTE_PGM_RSRC2:TIDIG_COMP_CNT: 0
; COMPUTE_PGM_RSRC3_GFX90A:ACCUM_OFFSET: 2
; COMPUTE_PGM_RSRC3_GFX90A:TG_SPLIT: 0
	.section	.text._ZN7rocprim17ROCPRIM_400000_NS6detail17trampoline_kernelINS0_14default_configENS1_27upper_bound_config_selectorIjjEEZNS1_14transform_implILb0ES3_S5_N6thrust23THRUST_200600_302600_NS17counting_iteratorIjNS8_11use_defaultESA_SA_EENS8_6detail15normal_iteratorINS8_10device_ptrIjEEEEZNS1_13binary_searchIS3_S5_SG_SB_SG_NS1_21upper_bound_search_opENSC_16wrapped_functionINS0_4lessIvEEbEEEE10hipError_tPvRmT1_T2_T3_mmT4_T5_P12ihipStream_tbEUlRKjE_EESN_SR_SS_mST_SW_bEUlT_E_NS1_11comp_targetILNS1_3genE3ELNS1_11target_archE908ELNS1_3gpuE7ELNS1_3repE0EEENS1_30default_config_static_selectorELNS0_4arch9wavefront6targetE1EEEvSQ_,"axG",@progbits,_ZN7rocprim17ROCPRIM_400000_NS6detail17trampoline_kernelINS0_14default_configENS1_27upper_bound_config_selectorIjjEEZNS1_14transform_implILb0ES3_S5_N6thrust23THRUST_200600_302600_NS17counting_iteratorIjNS8_11use_defaultESA_SA_EENS8_6detail15normal_iteratorINS8_10device_ptrIjEEEEZNS1_13binary_searchIS3_S5_SG_SB_SG_NS1_21upper_bound_search_opENSC_16wrapped_functionINS0_4lessIvEEbEEEE10hipError_tPvRmT1_T2_T3_mmT4_T5_P12ihipStream_tbEUlRKjE_EESN_SR_SS_mST_SW_bEUlT_E_NS1_11comp_targetILNS1_3genE3ELNS1_11target_archE908ELNS1_3gpuE7ELNS1_3repE0EEENS1_30default_config_static_selectorELNS0_4arch9wavefront6targetE1EEEvSQ_,comdat
	.protected	_ZN7rocprim17ROCPRIM_400000_NS6detail17trampoline_kernelINS0_14default_configENS1_27upper_bound_config_selectorIjjEEZNS1_14transform_implILb0ES3_S5_N6thrust23THRUST_200600_302600_NS17counting_iteratorIjNS8_11use_defaultESA_SA_EENS8_6detail15normal_iteratorINS8_10device_ptrIjEEEEZNS1_13binary_searchIS3_S5_SG_SB_SG_NS1_21upper_bound_search_opENSC_16wrapped_functionINS0_4lessIvEEbEEEE10hipError_tPvRmT1_T2_T3_mmT4_T5_P12ihipStream_tbEUlRKjE_EESN_SR_SS_mST_SW_bEUlT_E_NS1_11comp_targetILNS1_3genE3ELNS1_11target_archE908ELNS1_3gpuE7ELNS1_3repE0EEENS1_30default_config_static_selectorELNS0_4arch9wavefront6targetE1EEEvSQ_ ; -- Begin function _ZN7rocprim17ROCPRIM_400000_NS6detail17trampoline_kernelINS0_14default_configENS1_27upper_bound_config_selectorIjjEEZNS1_14transform_implILb0ES3_S5_N6thrust23THRUST_200600_302600_NS17counting_iteratorIjNS8_11use_defaultESA_SA_EENS8_6detail15normal_iteratorINS8_10device_ptrIjEEEEZNS1_13binary_searchIS3_S5_SG_SB_SG_NS1_21upper_bound_search_opENSC_16wrapped_functionINS0_4lessIvEEbEEEE10hipError_tPvRmT1_T2_T3_mmT4_T5_P12ihipStream_tbEUlRKjE_EESN_SR_SS_mST_SW_bEUlT_E_NS1_11comp_targetILNS1_3genE3ELNS1_11target_archE908ELNS1_3gpuE7ELNS1_3repE0EEENS1_30default_config_static_selectorELNS0_4arch9wavefront6targetE1EEEvSQ_
	.globl	_ZN7rocprim17ROCPRIM_400000_NS6detail17trampoline_kernelINS0_14default_configENS1_27upper_bound_config_selectorIjjEEZNS1_14transform_implILb0ES3_S5_N6thrust23THRUST_200600_302600_NS17counting_iteratorIjNS8_11use_defaultESA_SA_EENS8_6detail15normal_iteratorINS8_10device_ptrIjEEEEZNS1_13binary_searchIS3_S5_SG_SB_SG_NS1_21upper_bound_search_opENSC_16wrapped_functionINS0_4lessIvEEbEEEE10hipError_tPvRmT1_T2_T3_mmT4_T5_P12ihipStream_tbEUlRKjE_EESN_SR_SS_mST_SW_bEUlT_E_NS1_11comp_targetILNS1_3genE3ELNS1_11target_archE908ELNS1_3gpuE7ELNS1_3repE0EEENS1_30default_config_static_selectorELNS0_4arch9wavefront6targetE1EEEvSQ_
	.p2align	8
	.type	_ZN7rocprim17ROCPRIM_400000_NS6detail17trampoline_kernelINS0_14default_configENS1_27upper_bound_config_selectorIjjEEZNS1_14transform_implILb0ES3_S5_N6thrust23THRUST_200600_302600_NS17counting_iteratorIjNS8_11use_defaultESA_SA_EENS8_6detail15normal_iteratorINS8_10device_ptrIjEEEEZNS1_13binary_searchIS3_S5_SG_SB_SG_NS1_21upper_bound_search_opENSC_16wrapped_functionINS0_4lessIvEEbEEEE10hipError_tPvRmT1_T2_T3_mmT4_T5_P12ihipStream_tbEUlRKjE_EESN_SR_SS_mST_SW_bEUlT_E_NS1_11comp_targetILNS1_3genE3ELNS1_11target_archE908ELNS1_3gpuE7ELNS1_3repE0EEENS1_30default_config_static_selectorELNS0_4arch9wavefront6targetE1EEEvSQ_,@function
_ZN7rocprim17ROCPRIM_400000_NS6detail17trampoline_kernelINS0_14default_configENS1_27upper_bound_config_selectorIjjEEZNS1_14transform_implILb0ES3_S5_N6thrust23THRUST_200600_302600_NS17counting_iteratorIjNS8_11use_defaultESA_SA_EENS8_6detail15normal_iteratorINS8_10device_ptrIjEEEEZNS1_13binary_searchIS3_S5_SG_SB_SG_NS1_21upper_bound_search_opENSC_16wrapped_functionINS0_4lessIvEEbEEEE10hipError_tPvRmT1_T2_T3_mmT4_T5_P12ihipStream_tbEUlRKjE_EESN_SR_SS_mST_SW_bEUlT_E_NS1_11comp_targetILNS1_3genE3ELNS1_11target_archE908ELNS1_3gpuE7ELNS1_3repE0EEENS1_30default_config_static_selectorELNS0_4arch9wavefront6targetE1EEEvSQ_: ; @_ZN7rocprim17ROCPRIM_400000_NS6detail17trampoline_kernelINS0_14default_configENS1_27upper_bound_config_selectorIjjEEZNS1_14transform_implILb0ES3_S5_N6thrust23THRUST_200600_302600_NS17counting_iteratorIjNS8_11use_defaultESA_SA_EENS8_6detail15normal_iteratorINS8_10device_ptrIjEEEEZNS1_13binary_searchIS3_S5_SG_SB_SG_NS1_21upper_bound_search_opENSC_16wrapped_functionINS0_4lessIvEEbEEEE10hipError_tPvRmT1_T2_T3_mmT4_T5_P12ihipStream_tbEUlRKjE_EESN_SR_SS_mST_SW_bEUlT_E_NS1_11comp_targetILNS1_3genE3ELNS1_11target_archE908ELNS1_3gpuE7ELNS1_3repE0EEENS1_30default_config_static_selectorELNS0_4arch9wavefront6targetE1EEEvSQ_
; %bb.0:
	.section	.rodata,"a",@progbits
	.p2align	6, 0x0
	.amdhsa_kernel _ZN7rocprim17ROCPRIM_400000_NS6detail17trampoline_kernelINS0_14default_configENS1_27upper_bound_config_selectorIjjEEZNS1_14transform_implILb0ES3_S5_N6thrust23THRUST_200600_302600_NS17counting_iteratorIjNS8_11use_defaultESA_SA_EENS8_6detail15normal_iteratorINS8_10device_ptrIjEEEEZNS1_13binary_searchIS3_S5_SG_SB_SG_NS1_21upper_bound_search_opENSC_16wrapped_functionINS0_4lessIvEEbEEEE10hipError_tPvRmT1_T2_T3_mmT4_T5_P12ihipStream_tbEUlRKjE_EESN_SR_SS_mST_SW_bEUlT_E_NS1_11comp_targetILNS1_3genE3ELNS1_11target_archE908ELNS1_3gpuE7ELNS1_3repE0EEENS1_30default_config_static_selectorELNS0_4arch9wavefront6targetE1EEEvSQ_
		.amdhsa_group_segment_fixed_size 0
		.amdhsa_private_segment_fixed_size 0
		.amdhsa_kernarg_size 56
		.amdhsa_user_sgpr_count 6
		.amdhsa_user_sgpr_private_segment_buffer 1
		.amdhsa_user_sgpr_dispatch_ptr 0
		.amdhsa_user_sgpr_queue_ptr 0
		.amdhsa_user_sgpr_kernarg_segment_ptr 1
		.amdhsa_user_sgpr_dispatch_id 0
		.amdhsa_user_sgpr_flat_scratch_init 0
		.amdhsa_user_sgpr_kernarg_preload_length 0
		.amdhsa_user_sgpr_kernarg_preload_offset 0
		.amdhsa_user_sgpr_private_segment_size 0
		.amdhsa_uses_dynamic_stack 0
		.amdhsa_system_sgpr_private_segment_wavefront_offset 0
		.amdhsa_system_sgpr_workgroup_id_x 1
		.amdhsa_system_sgpr_workgroup_id_y 0
		.amdhsa_system_sgpr_workgroup_id_z 0
		.amdhsa_system_sgpr_workgroup_info 0
		.amdhsa_system_vgpr_workitem_id 0
		.amdhsa_next_free_vgpr 1
		.amdhsa_next_free_sgpr 0
		.amdhsa_accum_offset 4
		.amdhsa_reserve_vcc 0
		.amdhsa_reserve_flat_scratch 0
		.amdhsa_float_round_mode_32 0
		.amdhsa_float_round_mode_16_64 0
		.amdhsa_float_denorm_mode_32 3
		.amdhsa_float_denorm_mode_16_64 3
		.amdhsa_dx10_clamp 1
		.amdhsa_ieee_mode 1
		.amdhsa_fp16_overflow 0
		.amdhsa_tg_split 0
		.amdhsa_exception_fp_ieee_invalid_op 0
		.amdhsa_exception_fp_denorm_src 0
		.amdhsa_exception_fp_ieee_div_zero 0
		.amdhsa_exception_fp_ieee_overflow 0
		.amdhsa_exception_fp_ieee_underflow 0
		.amdhsa_exception_fp_ieee_inexact 0
		.amdhsa_exception_int_div_zero 0
	.end_amdhsa_kernel
	.section	.text._ZN7rocprim17ROCPRIM_400000_NS6detail17trampoline_kernelINS0_14default_configENS1_27upper_bound_config_selectorIjjEEZNS1_14transform_implILb0ES3_S5_N6thrust23THRUST_200600_302600_NS17counting_iteratorIjNS8_11use_defaultESA_SA_EENS8_6detail15normal_iteratorINS8_10device_ptrIjEEEEZNS1_13binary_searchIS3_S5_SG_SB_SG_NS1_21upper_bound_search_opENSC_16wrapped_functionINS0_4lessIvEEbEEEE10hipError_tPvRmT1_T2_T3_mmT4_T5_P12ihipStream_tbEUlRKjE_EESN_SR_SS_mST_SW_bEUlT_E_NS1_11comp_targetILNS1_3genE3ELNS1_11target_archE908ELNS1_3gpuE7ELNS1_3repE0EEENS1_30default_config_static_selectorELNS0_4arch9wavefront6targetE1EEEvSQ_,"axG",@progbits,_ZN7rocprim17ROCPRIM_400000_NS6detail17trampoline_kernelINS0_14default_configENS1_27upper_bound_config_selectorIjjEEZNS1_14transform_implILb0ES3_S5_N6thrust23THRUST_200600_302600_NS17counting_iteratorIjNS8_11use_defaultESA_SA_EENS8_6detail15normal_iteratorINS8_10device_ptrIjEEEEZNS1_13binary_searchIS3_S5_SG_SB_SG_NS1_21upper_bound_search_opENSC_16wrapped_functionINS0_4lessIvEEbEEEE10hipError_tPvRmT1_T2_T3_mmT4_T5_P12ihipStream_tbEUlRKjE_EESN_SR_SS_mST_SW_bEUlT_E_NS1_11comp_targetILNS1_3genE3ELNS1_11target_archE908ELNS1_3gpuE7ELNS1_3repE0EEENS1_30default_config_static_selectorELNS0_4arch9wavefront6targetE1EEEvSQ_,comdat
.Lfunc_end242:
	.size	_ZN7rocprim17ROCPRIM_400000_NS6detail17trampoline_kernelINS0_14default_configENS1_27upper_bound_config_selectorIjjEEZNS1_14transform_implILb0ES3_S5_N6thrust23THRUST_200600_302600_NS17counting_iteratorIjNS8_11use_defaultESA_SA_EENS8_6detail15normal_iteratorINS8_10device_ptrIjEEEEZNS1_13binary_searchIS3_S5_SG_SB_SG_NS1_21upper_bound_search_opENSC_16wrapped_functionINS0_4lessIvEEbEEEE10hipError_tPvRmT1_T2_T3_mmT4_T5_P12ihipStream_tbEUlRKjE_EESN_SR_SS_mST_SW_bEUlT_E_NS1_11comp_targetILNS1_3genE3ELNS1_11target_archE908ELNS1_3gpuE7ELNS1_3repE0EEENS1_30default_config_static_selectorELNS0_4arch9wavefront6targetE1EEEvSQ_, .Lfunc_end242-_ZN7rocprim17ROCPRIM_400000_NS6detail17trampoline_kernelINS0_14default_configENS1_27upper_bound_config_selectorIjjEEZNS1_14transform_implILb0ES3_S5_N6thrust23THRUST_200600_302600_NS17counting_iteratorIjNS8_11use_defaultESA_SA_EENS8_6detail15normal_iteratorINS8_10device_ptrIjEEEEZNS1_13binary_searchIS3_S5_SG_SB_SG_NS1_21upper_bound_search_opENSC_16wrapped_functionINS0_4lessIvEEbEEEE10hipError_tPvRmT1_T2_T3_mmT4_T5_P12ihipStream_tbEUlRKjE_EESN_SR_SS_mST_SW_bEUlT_E_NS1_11comp_targetILNS1_3genE3ELNS1_11target_archE908ELNS1_3gpuE7ELNS1_3repE0EEENS1_30default_config_static_selectorELNS0_4arch9wavefront6targetE1EEEvSQ_
                                        ; -- End function
	.section	.AMDGPU.csdata,"",@progbits
; Kernel info:
; codeLenInByte = 0
; NumSgprs: 4
; NumVgprs: 0
; NumAgprs: 0
; TotalNumVgprs: 0
; ScratchSize: 0
; MemoryBound: 0
; FloatMode: 240
; IeeeMode: 1
; LDSByteSize: 0 bytes/workgroup (compile time only)
; SGPRBlocks: 0
; VGPRBlocks: 0
; NumSGPRsForWavesPerEU: 4
; NumVGPRsForWavesPerEU: 1
; AccumOffset: 4
; Occupancy: 8
; WaveLimiterHint : 0
; COMPUTE_PGM_RSRC2:SCRATCH_EN: 0
; COMPUTE_PGM_RSRC2:USER_SGPR: 6
; COMPUTE_PGM_RSRC2:TRAP_HANDLER: 0
; COMPUTE_PGM_RSRC2:TGID_X_EN: 1
; COMPUTE_PGM_RSRC2:TGID_Y_EN: 0
; COMPUTE_PGM_RSRC2:TGID_Z_EN: 0
; COMPUTE_PGM_RSRC2:TIDIG_COMP_CNT: 0
; COMPUTE_PGM_RSRC3_GFX90A:ACCUM_OFFSET: 0
; COMPUTE_PGM_RSRC3_GFX90A:TG_SPLIT: 0
	.section	.text._ZN7rocprim17ROCPRIM_400000_NS6detail17trampoline_kernelINS0_14default_configENS1_27upper_bound_config_selectorIjjEEZNS1_14transform_implILb0ES3_S5_N6thrust23THRUST_200600_302600_NS17counting_iteratorIjNS8_11use_defaultESA_SA_EENS8_6detail15normal_iteratorINS8_10device_ptrIjEEEEZNS1_13binary_searchIS3_S5_SG_SB_SG_NS1_21upper_bound_search_opENSC_16wrapped_functionINS0_4lessIvEEbEEEE10hipError_tPvRmT1_T2_T3_mmT4_T5_P12ihipStream_tbEUlRKjE_EESN_SR_SS_mST_SW_bEUlT_E_NS1_11comp_targetILNS1_3genE2ELNS1_11target_archE906ELNS1_3gpuE6ELNS1_3repE0EEENS1_30default_config_static_selectorELNS0_4arch9wavefront6targetE1EEEvSQ_,"axG",@progbits,_ZN7rocprim17ROCPRIM_400000_NS6detail17trampoline_kernelINS0_14default_configENS1_27upper_bound_config_selectorIjjEEZNS1_14transform_implILb0ES3_S5_N6thrust23THRUST_200600_302600_NS17counting_iteratorIjNS8_11use_defaultESA_SA_EENS8_6detail15normal_iteratorINS8_10device_ptrIjEEEEZNS1_13binary_searchIS3_S5_SG_SB_SG_NS1_21upper_bound_search_opENSC_16wrapped_functionINS0_4lessIvEEbEEEE10hipError_tPvRmT1_T2_T3_mmT4_T5_P12ihipStream_tbEUlRKjE_EESN_SR_SS_mST_SW_bEUlT_E_NS1_11comp_targetILNS1_3genE2ELNS1_11target_archE906ELNS1_3gpuE6ELNS1_3repE0EEENS1_30default_config_static_selectorELNS0_4arch9wavefront6targetE1EEEvSQ_,comdat
	.protected	_ZN7rocprim17ROCPRIM_400000_NS6detail17trampoline_kernelINS0_14default_configENS1_27upper_bound_config_selectorIjjEEZNS1_14transform_implILb0ES3_S5_N6thrust23THRUST_200600_302600_NS17counting_iteratorIjNS8_11use_defaultESA_SA_EENS8_6detail15normal_iteratorINS8_10device_ptrIjEEEEZNS1_13binary_searchIS3_S5_SG_SB_SG_NS1_21upper_bound_search_opENSC_16wrapped_functionINS0_4lessIvEEbEEEE10hipError_tPvRmT1_T2_T3_mmT4_T5_P12ihipStream_tbEUlRKjE_EESN_SR_SS_mST_SW_bEUlT_E_NS1_11comp_targetILNS1_3genE2ELNS1_11target_archE906ELNS1_3gpuE6ELNS1_3repE0EEENS1_30default_config_static_selectorELNS0_4arch9wavefront6targetE1EEEvSQ_ ; -- Begin function _ZN7rocprim17ROCPRIM_400000_NS6detail17trampoline_kernelINS0_14default_configENS1_27upper_bound_config_selectorIjjEEZNS1_14transform_implILb0ES3_S5_N6thrust23THRUST_200600_302600_NS17counting_iteratorIjNS8_11use_defaultESA_SA_EENS8_6detail15normal_iteratorINS8_10device_ptrIjEEEEZNS1_13binary_searchIS3_S5_SG_SB_SG_NS1_21upper_bound_search_opENSC_16wrapped_functionINS0_4lessIvEEbEEEE10hipError_tPvRmT1_T2_T3_mmT4_T5_P12ihipStream_tbEUlRKjE_EESN_SR_SS_mST_SW_bEUlT_E_NS1_11comp_targetILNS1_3genE2ELNS1_11target_archE906ELNS1_3gpuE6ELNS1_3repE0EEENS1_30default_config_static_selectorELNS0_4arch9wavefront6targetE1EEEvSQ_
	.globl	_ZN7rocprim17ROCPRIM_400000_NS6detail17trampoline_kernelINS0_14default_configENS1_27upper_bound_config_selectorIjjEEZNS1_14transform_implILb0ES3_S5_N6thrust23THRUST_200600_302600_NS17counting_iteratorIjNS8_11use_defaultESA_SA_EENS8_6detail15normal_iteratorINS8_10device_ptrIjEEEEZNS1_13binary_searchIS3_S5_SG_SB_SG_NS1_21upper_bound_search_opENSC_16wrapped_functionINS0_4lessIvEEbEEEE10hipError_tPvRmT1_T2_T3_mmT4_T5_P12ihipStream_tbEUlRKjE_EESN_SR_SS_mST_SW_bEUlT_E_NS1_11comp_targetILNS1_3genE2ELNS1_11target_archE906ELNS1_3gpuE6ELNS1_3repE0EEENS1_30default_config_static_selectorELNS0_4arch9wavefront6targetE1EEEvSQ_
	.p2align	8
	.type	_ZN7rocprim17ROCPRIM_400000_NS6detail17trampoline_kernelINS0_14default_configENS1_27upper_bound_config_selectorIjjEEZNS1_14transform_implILb0ES3_S5_N6thrust23THRUST_200600_302600_NS17counting_iteratorIjNS8_11use_defaultESA_SA_EENS8_6detail15normal_iteratorINS8_10device_ptrIjEEEEZNS1_13binary_searchIS3_S5_SG_SB_SG_NS1_21upper_bound_search_opENSC_16wrapped_functionINS0_4lessIvEEbEEEE10hipError_tPvRmT1_T2_T3_mmT4_T5_P12ihipStream_tbEUlRKjE_EESN_SR_SS_mST_SW_bEUlT_E_NS1_11comp_targetILNS1_3genE2ELNS1_11target_archE906ELNS1_3gpuE6ELNS1_3repE0EEENS1_30default_config_static_selectorELNS0_4arch9wavefront6targetE1EEEvSQ_,@function
_ZN7rocprim17ROCPRIM_400000_NS6detail17trampoline_kernelINS0_14default_configENS1_27upper_bound_config_selectorIjjEEZNS1_14transform_implILb0ES3_S5_N6thrust23THRUST_200600_302600_NS17counting_iteratorIjNS8_11use_defaultESA_SA_EENS8_6detail15normal_iteratorINS8_10device_ptrIjEEEEZNS1_13binary_searchIS3_S5_SG_SB_SG_NS1_21upper_bound_search_opENSC_16wrapped_functionINS0_4lessIvEEbEEEE10hipError_tPvRmT1_T2_T3_mmT4_T5_P12ihipStream_tbEUlRKjE_EESN_SR_SS_mST_SW_bEUlT_E_NS1_11comp_targetILNS1_3genE2ELNS1_11target_archE906ELNS1_3gpuE6ELNS1_3repE0EEENS1_30default_config_static_selectorELNS0_4arch9wavefront6targetE1EEEvSQ_: ; @_ZN7rocprim17ROCPRIM_400000_NS6detail17trampoline_kernelINS0_14default_configENS1_27upper_bound_config_selectorIjjEEZNS1_14transform_implILb0ES3_S5_N6thrust23THRUST_200600_302600_NS17counting_iteratorIjNS8_11use_defaultESA_SA_EENS8_6detail15normal_iteratorINS8_10device_ptrIjEEEEZNS1_13binary_searchIS3_S5_SG_SB_SG_NS1_21upper_bound_search_opENSC_16wrapped_functionINS0_4lessIvEEbEEEE10hipError_tPvRmT1_T2_T3_mmT4_T5_P12ihipStream_tbEUlRKjE_EESN_SR_SS_mST_SW_bEUlT_E_NS1_11comp_targetILNS1_3genE2ELNS1_11target_archE906ELNS1_3gpuE6ELNS1_3repE0EEENS1_30default_config_static_selectorELNS0_4arch9wavefront6targetE1EEEvSQ_
; %bb.0:
	.section	.rodata,"a",@progbits
	.p2align	6, 0x0
	.amdhsa_kernel _ZN7rocprim17ROCPRIM_400000_NS6detail17trampoline_kernelINS0_14default_configENS1_27upper_bound_config_selectorIjjEEZNS1_14transform_implILb0ES3_S5_N6thrust23THRUST_200600_302600_NS17counting_iteratorIjNS8_11use_defaultESA_SA_EENS8_6detail15normal_iteratorINS8_10device_ptrIjEEEEZNS1_13binary_searchIS3_S5_SG_SB_SG_NS1_21upper_bound_search_opENSC_16wrapped_functionINS0_4lessIvEEbEEEE10hipError_tPvRmT1_T2_T3_mmT4_T5_P12ihipStream_tbEUlRKjE_EESN_SR_SS_mST_SW_bEUlT_E_NS1_11comp_targetILNS1_3genE2ELNS1_11target_archE906ELNS1_3gpuE6ELNS1_3repE0EEENS1_30default_config_static_selectorELNS0_4arch9wavefront6targetE1EEEvSQ_
		.amdhsa_group_segment_fixed_size 0
		.amdhsa_private_segment_fixed_size 0
		.amdhsa_kernarg_size 56
		.amdhsa_user_sgpr_count 6
		.amdhsa_user_sgpr_private_segment_buffer 1
		.amdhsa_user_sgpr_dispatch_ptr 0
		.amdhsa_user_sgpr_queue_ptr 0
		.amdhsa_user_sgpr_kernarg_segment_ptr 1
		.amdhsa_user_sgpr_dispatch_id 0
		.amdhsa_user_sgpr_flat_scratch_init 0
		.amdhsa_user_sgpr_kernarg_preload_length 0
		.amdhsa_user_sgpr_kernarg_preload_offset 0
		.amdhsa_user_sgpr_private_segment_size 0
		.amdhsa_uses_dynamic_stack 0
		.amdhsa_system_sgpr_private_segment_wavefront_offset 0
		.amdhsa_system_sgpr_workgroup_id_x 1
		.amdhsa_system_sgpr_workgroup_id_y 0
		.amdhsa_system_sgpr_workgroup_id_z 0
		.amdhsa_system_sgpr_workgroup_info 0
		.amdhsa_system_vgpr_workitem_id 0
		.amdhsa_next_free_vgpr 1
		.amdhsa_next_free_sgpr 0
		.amdhsa_accum_offset 4
		.amdhsa_reserve_vcc 0
		.amdhsa_reserve_flat_scratch 0
		.amdhsa_float_round_mode_32 0
		.amdhsa_float_round_mode_16_64 0
		.amdhsa_float_denorm_mode_32 3
		.amdhsa_float_denorm_mode_16_64 3
		.amdhsa_dx10_clamp 1
		.amdhsa_ieee_mode 1
		.amdhsa_fp16_overflow 0
		.amdhsa_tg_split 0
		.amdhsa_exception_fp_ieee_invalid_op 0
		.amdhsa_exception_fp_denorm_src 0
		.amdhsa_exception_fp_ieee_div_zero 0
		.amdhsa_exception_fp_ieee_overflow 0
		.amdhsa_exception_fp_ieee_underflow 0
		.amdhsa_exception_fp_ieee_inexact 0
		.amdhsa_exception_int_div_zero 0
	.end_amdhsa_kernel
	.section	.text._ZN7rocprim17ROCPRIM_400000_NS6detail17trampoline_kernelINS0_14default_configENS1_27upper_bound_config_selectorIjjEEZNS1_14transform_implILb0ES3_S5_N6thrust23THRUST_200600_302600_NS17counting_iteratorIjNS8_11use_defaultESA_SA_EENS8_6detail15normal_iteratorINS8_10device_ptrIjEEEEZNS1_13binary_searchIS3_S5_SG_SB_SG_NS1_21upper_bound_search_opENSC_16wrapped_functionINS0_4lessIvEEbEEEE10hipError_tPvRmT1_T2_T3_mmT4_T5_P12ihipStream_tbEUlRKjE_EESN_SR_SS_mST_SW_bEUlT_E_NS1_11comp_targetILNS1_3genE2ELNS1_11target_archE906ELNS1_3gpuE6ELNS1_3repE0EEENS1_30default_config_static_selectorELNS0_4arch9wavefront6targetE1EEEvSQ_,"axG",@progbits,_ZN7rocprim17ROCPRIM_400000_NS6detail17trampoline_kernelINS0_14default_configENS1_27upper_bound_config_selectorIjjEEZNS1_14transform_implILb0ES3_S5_N6thrust23THRUST_200600_302600_NS17counting_iteratorIjNS8_11use_defaultESA_SA_EENS8_6detail15normal_iteratorINS8_10device_ptrIjEEEEZNS1_13binary_searchIS3_S5_SG_SB_SG_NS1_21upper_bound_search_opENSC_16wrapped_functionINS0_4lessIvEEbEEEE10hipError_tPvRmT1_T2_T3_mmT4_T5_P12ihipStream_tbEUlRKjE_EESN_SR_SS_mST_SW_bEUlT_E_NS1_11comp_targetILNS1_3genE2ELNS1_11target_archE906ELNS1_3gpuE6ELNS1_3repE0EEENS1_30default_config_static_selectorELNS0_4arch9wavefront6targetE1EEEvSQ_,comdat
.Lfunc_end243:
	.size	_ZN7rocprim17ROCPRIM_400000_NS6detail17trampoline_kernelINS0_14default_configENS1_27upper_bound_config_selectorIjjEEZNS1_14transform_implILb0ES3_S5_N6thrust23THRUST_200600_302600_NS17counting_iteratorIjNS8_11use_defaultESA_SA_EENS8_6detail15normal_iteratorINS8_10device_ptrIjEEEEZNS1_13binary_searchIS3_S5_SG_SB_SG_NS1_21upper_bound_search_opENSC_16wrapped_functionINS0_4lessIvEEbEEEE10hipError_tPvRmT1_T2_T3_mmT4_T5_P12ihipStream_tbEUlRKjE_EESN_SR_SS_mST_SW_bEUlT_E_NS1_11comp_targetILNS1_3genE2ELNS1_11target_archE906ELNS1_3gpuE6ELNS1_3repE0EEENS1_30default_config_static_selectorELNS0_4arch9wavefront6targetE1EEEvSQ_, .Lfunc_end243-_ZN7rocprim17ROCPRIM_400000_NS6detail17trampoline_kernelINS0_14default_configENS1_27upper_bound_config_selectorIjjEEZNS1_14transform_implILb0ES3_S5_N6thrust23THRUST_200600_302600_NS17counting_iteratorIjNS8_11use_defaultESA_SA_EENS8_6detail15normal_iteratorINS8_10device_ptrIjEEEEZNS1_13binary_searchIS3_S5_SG_SB_SG_NS1_21upper_bound_search_opENSC_16wrapped_functionINS0_4lessIvEEbEEEE10hipError_tPvRmT1_T2_T3_mmT4_T5_P12ihipStream_tbEUlRKjE_EESN_SR_SS_mST_SW_bEUlT_E_NS1_11comp_targetILNS1_3genE2ELNS1_11target_archE906ELNS1_3gpuE6ELNS1_3repE0EEENS1_30default_config_static_selectorELNS0_4arch9wavefront6targetE1EEEvSQ_
                                        ; -- End function
	.section	.AMDGPU.csdata,"",@progbits
; Kernel info:
; codeLenInByte = 0
; NumSgprs: 4
; NumVgprs: 0
; NumAgprs: 0
; TotalNumVgprs: 0
; ScratchSize: 0
; MemoryBound: 0
; FloatMode: 240
; IeeeMode: 1
; LDSByteSize: 0 bytes/workgroup (compile time only)
; SGPRBlocks: 0
; VGPRBlocks: 0
; NumSGPRsForWavesPerEU: 4
; NumVGPRsForWavesPerEU: 1
; AccumOffset: 4
; Occupancy: 8
; WaveLimiterHint : 0
; COMPUTE_PGM_RSRC2:SCRATCH_EN: 0
; COMPUTE_PGM_RSRC2:USER_SGPR: 6
; COMPUTE_PGM_RSRC2:TRAP_HANDLER: 0
; COMPUTE_PGM_RSRC2:TGID_X_EN: 1
; COMPUTE_PGM_RSRC2:TGID_Y_EN: 0
; COMPUTE_PGM_RSRC2:TGID_Z_EN: 0
; COMPUTE_PGM_RSRC2:TIDIG_COMP_CNT: 0
; COMPUTE_PGM_RSRC3_GFX90A:ACCUM_OFFSET: 0
; COMPUTE_PGM_RSRC3_GFX90A:TG_SPLIT: 0
	.section	.text._ZN7rocprim17ROCPRIM_400000_NS6detail17trampoline_kernelINS0_14default_configENS1_27upper_bound_config_selectorIjjEEZNS1_14transform_implILb0ES3_S5_N6thrust23THRUST_200600_302600_NS17counting_iteratorIjNS8_11use_defaultESA_SA_EENS8_6detail15normal_iteratorINS8_10device_ptrIjEEEEZNS1_13binary_searchIS3_S5_SG_SB_SG_NS1_21upper_bound_search_opENSC_16wrapped_functionINS0_4lessIvEEbEEEE10hipError_tPvRmT1_T2_T3_mmT4_T5_P12ihipStream_tbEUlRKjE_EESN_SR_SS_mST_SW_bEUlT_E_NS1_11comp_targetILNS1_3genE10ELNS1_11target_archE1201ELNS1_3gpuE5ELNS1_3repE0EEENS1_30default_config_static_selectorELNS0_4arch9wavefront6targetE1EEEvSQ_,"axG",@progbits,_ZN7rocprim17ROCPRIM_400000_NS6detail17trampoline_kernelINS0_14default_configENS1_27upper_bound_config_selectorIjjEEZNS1_14transform_implILb0ES3_S5_N6thrust23THRUST_200600_302600_NS17counting_iteratorIjNS8_11use_defaultESA_SA_EENS8_6detail15normal_iteratorINS8_10device_ptrIjEEEEZNS1_13binary_searchIS3_S5_SG_SB_SG_NS1_21upper_bound_search_opENSC_16wrapped_functionINS0_4lessIvEEbEEEE10hipError_tPvRmT1_T2_T3_mmT4_T5_P12ihipStream_tbEUlRKjE_EESN_SR_SS_mST_SW_bEUlT_E_NS1_11comp_targetILNS1_3genE10ELNS1_11target_archE1201ELNS1_3gpuE5ELNS1_3repE0EEENS1_30default_config_static_selectorELNS0_4arch9wavefront6targetE1EEEvSQ_,comdat
	.protected	_ZN7rocprim17ROCPRIM_400000_NS6detail17trampoline_kernelINS0_14default_configENS1_27upper_bound_config_selectorIjjEEZNS1_14transform_implILb0ES3_S5_N6thrust23THRUST_200600_302600_NS17counting_iteratorIjNS8_11use_defaultESA_SA_EENS8_6detail15normal_iteratorINS8_10device_ptrIjEEEEZNS1_13binary_searchIS3_S5_SG_SB_SG_NS1_21upper_bound_search_opENSC_16wrapped_functionINS0_4lessIvEEbEEEE10hipError_tPvRmT1_T2_T3_mmT4_T5_P12ihipStream_tbEUlRKjE_EESN_SR_SS_mST_SW_bEUlT_E_NS1_11comp_targetILNS1_3genE10ELNS1_11target_archE1201ELNS1_3gpuE5ELNS1_3repE0EEENS1_30default_config_static_selectorELNS0_4arch9wavefront6targetE1EEEvSQ_ ; -- Begin function _ZN7rocprim17ROCPRIM_400000_NS6detail17trampoline_kernelINS0_14default_configENS1_27upper_bound_config_selectorIjjEEZNS1_14transform_implILb0ES3_S5_N6thrust23THRUST_200600_302600_NS17counting_iteratorIjNS8_11use_defaultESA_SA_EENS8_6detail15normal_iteratorINS8_10device_ptrIjEEEEZNS1_13binary_searchIS3_S5_SG_SB_SG_NS1_21upper_bound_search_opENSC_16wrapped_functionINS0_4lessIvEEbEEEE10hipError_tPvRmT1_T2_T3_mmT4_T5_P12ihipStream_tbEUlRKjE_EESN_SR_SS_mST_SW_bEUlT_E_NS1_11comp_targetILNS1_3genE10ELNS1_11target_archE1201ELNS1_3gpuE5ELNS1_3repE0EEENS1_30default_config_static_selectorELNS0_4arch9wavefront6targetE1EEEvSQ_
	.globl	_ZN7rocprim17ROCPRIM_400000_NS6detail17trampoline_kernelINS0_14default_configENS1_27upper_bound_config_selectorIjjEEZNS1_14transform_implILb0ES3_S5_N6thrust23THRUST_200600_302600_NS17counting_iteratorIjNS8_11use_defaultESA_SA_EENS8_6detail15normal_iteratorINS8_10device_ptrIjEEEEZNS1_13binary_searchIS3_S5_SG_SB_SG_NS1_21upper_bound_search_opENSC_16wrapped_functionINS0_4lessIvEEbEEEE10hipError_tPvRmT1_T2_T3_mmT4_T5_P12ihipStream_tbEUlRKjE_EESN_SR_SS_mST_SW_bEUlT_E_NS1_11comp_targetILNS1_3genE10ELNS1_11target_archE1201ELNS1_3gpuE5ELNS1_3repE0EEENS1_30default_config_static_selectorELNS0_4arch9wavefront6targetE1EEEvSQ_
	.p2align	8
	.type	_ZN7rocprim17ROCPRIM_400000_NS6detail17trampoline_kernelINS0_14default_configENS1_27upper_bound_config_selectorIjjEEZNS1_14transform_implILb0ES3_S5_N6thrust23THRUST_200600_302600_NS17counting_iteratorIjNS8_11use_defaultESA_SA_EENS8_6detail15normal_iteratorINS8_10device_ptrIjEEEEZNS1_13binary_searchIS3_S5_SG_SB_SG_NS1_21upper_bound_search_opENSC_16wrapped_functionINS0_4lessIvEEbEEEE10hipError_tPvRmT1_T2_T3_mmT4_T5_P12ihipStream_tbEUlRKjE_EESN_SR_SS_mST_SW_bEUlT_E_NS1_11comp_targetILNS1_3genE10ELNS1_11target_archE1201ELNS1_3gpuE5ELNS1_3repE0EEENS1_30default_config_static_selectorELNS0_4arch9wavefront6targetE1EEEvSQ_,@function
_ZN7rocprim17ROCPRIM_400000_NS6detail17trampoline_kernelINS0_14default_configENS1_27upper_bound_config_selectorIjjEEZNS1_14transform_implILb0ES3_S5_N6thrust23THRUST_200600_302600_NS17counting_iteratorIjNS8_11use_defaultESA_SA_EENS8_6detail15normal_iteratorINS8_10device_ptrIjEEEEZNS1_13binary_searchIS3_S5_SG_SB_SG_NS1_21upper_bound_search_opENSC_16wrapped_functionINS0_4lessIvEEbEEEE10hipError_tPvRmT1_T2_T3_mmT4_T5_P12ihipStream_tbEUlRKjE_EESN_SR_SS_mST_SW_bEUlT_E_NS1_11comp_targetILNS1_3genE10ELNS1_11target_archE1201ELNS1_3gpuE5ELNS1_3repE0EEENS1_30default_config_static_selectorELNS0_4arch9wavefront6targetE1EEEvSQ_: ; @_ZN7rocprim17ROCPRIM_400000_NS6detail17trampoline_kernelINS0_14default_configENS1_27upper_bound_config_selectorIjjEEZNS1_14transform_implILb0ES3_S5_N6thrust23THRUST_200600_302600_NS17counting_iteratorIjNS8_11use_defaultESA_SA_EENS8_6detail15normal_iteratorINS8_10device_ptrIjEEEEZNS1_13binary_searchIS3_S5_SG_SB_SG_NS1_21upper_bound_search_opENSC_16wrapped_functionINS0_4lessIvEEbEEEE10hipError_tPvRmT1_T2_T3_mmT4_T5_P12ihipStream_tbEUlRKjE_EESN_SR_SS_mST_SW_bEUlT_E_NS1_11comp_targetILNS1_3genE10ELNS1_11target_archE1201ELNS1_3gpuE5ELNS1_3repE0EEENS1_30default_config_static_selectorELNS0_4arch9wavefront6targetE1EEEvSQ_
; %bb.0:
	.section	.rodata,"a",@progbits
	.p2align	6, 0x0
	.amdhsa_kernel _ZN7rocprim17ROCPRIM_400000_NS6detail17trampoline_kernelINS0_14default_configENS1_27upper_bound_config_selectorIjjEEZNS1_14transform_implILb0ES3_S5_N6thrust23THRUST_200600_302600_NS17counting_iteratorIjNS8_11use_defaultESA_SA_EENS8_6detail15normal_iteratorINS8_10device_ptrIjEEEEZNS1_13binary_searchIS3_S5_SG_SB_SG_NS1_21upper_bound_search_opENSC_16wrapped_functionINS0_4lessIvEEbEEEE10hipError_tPvRmT1_T2_T3_mmT4_T5_P12ihipStream_tbEUlRKjE_EESN_SR_SS_mST_SW_bEUlT_E_NS1_11comp_targetILNS1_3genE10ELNS1_11target_archE1201ELNS1_3gpuE5ELNS1_3repE0EEENS1_30default_config_static_selectorELNS0_4arch9wavefront6targetE1EEEvSQ_
		.amdhsa_group_segment_fixed_size 0
		.amdhsa_private_segment_fixed_size 0
		.amdhsa_kernarg_size 56
		.amdhsa_user_sgpr_count 6
		.amdhsa_user_sgpr_private_segment_buffer 1
		.amdhsa_user_sgpr_dispatch_ptr 0
		.amdhsa_user_sgpr_queue_ptr 0
		.amdhsa_user_sgpr_kernarg_segment_ptr 1
		.amdhsa_user_sgpr_dispatch_id 0
		.amdhsa_user_sgpr_flat_scratch_init 0
		.amdhsa_user_sgpr_kernarg_preload_length 0
		.amdhsa_user_sgpr_kernarg_preload_offset 0
		.amdhsa_user_sgpr_private_segment_size 0
		.amdhsa_uses_dynamic_stack 0
		.amdhsa_system_sgpr_private_segment_wavefront_offset 0
		.amdhsa_system_sgpr_workgroup_id_x 1
		.amdhsa_system_sgpr_workgroup_id_y 0
		.amdhsa_system_sgpr_workgroup_id_z 0
		.amdhsa_system_sgpr_workgroup_info 0
		.amdhsa_system_vgpr_workitem_id 0
		.amdhsa_next_free_vgpr 1
		.amdhsa_next_free_sgpr 0
		.amdhsa_accum_offset 4
		.amdhsa_reserve_vcc 0
		.amdhsa_reserve_flat_scratch 0
		.amdhsa_float_round_mode_32 0
		.amdhsa_float_round_mode_16_64 0
		.amdhsa_float_denorm_mode_32 3
		.amdhsa_float_denorm_mode_16_64 3
		.amdhsa_dx10_clamp 1
		.amdhsa_ieee_mode 1
		.amdhsa_fp16_overflow 0
		.amdhsa_tg_split 0
		.amdhsa_exception_fp_ieee_invalid_op 0
		.amdhsa_exception_fp_denorm_src 0
		.amdhsa_exception_fp_ieee_div_zero 0
		.amdhsa_exception_fp_ieee_overflow 0
		.amdhsa_exception_fp_ieee_underflow 0
		.amdhsa_exception_fp_ieee_inexact 0
		.amdhsa_exception_int_div_zero 0
	.end_amdhsa_kernel
	.section	.text._ZN7rocprim17ROCPRIM_400000_NS6detail17trampoline_kernelINS0_14default_configENS1_27upper_bound_config_selectorIjjEEZNS1_14transform_implILb0ES3_S5_N6thrust23THRUST_200600_302600_NS17counting_iteratorIjNS8_11use_defaultESA_SA_EENS8_6detail15normal_iteratorINS8_10device_ptrIjEEEEZNS1_13binary_searchIS3_S5_SG_SB_SG_NS1_21upper_bound_search_opENSC_16wrapped_functionINS0_4lessIvEEbEEEE10hipError_tPvRmT1_T2_T3_mmT4_T5_P12ihipStream_tbEUlRKjE_EESN_SR_SS_mST_SW_bEUlT_E_NS1_11comp_targetILNS1_3genE10ELNS1_11target_archE1201ELNS1_3gpuE5ELNS1_3repE0EEENS1_30default_config_static_selectorELNS0_4arch9wavefront6targetE1EEEvSQ_,"axG",@progbits,_ZN7rocprim17ROCPRIM_400000_NS6detail17trampoline_kernelINS0_14default_configENS1_27upper_bound_config_selectorIjjEEZNS1_14transform_implILb0ES3_S5_N6thrust23THRUST_200600_302600_NS17counting_iteratorIjNS8_11use_defaultESA_SA_EENS8_6detail15normal_iteratorINS8_10device_ptrIjEEEEZNS1_13binary_searchIS3_S5_SG_SB_SG_NS1_21upper_bound_search_opENSC_16wrapped_functionINS0_4lessIvEEbEEEE10hipError_tPvRmT1_T2_T3_mmT4_T5_P12ihipStream_tbEUlRKjE_EESN_SR_SS_mST_SW_bEUlT_E_NS1_11comp_targetILNS1_3genE10ELNS1_11target_archE1201ELNS1_3gpuE5ELNS1_3repE0EEENS1_30default_config_static_selectorELNS0_4arch9wavefront6targetE1EEEvSQ_,comdat
.Lfunc_end244:
	.size	_ZN7rocprim17ROCPRIM_400000_NS6detail17trampoline_kernelINS0_14default_configENS1_27upper_bound_config_selectorIjjEEZNS1_14transform_implILb0ES3_S5_N6thrust23THRUST_200600_302600_NS17counting_iteratorIjNS8_11use_defaultESA_SA_EENS8_6detail15normal_iteratorINS8_10device_ptrIjEEEEZNS1_13binary_searchIS3_S5_SG_SB_SG_NS1_21upper_bound_search_opENSC_16wrapped_functionINS0_4lessIvEEbEEEE10hipError_tPvRmT1_T2_T3_mmT4_T5_P12ihipStream_tbEUlRKjE_EESN_SR_SS_mST_SW_bEUlT_E_NS1_11comp_targetILNS1_3genE10ELNS1_11target_archE1201ELNS1_3gpuE5ELNS1_3repE0EEENS1_30default_config_static_selectorELNS0_4arch9wavefront6targetE1EEEvSQ_, .Lfunc_end244-_ZN7rocprim17ROCPRIM_400000_NS6detail17trampoline_kernelINS0_14default_configENS1_27upper_bound_config_selectorIjjEEZNS1_14transform_implILb0ES3_S5_N6thrust23THRUST_200600_302600_NS17counting_iteratorIjNS8_11use_defaultESA_SA_EENS8_6detail15normal_iteratorINS8_10device_ptrIjEEEEZNS1_13binary_searchIS3_S5_SG_SB_SG_NS1_21upper_bound_search_opENSC_16wrapped_functionINS0_4lessIvEEbEEEE10hipError_tPvRmT1_T2_T3_mmT4_T5_P12ihipStream_tbEUlRKjE_EESN_SR_SS_mST_SW_bEUlT_E_NS1_11comp_targetILNS1_3genE10ELNS1_11target_archE1201ELNS1_3gpuE5ELNS1_3repE0EEENS1_30default_config_static_selectorELNS0_4arch9wavefront6targetE1EEEvSQ_
                                        ; -- End function
	.section	.AMDGPU.csdata,"",@progbits
; Kernel info:
; codeLenInByte = 0
; NumSgprs: 4
; NumVgprs: 0
; NumAgprs: 0
; TotalNumVgprs: 0
; ScratchSize: 0
; MemoryBound: 0
; FloatMode: 240
; IeeeMode: 1
; LDSByteSize: 0 bytes/workgroup (compile time only)
; SGPRBlocks: 0
; VGPRBlocks: 0
; NumSGPRsForWavesPerEU: 4
; NumVGPRsForWavesPerEU: 1
; AccumOffset: 4
; Occupancy: 8
; WaveLimiterHint : 0
; COMPUTE_PGM_RSRC2:SCRATCH_EN: 0
; COMPUTE_PGM_RSRC2:USER_SGPR: 6
; COMPUTE_PGM_RSRC2:TRAP_HANDLER: 0
; COMPUTE_PGM_RSRC2:TGID_X_EN: 1
; COMPUTE_PGM_RSRC2:TGID_Y_EN: 0
; COMPUTE_PGM_RSRC2:TGID_Z_EN: 0
; COMPUTE_PGM_RSRC2:TIDIG_COMP_CNT: 0
; COMPUTE_PGM_RSRC3_GFX90A:ACCUM_OFFSET: 0
; COMPUTE_PGM_RSRC3_GFX90A:TG_SPLIT: 0
	.section	.text._ZN7rocprim17ROCPRIM_400000_NS6detail17trampoline_kernelINS0_14default_configENS1_27upper_bound_config_selectorIjjEEZNS1_14transform_implILb0ES3_S5_N6thrust23THRUST_200600_302600_NS17counting_iteratorIjNS8_11use_defaultESA_SA_EENS8_6detail15normal_iteratorINS8_10device_ptrIjEEEEZNS1_13binary_searchIS3_S5_SG_SB_SG_NS1_21upper_bound_search_opENSC_16wrapped_functionINS0_4lessIvEEbEEEE10hipError_tPvRmT1_T2_T3_mmT4_T5_P12ihipStream_tbEUlRKjE_EESN_SR_SS_mST_SW_bEUlT_E_NS1_11comp_targetILNS1_3genE10ELNS1_11target_archE1200ELNS1_3gpuE4ELNS1_3repE0EEENS1_30default_config_static_selectorELNS0_4arch9wavefront6targetE1EEEvSQ_,"axG",@progbits,_ZN7rocprim17ROCPRIM_400000_NS6detail17trampoline_kernelINS0_14default_configENS1_27upper_bound_config_selectorIjjEEZNS1_14transform_implILb0ES3_S5_N6thrust23THRUST_200600_302600_NS17counting_iteratorIjNS8_11use_defaultESA_SA_EENS8_6detail15normal_iteratorINS8_10device_ptrIjEEEEZNS1_13binary_searchIS3_S5_SG_SB_SG_NS1_21upper_bound_search_opENSC_16wrapped_functionINS0_4lessIvEEbEEEE10hipError_tPvRmT1_T2_T3_mmT4_T5_P12ihipStream_tbEUlRKjE_EESN_SR_SS_mST_SW_bEUlT_E_NS1_11comp_targetILNS1_3genE10ELNS1_11target_archE1200ELNS1_3gpuE4ELNS1_3repE0EEENS1_30default_config_static_selectorELNS0_4arch9wavefront6targetE1EEEvSQ_,comdat
	.protected	_ZN7rocprim17ROCPRIM_400000_NS6detail17trampoline_kernelINS0_14default_configENS1_27upper_bound_config_selectorIjjEEZNS1_14transform_implILb0ES3_S5_N6thrust23THRUST_200600_302600_NS17counting_iteratorIjNS8_11use_defaultESA_SA_EENS8_6detail15normal_iteratorINS8_10device_ptrIjEEEEZNS1_13binary_searchIS3_S5_SG_SB_SG_NS1_21upper_bound_search_opENSC_16wrapped_functionINS0_4lessIvEEbEEEE10hipError_tPvRmT1_T2_T3_mmT4_T5_P12ihipStream_tbEUlRKjE_EESN_SR_SS_mST_SW_bEUlT_E_NS1_11comp_targetILNS1_3genE10ELNS1_11target_archE1200ELNS1_3gpuE4ELNS1_3repE0EEENS1_30default_config_static_selectorELNS0_4arch9wavefront6targetE1EEEvSQ_ ; -- Begin function _ZN7rocprim17ROCPRIM_400000_NS6detail17trampoline_kernelINS0_14default_configENS1_27upper_bound_config_selectorIjjEEZNS1_14transform_implILb0ES3_S5_N6thrust23THRUST_200600_302600_NS17counting_iteratorIjNS8_11use_defaultESA_SA_EENS8_6detail15normal_iteratorINS8_10device_ptrIjEEEEZNS1_13binary_searchIS3_S5_SG_SB_SG_NS1_21upper_bound_search_opENSC_16wrapped_functionINS0_4lessIvEEbEEEE10hipError_tPvRmT1_T2_T3_mmT4_T5_P12ihipStream_tbEUlRKjE_EESN_SR_SS_mST_SW_bEUlT_E_NS1_11comp_targetILNS1_3genE10ELNS1_11target_archE1200ELNS1_3gpuE4ELNS1_3repE0EEENS1_30default_config_static_selectorELNS0_4arch9wavefront6targetE1EEEvSQ_
	.globl	_ZN7rocprim17ROCPRIM_400000_NS6detail17trampoline_kernelINS0_14default_configENS1_27upper_bound_config_selectorIjjEEZNS1_14transform_implILb0ES3_S5_N6thrust23THRUST_200600_302600_NS17counting_iteratorIjNS8_11use_defaultESA_SA_EENS8_6detail15normal_iteratorINS8_10device_ptrIjEEEEZNS1_13binary_searchIS3_S5_SG_SB_SG_NS1_21upper_bound_search_opENSC_16wrapped_functionINS0_4lessIvEEbEEEE10hipError_tPvRmT1_T2_T3_mmT4_T5_P12ihipStream_tbEUlRKjE_EESN_SR_SS_mST_SW_bEUlT_E_NS1_11comp_targetILNS1_3genE10ELNS1_11target_archE1200ELNS1_3gpuE4ELNS1_3repE0EEENS1_30default_config_static_selectorELNS0_4arch9wavefront6targetE1EEEvSQ_
	.p2align	8
	.type	_ZN7rocprim17ROCPRIM_400000_NS6detail17trampoline_kernelINS0_14default_configENS1_27upper_bound_config_selectorIjjEEZNS1_14transform_implILb0ES3_S5_N6thrust23THRUST_200600_302600_NS17counting_iteratorIjNS8_11use_defaultESA_SA_EENS8_6detail15normal_iteratorINS8_10device_ptrIjEEEEZNS1_13binary_searchIS3_S5_SG_SB_SG_NS1_21upper_bound_search_opENSC_16wrapped_functionINS0_4lessIvEEbEEEE10hipError_tPvRmT1_T2_T3_mmT4_T5_P12ihipStream_tbEUlRKjE_EESN_SR_SS_mST_SW_bEUlT_E_NS1_11comp_targetILNS1_3genE10ELNS1_11target_archE1200ELNS1_3gpuE4ELNS1_3repE0EEENS1_30default_config_static_selectorELNS0_4arch9wavefront6targetE1EEEvSQ_,@function
_ZN7rocprim17ROCPRIM_400000_NS6detail17trampoline_kernelINS0_14default_configENS1_27upper_bound_config_selectorIjjEEZNS1_14transform_implILb0ES3_S5_N6thrust23THRUST_200600_302600_NS17counting_iteratorIjNS8_11use_defaultESA_SA_EENS8_6detail15normal_iteratorINS8_10device_ptrIjEEEEZNS1_13binary_searchIS3_S5_SG_SB_SG_NS1_21upper_bound_search_opENSC_16wrapped_functionINS0_4lessIvEEbEEEE10hipError_tPvRmT1_T2_T3_mmT4_T5_P12ihipStream_tbEUlRKjE_EESN_SR_SS_mST_SW_bEUlT_E_NS1_11comp_targetILNS1_3genE10ELNS1_11target_archE1200ELNS1_3gpuE4ELNS1_3repE0EEENS1_30default_config_static_selectorELNS0_4arch9wavefront6targetE1EEEvSQ_: ; @_ZN7rocprim17ROCPRIM_400000_NS6detail17trampoline_kernelINS0_14default_configENS1_27upper_bound_config_selectorIjjEEZNS1_14transform_implILb0ES3_S5_N6thrust23THRUST_200600_302600_NS17counting_iteratorIjNS8_11use_defaultESA_SA_EENS8_6detail15normal_iteratorINS8_10device_ptrIjEEEEZNS1_13binary_searchIS3_S5_SG_SB_SG_NS1_21upper_bound_search_opENSC_16wrapped_functionINS0_4lessIvEEbEEEE10hipError_tPvRmT1_T2_T3_mmT4_T5_P12ihipStream_tbEUlRKjE_EESN_SR_SS_mST_SW_bEUlT_E_NS1_11comp_targetILNS1_3genE10ELNS1_11target_archE1200ELNS1_3gpuE4ELNS1_3repE0EEENS1_30default_config_static_selectorELNS0_4arch9wavefront6targetE1EEEvSQ_
; %bb.0:
	.section	.rodata,"a",@progbits
	.p2align	6, 0x0
	.amdhsa_kernel _ZN7rocprim17ROCPRIM_400000_NS6detail17trampoline_kernelINS0_14default_configENS1_27upper_bound_config_selectorIjjEEZNS1_14transform_implILb0ES3_S5_N6thrust23THRUST_200600_302600_NS17counting_iteratorIjNS8_11use_defaultESA_SA_EENS8_6detail15normal_iteratorINS8_10device_ptrIjEEEEZNS1_13binary_searchIS3_S5_SG_SB_SG_NS1_21upper_bound_search_opENSC_16wrapped_functionINS0_4lessIvEEbEEEE10hipError_tPvRmT1_T2_T3_mmT4_T5_P12ihipStream_tbEUlRKjE_EESN_SR_SS_mST_SW_bEUlT_E_NS1_11comp_targetILNS1_3genE10ELNS1_11target_archE1200ELNS1_3gpuE4ELNS1_3repE0EEENS1_30default_config_static_selectorELNS0_4arch9wavefront6targetE1EEEvSQ_
		.amdhsa_group_segment_fixed_size 0
		.amdhsa_private_segment_fixed_size 0
		.amdhsa_kernarg_size 56
		.amdhsa_user_sgpr_count 6
		.amdhsa_user_sgpr_private_segment_buffer 1
		.amdhsa_user_sgpr_dispatch_ptr 0
		.amdhsa_user_sgpr_queue_ptr 0
		.amdhsa_user_sgpr_kernarg_segment_ptr 1
		.amdhsa_user_sgpr_dispatch_id 0
		.amdhsa_user_sgpr_flat_scratch_init 0
		.amdhsa_user_sgpr_kernarg_preload_length 0
		.amdhsa_user_sgpr_kernarg_preload_offset 0
		.amdhsa_user_sgpr_private_segment_size 0
		.amdhsa_uses_dynamic_stack 0
		.amdhsa_system_sgpr_private_segment_wavefront_offset 0
		.amdhsa_system_sgpr_workgroup_id_x 1
		.amdhsa_system_sgpr_workgroup_id_y 0
		.amdhsa_system_sgpr_workgroup_id_z 0
		.amdhsa_system_sgpr_workgroup_info 0
		.amdhsa_system_vgpr_workitem_id 0
		.amdhsa_next_free_vgpr 1
		.amdhsa_next_free_sgpr 0
		.amdhsa_accum_offset 4
		.amdhsa_reserve_vcc 0
		.amdhsa_reserve_flat_scratch 0
		.amdhsa_float_round_mode_32 0
		.amdhsa_float_round_mode_16_64 0
		.amdhsa_float_denorm_mode_32 3
		.amdhsa_float_denorm_mode_16_64 3
		.amdhsa_dx10_clamp 1
		.amdhsa_ieee_mode 1
		.amdhsa_fp16_overflow 0
		.amdhsa_tg_split 0
		.amdhsa_exception_fp_ieee_invalid_op 0
		.amdhsa_exception_fp_denorm_src 0
		.amdhsa_exception_fp_ieee_div_zero 0
		.amdhsa_exception_fp_ieee_overflow 0
		.amdhsa_exception_fp_ieee_underflow 0
		.amdhsa_exception_fp_ieee_inexact 0
		.amdhsa_exception_int_div_zero 0
	.end_amdhsa_kernel
	.section	.text._ZN7rocprim17ROCPRIM_400000_NS6detail17trampoline_kernelINS0_14default_configENS1_27upper_bound_config_selectorIjjEEZNS1_14transform_implILb0ES3_S5_N6thrust23THRUST_200600_302600_NS17counting_iteratorIjNS8_11use_defaultESA_SA_EENS8_6detail15normal_iteratorINS8_10device_ptrIjEEEEZNS1_13binary_searchIS3_S5_SG_SB_SG_NS1_21upper_bound_search_opENSC_16wrapped_functionINS0_4lessIvEEbEEEE10hipError_tPvRmT1_T2_T3_mmT4_T5_P12ihipStream_tbEUlRKjE_EESN_SR_SS_mST_SW_bEUlT_E_NS1_11comp_targetILNS1_3genE10ELNS1_11target_archE1200ELNS1_3gpuE4ELNS1_3repE0EEENS1_30default_config_static_selectorELNS0_4arch9wavefront6targetE1EEEvSQ_,"axG",@progbits,_ZN7rocprim17ROCPRIM_400000_NS6detail17trampoline_kernelINS0_14default_configENS1_27upper_bound_config_selectorIjjEEZNS1_14transform_implILb0ES3_S5_N6thrust23THRUST_200600_302600_NS17counting_iteratorIjNS8_11use_defaultESA_SA_EENS8_6detail15normal_iteratorINS8_10device_ptrIjEEEEZNS1_13binary_searchIS3_S5_SG_SB_SG_NS1_21upper_bound_search_opENSC_16wrapped_functionINS0_4lessIvEEbEEEE10hipError_tPvRmT1_T2_T3_mmT4_T5_P12ihipStream_tbEUlRKjE_EESN_SR_SS_mST_SW_bEUlT_E_NS1_11comp_targetILNS1_3genE10ELNS1_11target_archE1200ELNS1_3gpuE4ELNS1_3repE0EEENS1_30default_config_static_selectorELNS0_4arch9wavefront6targetE1EEEvSQ_,comdat
.Lfunc_end245:
	.size	_ZN7rocprim17ROCPRIM_400000_NS6detail17trampoline_kernelINS0_14default_configENS1_27upper_bound_config_selectorIjjEEZNS1_14transform_implILb0ES3_S5_N6thrust23THRUST_200600_302600_NS17counting_iteratorIjNS8_11use_defaultESA_SA_EENS8_6detail15normal_iteratorINS8_10device_ptrIjEEEEZNS1_13binary_searchIS3_S5_SG_SB_SG_NS1_21upper_bound_search_opENSC_16wrapped_functionINS0_4lessIvEEbEEEE10hipError_tPvRmT1_T2_T3_mmT4_T5_P12ihipStream_tbEUlRKjE_EESN_SR_SS_mST_SW_bEUlT_E_NS1_11comp_targetILNS1_3genE10ELNS1_11target_archE1200ELNS1_3gpuE4ELNS1_3repE0EEENS1_30default_config_static_selectorELNS0_4arch9wavefront6targetE1EEEvSQ_, .Lfunc_end245-_ZN7rocprim17ROCPRIM_400000_NS6detail17trampoline_kernelINS0_14default_configENS1_27upper_bound_config_selectorIjjEEZNS1_14transform_implILb0ES3_S5_N6thrust23THRUST_200600_302600_NS17counting_iteratorIjNS8_11use_defaultESA_SA_EENS8_6detail15normal_iteratorINS8_10device_ptrIjEEEEZNS1_13binary_searchIS3_S5_SG_SB_SG_NS1_21upper_bound_search_opENSC_16wrapped_functionINS0_4lessIvEEbEEEE10hipError_tPvRmT1_T2_T3_mmT4_T5_P12ihipStream_tbEUlRKjE_EESN_SR_SS_mST_SW_bEUlT_E_NS1_11comp_targetILNS1_3genE10ELNS1_11target_archE1200ELNS1_3gpuE4ELNS1_3repE0EEENS1_30default_config_static_selectorELNS0_4arch9wavefront6targetE1EEEvSQ_
                                        ; -- End function
	.section	.AMDGPU.csdata,"",@progbits
; Kernel info:
; codeLenInByte = 0
; NumSgprs: 4
; NumVgprs: 0
; NumAgprs: 0
; TotalNumVgprs: 0
; ScratchSize: 0
; MemoryBound: 0
; FloatMode: 240
; IeeeMode: 1
; LDSByteSize: 0 bytes/workgroup (compile time only)
; SGPRBlocks: 0
; VGPRBlocks: 0
; NumSGPRsForWavesPerEU: 4
; NumVGPRsForWavesPerEU: 1
; AccumOffset: 4
; Occupancy: 8
; WaveLimiterHint : 0
; COMPUTE_PGM_RSRC2:SCRATCH_EN: 0
; COMPUTE_PGM_RSRC2:USER_SGPR: 6
; COMPUTE_PGM_RSRC2:TRAP_HANDLER: 0
; COMPUTE_PGM_RSRC2:TGID_X_EN: 1
; COMPUTE_PGM_RSRC2:TGID_Y_EN: 0
; COMPUTE_PGM_RSRC2:TGID_Z_EN: 0
; COMPUTE_PGM_RSRC2:TIDIG_COMP_CNT: 0
; COMPUTE_PGM_RSRC3_GFX90A:ACCUM_OFFSET: 0
; COMPUTE_PGM_RSRC3_GFX90A:TG_SPLIT: 0
	.section	.text._ZN7rocprim17ROCPRIM_400000_NS6detail17trampoline_kernelINS0_14default_configENS1_27upper_bound_config_selectorIjjEEZNS1_14transform_implILb0ES3_S5_N6thrust23THRUST_200600_302600_NS17counting_iteratorIjNS8_11use_defaultESA_SA_EENS8_6detail15normal_iteratorINS8_10device_ptrIjEEEEZNS1_13binary_searchIS3_S5_SG_SB_SG_NS1_21upper_bound_search_opENSC_16wrapped_functionINS0_4lessIvEEbEEEE10hipError_tPvRmT1_T2_T3_mmT4_T5_P12ihipStream_tbEUlRKjE_EESN_SR_SS_mST_SW_bEUlT_E_NS1_11comp_targetILNS1_3genE9ELNS1_11target_archE1100ELNS1_3gpuE3ELNS1_3repE0EEENS1_30default_config_static_selectorELNS0_4arch9wavefront6targetE1EEEvSQ_,"axG",@progbits,_ZN7rocprim17ROCPRIM_400000_NS6detail17trampoline_kernelINS0_14default_configENS1_27upper_bound_config_selectorIjjEEZNS1_14transform_implILb0ES3_S5_N6thrust23THRUST_200600_302600_NS17counting_iteratorIjNS8_11use_defaultESA_SA_EENS8_6detail15normal_iteratorINS8_10device_ptrIjEEEEZNS1_13binary_searchIS3_S5_SG_SB_SG_NS1_21upper_bound_search_opENSC_16wrapped_functionINS0_4lessIvEEbEEEE10hipError_tPvRmT1_T2_T3_mmT4_T5_P12ihipStream_tbEUlRKjE_EESN_SR_SS_mST_SW_bEUlT_E_NS1_11comp_targetILNS1_3genE9ELNS1_11target_archE1100ELNS1_3gpuE3ELNS1_3repE0EEENS1_30default_config_static_selectorELNS0_4arch9wavefront6targetE1EEEvSQ_,comdat
	.protected	_ZN7rocprim17ROCPRIM_400000_NS6detail17trampoline_kernelINS0_14default_configENS1_27upper_bound_config_selectorIjjEEZNS1_14transform_implILb0ES3_S5_N6thrust23THRUST_200600_302600_NS17counting_iteratorIjNS8_11use_defaultESA_SA_EENS8_6detail15normal_iteratorINS8_10device_ptrIjEEEEZNS1_13binary_searchIS3_S5_SG_SB_SG_NS1_21upper_bound_search_opENSC_16wrapped_functionINS0_4lessIvEEbEEEE10hipError_tPvRmT1_T2_T3_mmT4_T5_P12ihipStream_tbEUlRKjE_EESN_SR_SS_mST_SW_bEUlT_E_NS1_11comp_targetILNS1_3genE9ELNS1_11target_archE1100ELNS1_3gpuE3ELNS1_3repE0EEENS1_30default_config_static_selectorELNS0_4arch9wavefront6targetE1EEEvSQ_ ; -- Begin function _ZN7rocprim17ROCPRIM_400000_NS6detail17trampoline_kernelINS0_14default_configENS1_27upper_bound_config_selectorIjjEEZNS1_14transform_implILb0ES3_S5_N6thrust23THRUST_200600_302600_NS17counting_iteratorIjNS8_11use_defaultESA_SA_EENS8_6detail15normal_iteratorINS8_10device_ptrIjEEEEZNS1_13binary_searchIS3_S5_SG_SB_SG_NS1_21upper_bound_search_opENSC_16wrapped_functionINS0_4lessIvEEbEEEE10hipError_tPvRmT1_T2_T3_mmT4_T5_P12ihipStream_tbEUlRKjE_EESN_SR_SS_mST_SW_bEUlT_E_NS1_11comp_targetILNS1_3genE9ELNS1_11target_archE1100ELNS1_3gpuE3ELNS1_3repE0EEENS1_30default_config_static_selectorELNS0_4arch9wavefront6targetE1EEEvSQ_
	.globl	_ZN7rocprim17ROCPRIM_400000_NS6detail17trampoline_kernelINS0_14default_configENS1_27upper_bound_config_selectorIjjEEZNS1_14transform_implILb0ES3_S5_N6thrust23THRUST_200600_302600_NS17counting_iteratorIjNS8_11use_defaultESA_SA_EENS8_6detail15normal_iteratorINS8_10device_ptrIjEEEEZNS1_13binary_searchIS3_S5_SG_SB_SG_NS1_21upper_bound_search_opENSC_16wrapped_functionINS0_4lessIvEEbEEEE10hipError_tPvRmT1_T2_T3_mmT4_T5_P12ihipStream_tbEUlRKjE_EESN_SR_SS_mST_SW_bEUlT_E_NS1_11comp_targetILNS1_3genE9ELNS1_11target_archE1100ELNS1_3gpuE3ELNS1_3repE0EEENS1_30default_config_static_selectorELNS0_4arch9wavefront6targetE1EEEvSQ_
	.p2align	8
	.type	_ZN7rocprim17ROCPRIM_400000_NS6detail17trampoline_kernelINS0_14default_configENS1_27upper_bound_config_selectorIjjEEZNS1_14transform_implILb0ES3_S5_N6thrust23THRUST_200600_302600_NS17counting_iteratorIjNS8_11use_defaultESA_SA_EENS8_6detail15normal_iteratorINS8_10device_ptrIjEEEEZNS1_13binary_searchIS3_S5_SG_SB_SG_NS1_21upper_bound_search_opENSC_16wrapped_functionINS0_4lessIvEEbEEEE10hipError_tPvRmT1_T2_T3_mmT4_T5_P12ihipStream_tbEUlRKjE_EESN_SR_SS_mST_SW_bEUlT_E_NS1_11comp_targetILNS1_3genE9ELNS1_11target_archE1100ELNS1_3gpuE3ELNS1_3repE0EEENS1_30default_config_static_selectorELNS0_4arch9wavefront6targetE1EEEvSQ_,@function
_ZN7rocprim17ROCPRIM_400000_NS6detail17trampoline_kernelINS0_14default_configENS1_27upper_bound_config_selectorIjjEEZNS1_14transform_implILb0ES3_S5_N6thrust23THRUST_200600_302600_NS17counting_iteratorIjNS8_11use_defaultESA_SA_EENS8_6detail15normal_iteratorINS8_10device_ptrIjEEEEZNS1_13binary_searchIS3_S5_SG_SB_SG_NS1_21upper_bound_search_opENSC_16wrapped_functionINS0_4lessIvEEbEEEE10hipError_tPvRmT1_T2_T3_mmT4_T5_P12ihipStream_tbEUlRKjE_EESN_SR_SS_mST_SW_bEUlT_E_NS1_11comp_targetILNS1_3genE9ELNS1_11target_archE1100ELNS1_3gpuE3ELNS1_3repE0EEENS1_30default_config_static_selectorELNS0_4arch9wavefront6targetE1EEEvSQ_: ; @_ZN7rocprim17ROCPRIM_400000_NS6detail17trampoline_kernelINS0_14default_configENS1_27upper_bound_config_selectorIjjEEZNS1_14transform_implILb0ES3_S5_N6thrust23THRUST_200600_302600_NS17counting_iteratorIjNS8_11use_defaultESA_SA_EENS8_6detail15normal_iteratorINS8_10device_ptrIjEEEEZNS1_13binary_searchIS3_S5_SG_SB_SG_NS1_21upper_bound_search_opENSC_16wrapped_functionINS0_4lessIvEEbEEEE10hipError_tPvRmT1_T2_T3_mmT4_T5_P12ihipStream_tbEUlRKjE_EESN_SR_SS_mST_SW_bEUlT_E_NS1_11comp_targetILNS1_3genE9ELNS1_11target_archE1100ELNS1_3gpuE3ELNS1_3repE0EEENS1_30default_config_static_selectorELNS0_4arch9wavefront6targetE1EEEvSQ_
; %bb.0:
	.section	.rodata,"a",@progbits
	.p2align	6, 0x0
	.amdhsa_kernel _ZN7rocprim17ROCPRIM_400000_NS6detail17trampoline_kernelINS0_14default_configENS1_27upper_bound_config_selectorIjjEEZNS1_14transform_implILb0ES3_S5_N6thrust23THRUST_200600_302600_NS17counting_iteratorIjNS8_11use_defaultESA_SA_EENS8_6detail15normal_iteratorINS8_10device_ptrIjEEEEZNS1_13binary_searchIS3_S5_SG_SB_SG_NS1_21upper_bound_search_opENSC_16wrapped_functionINS0_4lessIvEEbEEEE10hipError_tPvRmT1_T2_T3_mmT4_T5_P12ihipStream_tbEUlRKjE_EESN_SR_SS_mST_SW_bEUlT_E_NS1_11comp_targetILNS1_3genE9ELNS1_11target_archE1100ELNS1_3gpuE3ELNS1_3repE0EEENS1_30default_config_static_selectorELNS0_4arch9wavefront6targetE1EEEvSQ_
		.amdhsa_group_segment_fixed_size 0
		.amdhsa_private_segment_fixed_size 0
		.amdhsa_kernarg_size 56
		.amdhsa_user_sgpr_count 6
		.amdhsa_user_sgpr_private_segment_buffer 1
		.amdhsa_user_sgpr_dispatch_ptr 0
		.amdhsa_user_sgpr_queue_ptr 0
		.amdhsa_user_sgpr_kernarg_segment_ptr 1
		.amdhsa_user_sgpr_dispatch_id 0
		.amdhsa_user_sgpr_flat_scratch_init 0
		.amdhsa_user_sgpr_kernarg_preload_length 0
		.amdhsa_user_sgpr_kernarg_preload_offset 0
		.amdhsa_user_sgpr_private_segment_size 0
		.amdhsa_uses_dynamic_stack 0
		.amdhsa_system_sgpr_private_segment_wavefront_offset 0
		.amdhsa_system_sgpr_workgroup_id_x 1
		.amdhsa_system_sgpr_workgroup_id_y 0
		.amdhsa_system_sgpr_workgroup_id_z 0
		.amdhsa_system_sgpr_workgroup_info 0
		.amdhsa_system_vgpr_workitem_id 0
		.amdhsa_next_free_vgpr 1
		.amdhsa_next_free_sgpr 0
		.amdhsa_accum_offset 4
		.amdhsa_reserve_vcc 0
		.amdhsa_reserve_flat_scratch 0
		.amdhsa_float_round_mode_32 0
		.amdhsa_float_round_mode_16_64 0
		.amdhsa_float_denorm_mode_32 3
		.amdhsa_float_denorm_mode_16_64 3
		.amdhsa_dx10_clamp 1
		.amdhsa_ieee_mode 1
		.amdhsa_fp16_overflow 0
		.amdhsa_tg_split 0
		.amdhsa_exception_fp_ieee_invalid_op 0
		.amdhsa_exception_fp_denorm_src 0
		.amdhsa_exception_fp_ieee_div_zero 0
		.amdhsa_exception_fp_ieee_overflow 0
		.amdhsa_exception_fp_ieee_underflow 0
		.amdhsa_exception_fp_ieee_inexact 0
		.amdhsa_exception_int_div_zero 0
	.end_amdhsa_kernel
	.section	.text._ZN7rocprim17ROCPRIM_400000_NS6detail17trampoline_kernelINS0_14default_configENS1_27upper_bound_config_selectorIjjEEZNS1_14transform_implILb0ES3_S5_N6thrust23THRUST_200600_302600_NS17counting_iteratorIjNS8_11use_defaultESA_SA_EENS8_6detail15normal_iteratorINS8_10device_ptrIjEEEEZNS1_13binary_searchIS3_S5_SG_SB_SG_NS1_21upper_bound_search_opENSC_16wrapped_functionINS0_4lessIvEEbEEEE10hipError_tPvRmT1_T2_T3_mmT4_T5_P12ihipStream_tbEUlRKjE_EESN_SR_SS_mST_SW_bEUlT_E_NS1_11comp_targetILNS1_3genE9ELNS1_11target_archE1100ELNS1_3gpuE3ELNS1_3repE0EEENS1_30default_config_static_selectorELNS0_4arch9wavefront6targetE1EEEvSQ_,"axG",@progbits,_ZN7rocprim17ROCPRIM_400000_NS6detail17trampoline_kernelINS0_14default_configENS1_27upper_bound_config_selectorIjjEEZNS1_14transform_implILb0ES3_S5_N6thrust23THRUST_200600_302600_NS17counting_iteratorIjNS8_11use_defaultESA_SA_EENS8_6detail15normal_iteratorINS8_10device_ptrIjEEEEZNS1_13binary_searchIS3_S5_SG_SB_SG_NS1_21upper_bound_search_opENSC_16wrapped_functionINS0_4lessIvEEbEEEE10hipError_tPvRmT1_T2_T3_mmT4_T5_P12ihipStream_tbEUlRKjE_EESN_SR_SS_mST_SW_bEUlT_E_NS1_11comp_targetILNS1_3genE9ELNS1_11target_archE1100ELNS1_3gpuE3ELNS1_3repE0EEENS1_30default_config_static_selectorELNS0_4arch9wavefront6targetE1EEEvSQ_,comdat
.Lfunc_end246:
	.size	_ZN7rocprim17ROCPRIM_400000_NS6detail17trampoline_kernelINS0_14default_configENS1_27upper_bound_config_selectorIjjEEZNS1_14transform_implILb0ES3_S5_N6thrust23THRUST_200600_302600_NS17counting_iteratorIjNS8_11use_defaultESA_SA_EENS8_6detail15normal_iteratorINS8_10device_ptrIjEEEEZNS1_13binary_searchIS3_S5_SG_SB_SG_NS1_21upper_bound_search_opENSC_16wrapped_functionINS0_4lessIvEEbEEEE10hipError_tPvRmT1_T2_T3_mmT4_T5_P12ihipStream_tbEUlRKjE_EESN_SR_SS_mST_SW_bEUlT_E_NS1_11comp_targetILNS1_3genE9ELNS1_11target_archE1100ELNS1_3gpuE3ELNS1_3repE0EEENS1_30default_config_static_selectorELNS0_4arch9wavefront6targetE1EEEvSQ_, .Lfunc_end246-_ZN7rocprim17ROCPRIM_400000_NS6detail17trampoline_kernelINS0_14default_configENS1_27upper_bound_config_selectorIjjEEZNS1_14transform_implILb0ES3_S5_N6thrust23THRUST_200600_302600_NS17counting_iteratorIjNS8_11use_defaultESA_SA_EENS8_6detail15normal_iteratorINS8_10device_ptrIjEEEEZNS1_13binary_searchIS3_S5_SG_SB_SG_NS1_21upper_bound_search_opENSC_16wrapped_functionINS0_4lessIvEEbEEEE10hipError_tPvRmT1_T2_T3_mmT4_T5_P12ihipStream_tbEUlRKjE_EESN_SR_SS_mST_SW_bEUlT_E_NS1_11comp_targetILNS1_3genE9ELNS1_11target_archE1100ELNS1_3gpuE3ELNS1_3repE0EEENS1_30default_config_static_selectorELNS0_4arch9wavefront6targetE1EEEvSQ_
                                        ; -- End function
	.section	.AMDGPU.csdata,"",@progbits
; Kernel info:
; codeLenInByte = 0
; NumSgprs: 4
; NumVgprs: 0
; NumAgprs: 0
; TotalNumVgprs: 0
; ScratchSize: 0
; MemoryBound: 0
; FloatMode: 240
; IeeeMode: 1
; LDSByteSize: 0 bytes/workgroup (compile time only)
; SGPRBlocks: 0
; VGPRBlocks: 0
; NumSGPRsForWavesPerEU: 4
; NumVGPRsForWavesPerEU: 1
; AccumOffset: 4
; Occupancy: 8
; WaveLimiterHint : 0
; COMPUTE_PGM_RSRC2:SCRATCH_EN: 0
; COMPUTE_PGM_RSRC2:USER_SGPR: 6
; COMPUTE_PGM_RSRC2:TRAP_HANDLER: 0
; COMPUTE_PGM_RSRC2:TGID_X_EN: 1
; COMPUTE_PGM_RSRC2:TGID_Y_EN: 0
; COMPUTE_PGM_RSRC2:TGID_Z_EN: 0
; COMPUTE_PGM_RSRC2:TIDIG_COMP_CNT: 0
; COMPUTE_PGM_RSRC3_GFX90A:ACCUM_OFFSET: 0
; COMPUTE_PGM_RSRC3_GFX90A:TG_SPLIT: 0
	.section	.text._ZN7rocprim17ROCPRIM_400000_NS6detail17trampoline_kernelINS0_14default_configENS1_27upper_bound_config_selectorIjjEEZNS1_14transform_implILb0ES3_S5_N6thrust23THRUST_200600_302600_NS17counting_iteratorIjNS8_11use_defaultESA_SA_EENS8_6detail15normal_iteratorINS8_10device_ptrIjEEEEZNS1_13binary_searchIS3_S5_SG_SB_SG_NS1_21upper_bound_search_opENSC_16wrapped_functionINS0_4lessIvEEbEEEE10hipError_tPvRmT1_T2_T3_mmT4_T5_P12ihipStream_tbEUlRKjE_EESN_SR_SS_mST_SW_bEUlT_E_NS1_11comp_targetILNS1_3genE8ELNS1_11target_archE1030ELNS1_3gpuE2ELNS1_3repE0EEENS1_30default_config_static_selectorELNS0_4arch9wavefront6targetE1EEEvSQ_,"axG",@progbits,_ZN7rocprim17ROCPRIM_400000_NS6detail17trampoline_kernelINS0_14default_configENS1_27upper_bound_config_selectorIjjEEZNS1_14transform_implILb0ES3_S5_N6thrust23THRUST_200600_302600_NS17counting_iteratorIjNS8_11use_defaultESA_SA_EENS8_6detail15normal_iteratorINS8_10device_ptrIjEEEEZNS1_13binary_searchIS3_S5_SG_SB_SG_NS1_21upper_bound_search_opENSC_16wrapped_functionINS0_4lessIvEEbEEEE10hipError_tPvRmT1_T2_T3_mmT4_T5_P12ihipStream_tbEUlRKjE_EESN_SR_SS_mST_SW_bEUlT_E_NS1_11comp_targetILNS1_3genE8ELNS1_11target_archE1030ELNS1_3gpuE2ELNS1_3repE0EEENS1_30default_config_static_selectorELNS0_4arch9wavefront6targetE1EEEvSQ_,comdat
	.protected	_ZN7rocprim17ROCPRIM_400000_NS6detail17trampoline_kernelINS0_14default_configENS1_27upper_bound_config_selectorIjjEEZNS1_14transform_implILb0ES3_S5_N6thrust23THRUST_200600_302600_NS17counting_iteratorIjNS8_11use_defaultESA_SA_EENS8_6detail15normal_iteratorINS8_10device_ptrIjEEEEZNS1_13binary_searchIS3_S5_SG_SB_SG_NS1_21upper_bound_search_opENSC_16wrapped_functionINS0_4lessIvEEbEEEE10hipError_tPvRmT1_T2_T3_mmT4_T5_P12ihipStream_tbEUlRKjE_EESN_SR_SS_mST_SW_bEUlT_E_NS1_11comp_targetILNS1_3genE8ELNS1_11target_archE1030ELNS1_3gpuE2ELNS1_3repE0EEENS1_30default_config_static_selectorELNS0_4arch9wavefront6targetE1EEEvSQ_ ; -- Begin function _ZN7rocprim17ROCPRIM_400000_NS6detail17trampoline_kernelINS0_14default_configENS1_27upper_bound_config_selectorIjjEEZNS1_14transform_implILb0ES3_S5_N6thrust23THRUST_200600_302600_NS17counting_iteratorIjNS8_11use_defaultESA_SA_EENS8_6detail15normal_iteratorINS8_10device_ptrIjEEEEZNS1_13binary_searchIS3_S5_SG_SB_SG_NS1_21upper_bound_search_opENSC_16wrapped_functionINS0_4lessIvEEbEEEE10hipError_tPvRmT1_T2_T3_mmT4_T5_P12ihipStream_tbEUlRKjE_EESN_SR_SS_mST_SW_bEUlT_E_NS1_11comp_targetILNS1_3genE8ELNS1_11target_archE1030ELNS1_3gpuE2ELNS1_3repE0EEENS1_30default_config_static_selectorELNS0_4arch9wavefront6targetE1EEEvSQ_
	.globl	_ZN7rocprim17ROCPRIM_400000_NS6detail17trampoline_kernelINS0_14default_configENS1_27upper_bound_config_selectorIjjEEZNS1_14transform_implILb0ES3_S5_N6thrust23THRUST_200600_302600_NS17counting_iteratorIjNS8_11use_defaultESA_SA_EENS8_6detail15normal_iteratorINS8_10device_ptrIjEEEEZNS1_13binary_searchIS3_S5_SG_SB_SG_NS1_21upper_bound_search_opENSC_16wrapped_functionINS0_4lessIvEEbEEEE10hipError_tPvRmT1_T2_T3_mmT4_T5_P12ihipStream_tbEUlRKjE_EESN_SR_SS_mST_SW_bEUlT_E_NS1_11comp_targetILNS1_3genE8ELNS1_11target_archE1030ELNS1_3gpuE2ELNS1_3repE0EEENS1_30default_config_static_selectorELNS0_4arch9wavefront6targetE1EEEvSQ_
	.p2align	8
	.type	_ZN7rocprim17ROCPRIM_400000_NS6detail17trampoline_kernelINS0_14default_configENS1_27upper_bound_config_selectorIjjEEZNS1_14transform_implILb0ES3_S5_N6thrust23THRUST_200600_302600_NS17counting_iteratorIjNS8_11use_defaultESA_SA_EENS8_6detail15normal_iteratorINS8_10device_ptrIjEEEEZNS1_13binary_searchIS3_S5_SG_SB_SG_NS1_21upper_bound_search_opENSC_16wrapped_functionINS0_4lessIvEEbEEEE10hipError_tPvRmT1_T2_T3_mmT4_T5_P12ihipStream_tbEUlRKjE_EESN_SR_SS_mST_SW_bEUlT_E_NS1_11comp_targetILNS1_3genE8ELNS1_11target_archE1030ELNS1_3gpuE2ELNS1_3repE0EEENS1_30default_config_static_selectorELNS0_4arch9wavefront6targetE1EEEvSQ_,@function
_ZN7rocprim17ROCPRIM_400000_NS6detail17trampoline_kernelINS0_14default_configENS1_27upper_bound_config_selectorIjjEEZNS1_14transform_implILb0ES3_S5_N6thrust23THRUST_200600_302600_NS17counting_iteratorIjNS8_11use_defaultESA_SA_EENS8_6detail15normal_iteratorINS8_10device_ptrIjEEEEZNS1_13binary_searchIS3_S5_SG_SB_SG_NS1_21upper_bound_search_opENSC_16wrapped_functionINS0_4lessIvEEbEEEE10hipError_tPvRmT1_T2_T3_mmT4_T5_P12ihipStream_tbEUlRKjE_EESN_SR_SS_mST_SW_bEUlT_E_NS1_11comp_targetILNS1_3genE8ELNS1_11target_archE1030ELNS1_3gpuE2ELNS1_3repE0EEENS1_30default_config_static_selectorELNS0_4arch9wavefront6targetE1EEEvSQ_: ; @_ZN7rocprim17ROCPRIM_400000_NS6detail17trampoline_kernelINS0_14default_configENS1_27upper_bound_config_selectorIjjEEZNS1_14transform_implILb0ES3_S5_N6thrust23THRUST_200600_302600_NS17counting_iteratorIjNS8_11use_defaultESA_SA_EENS8_6detail15normal_iteratorINS8_10device_ptrIjEEEEZNS1_13binary_searchIS3_S5_SG_SB_SG_NS1_21upper_bound_search_opENSC_16wrapped_functionINS0_4lessIvEEbEEEE10hipError_tPvRmT1_T2_T3_mmT4_T5_P12ihipStream_tbEUlRKjE_EESN_SR_SS_mST_SW_bEUlT_E_NS1_11comp_targetILNS1_3genE8ELNS1_11target_archE1030ELNS1_3gpuE2ELNS1_3repE0EEENS1_30default_config_static_selectorELNS0_4arch9wavefront6targetE1EEEvSQ_
; %bb.0:
	.section	.rodata,"a",@progbits
	.p2align	6, 0x0
	.amdhsa_kernel _ZN7rocprim17ROCPRIM_400000_NS6detail17trampoline_kernelINS0_14default_configENS1_27upper_bound_config_selectorIjjEEZNS1_14transform_implILb0ES3_S5_N6thrust23THRUST_200600_302600_NS17counting_iteratorIjNS8_11use_defaultESA_SA_EENS8_6detail15normal_iteratorINS8_10device_ptrIjEEEEZNS1_13binary_searchIS3_S5_SG_SB_SG_NS1_21upper_bound_search_opENSC_16wrapped_functionINS0_4lessIvEEbEEEE10hipError_tPvRmT1_T2_T3_mmT4_T5_P12ihipStream_tbEUlRKjE_EESN_SR_SS_mST_SW_bEUlT_E_NS1_11comp_targetILNS1_3genE8ELNS1_11target_archE1030ELNS1_3gpuE2ELNS1_3repE0EEENS1_30default_config_static_selectorELNS0_4arch9wavefront6targetE1EEEvSQ_
		.amdhsa_group_segment_fixed_size 0
		.amdhsa_private_segment_fixed_size 0
		.amdhsa_kernarg_size 56
		.amdhsa_user_sgpr_count 6
		.amdhsa_user_sgpr_private_segment_buffer 1
		.amdhsa_user_sgpr_dispatch_ptr 0
		.amdhsa_user_sgpr_queue_ptr 0
		.amdhsa_user_sgpr_kernarg_segment_ptr 1
		.amdhsa_user_sgpr_dispatch_id 0
		.amdhsa_user_sgpr_flat_scratch_init 0
		.amdhsa_user_sgpr_kernarg_preload_length 0
		.amdhsa_user_sgpr_kernarg_preload_offset 0
		.amdhsa_user_sgpr_private_segment_size 0
		.amdhsa_uses_dynamic_stack 0
		.amdhsa_system_sgpr_private_segment_wavefront_offset 0
		.amdhsa_system_sgpr_workgroup_id_x 1
		.amdhsa_system_sgpr_workgroup_id_y 0
		.amdhsa_system_sgpr_workgroup_id_z 0
		.amdhsa_system_sgpr_workgroup_info 0
		.amdhsa_system_vgpr_workitem_id 0
		.amdhsa_next_free_vgpr 1
		.amdhsa_next_free_sgpr 0
		.amdhsa_accum_offset 4
		.amdhsa_reserve_vcc 0
		.amdhsa_reserve_flat_scratch 0
		.amdhsa_float_round_mode_32 0
		.amdhsa_float_round_mode_16_64 0
		.amdhsa_float_denorm_mode_32 3
		.amdhsa_float_denorm_mode_16_64 3
		.amdhsa_dx10_clamp 1
		.amdhsa_ieee_mode 1
		.amdhsa_fp16_overflow 0
		.amdhsa_tg_split 0
		.amdhsa_exception_fp_ieee_invalid_op 0
		.amdhsa_exception_fp_denorm_src 0
		.amdhsa_exception_fp_ieee_div_zero 0
		.amdhsa_exception_fp_ieee_overflow 0
		.amdhsa_exception_fp_ieee_underflow 0
		.amdhsa_exception_fp_ieee_inexact 0
		.amdhsa_exception_int_div_zero 0
	.end_amdhsa_kernel
	.section	.text._ZN7rocprim17ROCPRIM_400000_NS6detail17trampoline_kernelINS0_14default_configENS1_27upper_bound_config_selectorIjjEEZNS1_14transform_implILb0ES3_S5_N6thrust23THRUST_200600_302600_NS17counting_iteratorIjNS8_11use_defaultESA_SA_EENS8_6detail15normal_iteratorINS8_10device_ptrIjEEEEZNS1_13binary_searchIS3_S5_SG_SB_SG_NS1_21upper_bound_search_opENSC_16wrapped_functionINS0_4lessIvEEbEEEE10hipError_tPvRmT1_T2_T3_mmT4_T5_P12ihipStream_tbEUlRKjE_EESN_SR_SS_mST_SW_bEUlT_E_NS1_11comp_targetILNS1_3genE8ELNS1_11target_archE1030ELNS1_3gpuE2ELNS1_3repE0EEENS1_30default_config_static_selectorELNS0_4arch9wavefront6targetE1EEEvSQ_,"axG",@progbits,_ZN7rocprim17ROCPRIM_400000_NS6detail17trampoline_kernelINS0_14default_configENS1_27upper_bound_config_selectorIjjEEZNS1_14transform_implILb0ES3_S5_N6thrust23THRUST_200600_302600_NS17counting_iteratorIjNS8_11use_defaultESA_SA_EENS8_6detail15normal_iteratorINS8_10device_ptrIjEEEEZNS1_13binary_searchIS3_S5_SG_SB_SG_NS1_21upper_bound_search_opENSC_16wrapped_functionINS0_4lessIvEEbEEEE10hipError_tPvRmT1_T2_T3_mmT4_T5_P12ihipStream_tbEUlRKjE_EESN_SR_SS_mST_SW_bEUlT_E_NS1_11comp_targetILNS1_3genE8ELNS1_11target_archE1030ELNS1_3gpuE2ELNS1_3repE0EEENS1_30default_config_static_selectorELNS0_4arch9wavefront6targetE1EEEvSQ_,comdat
.Lfunc_end247:
	.size	_ZN7rocprim17ROCPRIM_400000_NS6detail17trampoline_kernelINS0_14default_configENS1_27upper_bound_config_selectorIjjEEZNS1_14transform_implILb0ES3_S5_N6thrust23THRUST_200600_302600_NS17counting_iteratorIjNS8_11use_defaultESA_SA_EENS8_6detail15normal_iteratorINS8_10device_ptrIjEEEEZNS1_13binary_searchIS3_S5_SG_SB_SG_NS1_21upper_bound_search_opENSC_16wrapped_functionINS0_4lessIvEEbEEEE10hipError_tPvRmT1_T2_T3_mmT4_T5_P12ihipStream_tbEUlRKjE_EESN_SR_SS_mST_SW_bEUlT_E_NS1_11comp_targetILNS1_3genE8ELNS1_11target_archE1030ELNS1_3gpuE2ELNS1_3repE0EEENS1_30default_config_static_selectorELNS0_4arch9wavefront6targetE1EEEvSQ_, .Lfunc_end247-_ZN7rocprim17ROCPRIM_400000_NS6detail17trampoline_kernelINS0_14default_configENS1_27upper_bound_config_selectorIjjEEZNS1_14transform_implILb0ES3_S5_N6thrust23THRUST_200600_302600_NS17counting_iteratorIjNS8_11use_defaultESA_SA_EENS8_6detail15normal_iteratorINS8_10device_ptrIjEEEEZNS1_13binary_searchIS3_S5_SG_SB_SG_NS1_21upper_bound_search_opENSC_16wrapped_functionINS0_4lessIvEEbEEEE10hipError_tPvRmT1_T2_T3_mmT4_T5_P12ihipStream_tbEUlRKjE_EESN_SR_SS_mST_SW_bEUlT_E_NS1_11comp_targetILNS1_3genE8ELNS1_11target_archE1030ELNS1_3gpuE2ELNS1_3repE0EEENS1_30default_config_static_selectorELNS0_4arch9wavefront6targetE1EEEvSQ_
                                        ; -- End function
	.section	.AMDGPU.csdata,"",@progbits
; Kernel info:
; codeLenInByte = 0
; NumSgprs: 4
; NumVgprs: 0
; NumAgprs: 0
; TotalNumVgprs: 0
; ScratchSize: 0
; MemoryBound: 0
; FloatMode: 240
; IeeeMode: 1
; LDSByteSize: 0 bytes/workgroup (compile time only)
; SGPRBlocks: 0
; VGPRBlocks: 0
; NumSGPRsForWavesPerEU: 4
; NumVGPRsForWavesPerEU: 1
; AccumOffset: 4
; Occupancy: 8
; WaveLimiterHint : 0
; COMPUTE_PGM_RSRC2:SCRATCH_EN: 0
; COMPUTE_PGM_RSRC2:USER_SGPR: 6
; COMPUTE_PGM_RSRC2:TRAP_HANDLER: 0
; COMPUTE_PGM_RSRC2:TGID_X_EN: 1
; COMPUTE_PGM_RSRC2:TGID_Y_EN: 0
; COMPUTE_PGM_RSRC2:TGID_Z_EN: 0
; COMPUTE_PGM_RSRC2:TIDIG_COMP_CNT: 0
; COMPUTE_PGM_RSRC3_GFX90A:ACCUM_OFFSET: 0
; COMPUTE_PGM_RSRC3_GFX90A:TG_SPLIT: 0
	.section	.text._ZN6thrust23THRUST_200600_302600_NS11hip_rocprim14__parallel_for6kernelILj256ENS1_20__uninitialized_copy7functorINS0_10device_ptrINS0_5tupleIffNS0_9null_typeES8_S8_S8_S8_S8_S8_S8_EEEENS0_7pointerIS9_NS1_3tagENS0_11use_defaultESD_EEEEmLj1EEEvT0_T1_SH_,"axG",@progbits,_ZN6thrust23THRUST_200600_302600_NS11hip_rocprim14__parallel_for6kernelILj256ENS1_20__uninitialized_copy7functorINS0_10device_ptrINS0_5tupleIffNS0_9null_typeES8_S8_S8_S8_S8_S8_S8_EEEENS0_7pointerIS9_NS1_3tagENS0_11use_defaultESD_EEEEmLj1EEEvT0_T1_SH_,comdat
	.protected	_ZN6thrust23THRUST_200600_302600_NS11hip_rocprim14__parallel_for6kernelILj256ENS1_20__uninitialized_copy7functorINS0_10device_ptrINS0_5tupleIffNS0_9null_typeES8_S8_S8_S8_S8_S8_S8_EEEENS0_7pointerIS9_NS1_3tagENS0_11use_defaultESD_EEEEmLj1EEEvT0_T1_SH_ ; -- Begin function _ZN6thrust23THRUST_200600_302600_NS11hip_rocprim14__parallel_for6kernelILj256ENS1_20__uninitialized_copy7functorINS0_10device_ptrINS0_5tupleIffNS0_9null_typeES8_S8_S8_S8_S8_S8_S8_EEEENS0_7pointerIS9_NS1_3tagENS0_11use_defaultESD_EEEEmLj1EEEvT0_T1_SH_
	.globl	_ZN6thrust23THRUST_200600_302600_NS11hip_rocprim14__parallel_for6kernelILj256ENS1_20__uninitialized_copy7functorINS0_10device_ptrINS0_5tupleIffNS0_9null_typeES8_S8_S8_S8_S8_S8_S8_EEEENS0_7pointerIS9_NS1_3tagENS0_11use_defaultESD_EEEEmLj1EEEvT0_T1_SH_
	.p2align	8
	.type	_ZN6thrust23THRUST_200600_302600_NS11hip_rocprim14__parallel_for6kernelILj256ENS1_20__uninitialized_copy7functorINS0_10device_ptrINS0_5tupleIffNS0_9null_typeES8_S8_S8_S8_S8_S8_S8_EEEENS0_7pointerIS9_NS1_3tagENS0_11use_defaultESD_EEEEmLj1EEEvT0_T1_SH_,@function
_ZN6thrust23THRUST_200600_302600_NS11hip_rocprim14__parallel_for6kernelILj256ENS1_20__uninitialized_copy7functorINS0_10device_ptrINS0_5tupleIffNS0_9null_typeES8_S8_S8_S8_S8_S8_S8_EEEENS0_7pointerIS9_NS1_3tagENS0_11use_defaultESD_EEEEmLj1EEEvT0_T1_SH_: ; @_ZN6thrust23THRUST_200600_302600_NS11hip_rocprim14__parallel_for6kernelILj256ENS1_20__uninitialized_copy7functorINS0_10device_ptrINS0_5tupleIffNS0_9null_typeES8_S8_S8_S8_S8_S8_S8_EEEENS0_7pointerIS9_NS1_3tagENS0_11use_defaultESD_EEEEmLj1EEEvT0_T1_SH_
; %bb.0:
	s_load_dwordx8 s[8:15], s[4:5], 0x0
	s_lshl_b32 s0, s6, 8
	v_mov_b32_e32 v2, 0x100
	v_mov_b32_e32 v3, 0
	s_waitcnt lgkmcnt(0)
	s_add_u32 s6, s0, s14
	s_addc_u32 s7, 0, s15
	s_sub_u32 s0, s12, s6
	s_subb_u32 s1, s13, s7
	v_cmp_lt_u64_e32 vcc, s[0:1], v[2:3]
	s_cbranch_vccz .LBB248_4
; %bb.1:
	v_cmp_gt_u32_e32 vcc, s0, v0
	s_mov_b64 s[2:3], 0
	s_mov_b64 s[0:1], 0
                                        ; implicit-def: $vgpr2_vgpr3
                                        ; implicit-def: $vgpr4_vgpr5
	s_and_saveexec_b64 s[4:5], vcc
	s_xor_b64 s[4:5], exec, s[4:5]
; %bb.2:
	v_mov_b32_e32 v1, s7
	v_add_co_u32_e32 v2, vcc, s6, v0
	v_addc_co_u32_e32 v3, vcc, 0, v1, vcc
	v_lshlrev_b64 v[4:5], 3, v[2:3]
	v_mov_b32_e32 v1, s11
	v_add_co_u32_e32 v2, vcc, s10, v4
	v_addc_co_u32_e32 v3, vcc, v1, v5, vcc
	v_mov_b32_e32 v1, s9
	v_add_co_u32_e32 v4, vcc, s8, v4
	s_mov_b64 s[0:1], exec
	v_addc_co_u32_e32 v5, vcc, v1, v5, vcc
; %bb.3:
	s_or_b64 exec, exec, s[4:5]
	s_and_b64 vcc, exec, s[2:3]
	s_cbranch_vccnz .LBB248_5
	s_branch .LBB248_6
.LBB248_4:
	s_mov_b64 s[0:1], 0
                                        ; implicit-def: $vgpr2_vgpr3
                                        ; implicit-def: $vgpr4_vgpr5
	s_cbranch_execz .LBB248_6
.LBB248_5:
	v_mov_b32_e32 v1, s7
	v_add_co_u32_e32 v0, vcc, s6, v0
	v_addc_co_u32_e32 v1, vcc, 0, v1, vcc
	v_lshlrev_b64 v[0:1], 3, v[0:1]
	v_mov_b32_e32 v2, s9
	v_add_co_u32_e32 v4, vcc, s8, v0
	v_addc_co_u32_e32 v5, vcc, v2, v1, vcc
	v_mov_b32_e32 v3, s11
	v_add_co_u32_e32 v2, vcc, s10, v0
	v_addc_co_u32_e32 v3, vcc, v3, v1, vcc
	s_or_b64 s[0:1], s[0:1], exec
.LBB248_6:
	s_and_saveexec_b64 s[2:3], s[0:1]
	s_cbranch_execnz .LBB248_8
; %bb.7:
	s_endpgm
.LBB248_8:
	flat_load_dwordx2 v[0:1], v[4:5]
	s_waitcnt vmcnt(0) lgkmcnt(0)
	flat_store_dwordx2 v[2:3], v[0:1]
	s_endpgm
	.section	.rodata,"a",@progbits
	.p2align	6, 0x0
	.amdhsa_kernel _ZN6thrust23THRUST_200600_302600_NS11hip_rocprim14__parallel_for6kernelILj256ENS1_20__uninitialized_copy7functorINS0_10device_ptrINS0_5tupleIffNS0_9null_typeES8_S8_S8_S8_S8_S8_S8_EEEENS0_7pointerIS9_NS1_3tagENS0_11use_defaultESD_EEEEmLj1EEEvT0_T1_SH_
		.amdhsa_group_segment_fixed_size 0
		.amdhsa_private_segment_fixed_size 0
		.amdhsa_kernarg_size 32
		.amdhsa_user_sgpr_count 6
		.amdhsa_user_sgpr_private_segment_buffer 1
		.amdhsa_user_sgpr_dispatch_ptr 0
		.amdhsa_user_sgpr_queue_ptr 0
		.amdhsa_user_sgpr_kernarg_segment_ptr 1
		.amdhsa_user_sgpr_dispatch_id 0
		.amdhsa_user_sgpr_flat_scratch_init 0
		.amdhsa_user_sgpr_kernarg_preload_length 0
		.amdhsa_user_sgpr_kernarg_preload_offset 0
		.amdhsa_user_sgpr_private_segment_size 0
		.amdhsa_uses_dynamic_stack 0
		.amdhsa_system_sgpr_private_segment_wavefront_offset 0
		.amdhsa_system_sgpr_workgroup_id_x 1
		.amdhsa_system_sgpr_workgroup_id_y 0
		.amdhsa_system_sgpr_workgroup_id_z 0
		.amdhsa_system_sgpr_workgroup_info 0
		.amdhsa_system_vgpr_workitem_id 0
		.amdhsa_next_free_vgpr 6
		.amdhsa_next_free_sgpr 16
		.amdhsa_accum_offset 8
		.amdhsa_reserve_vcc 1
		.amdhsa_reserve_flat_scratch 0
		.amdhsa_float_round_mode_32 0
		.amdhsa_float_round_mode_16_64 0
		.amdhsa_float_denorm_mode_32 3
		.amdhsa_float_denorm_mode_16_64 3
		.amdhsa_dx10_clamp 1
		.amdhsa_ieee_mode 1
		.amdhsa_fp16_overflow 0
		.amdhsa_tg_split 0
		.amdhsa_exception_fp_ieee_invalid_op 0
		.amdhsa_exception_fp_denorm_src 0
		.amdhsa_exception_fp_ieee_div_zero 0
		.amdhsa_exception_fp_ieee_overflow 0
		.amdhsa_exception_fp_ieee_underflow 0
		.amdhsa_exception_fp_ieee_inexact 0
		.amdhsa_exception_int_div_zero 0
	.end_amdhsa_kernel
	.section	.text._ZN6thrust23THRUST_200600_302600_NS11hip_rocprim14__parallel_for6kernelILj256ENS1_20__uninitialized_copy7functorINS0_10device_ptrINS0_5tupleIffNS0_9null_typeES8_S8_S8_S8_S8_S8_S8_EEEENS0_7pointerIS9_NS1_3tagENS0_11use_defaultESD_EEEEmLj1EEEvT0_T1_SH_,"axG",@progbits,_ZN6thrust23THRUST_200600_302600_NS11hip_rocprim14__parallel_for6kernelILj256ENS1_20__uninitialized_copy7functorINS0_10device_ptrINS0_5tupleIffNS0_9null_typeES8_S8_S8_S8_S8_S8_S8_EEEENS0_7pointerIS9_NS1_3tagENS0_11use_defaultESD_EEEEmLj1EEEvT0_T1_SH_,comdat
.Lfunc_end248:
	.size	_ZN6thrust23THRUST_200600_302600_NS11hip_rocprim14__parallel_for6kernelILj256ENS1_20__uninitialized_copy7functorINS0_10device_ptrINS0_5tupleIffNS0_9null_typeES8_S8_S8_S8_S8_S8_S8_EEEENS0_7pointerIS9_NS1_3tagENS0_11use_defaultESD_EEEEmLj1EEEvT0_T1_SH_, .Lfunc_end248-_ZN6thrust23THRUST_200600_302600_NS11hip_rocprim14__parallel_for6kernelILj256ENS1_20__uninitialized_copy7functorINS0_10device_ptrINS0_5tupleIffNS0_9null_typeES8_S8_S8_S8_S8_S8_S8_EEEENS0_7pointerIS9_NS1_3tagENS0_11use_defaultESD_EEEEmLj1EEEvT0_T1_SH_
                                        ; -- End function
	.section	.AMDGPU.csdata,"",@progbits
; Kernel info:
; codeLenInByte = 228
; NumSgprs: 20
; NumVgprs: 6
; NumAgprs: 0
; TotalNumVgprs: 6
; ScratchSize: 0
; MemoryBound: 1
; FloatMode: 240
; IeeeMode: 1
; LDSByteSize: 0 bytes/workgroup (compile time only)
; SGPRBlocks: 2
; VGPRBlocks: 0
; NumSGPRsForWavesPerEU: 20
; NumVGPRsForWavesPerEU: 6
; AccumOffset: 8
; Occupancy: 8
; WaveLimiterHint : 0
; COMPUTE_PGM_RSRC2:SCRATCH_EN: 0
; COMPUTE_PGM_RSRC2:USER_SGPR: 6
; COMPUTE_PGM_RSRC2:TRAP_HANDLER: 0
; COMPUTE_PGM_RSRC2:TGID_X_EN: 1
; COMPUTE_PGM_RSRC2:TGID_Y_EN: 0
; COMPUTE_PGM_RSRC2:TGID_Z_EN: 0
; COMPUTE_PGM_RSRC2:TIDIG_COMP_CNT: 0
; COMPUTE_PGM_RSRC3_GFX90A:ACCUM_OFFSET: 1
; COMPUTE_PGM_RSRC3_GFX90A:TG_SPLIT: 0
	.text
	.p2alignl 6, 3212836864
	.fill 256, 4, 3212836864
	.protected	_ZN7rocprim17ROCPRIM_400000_NS16block_radix_sortIjLj256ELj4EN6thrust23THRUST_200600_302600_NS5tupleIffNS3_9null_typeES5_S5_S5_S5_S5_S5_S5_EELj1ELj1ELj0ELNS0_26block_radix_rank_algorithmE1ELNS0_18block_padding_hintE2ELNS0_4arch9wavefront6targetE1EE19radix_bits_per_passE ; @_ZN7rocprim17ROCPRIM_400000_NS16block_radix_sortIjLj256ELj4EN6thrust23THRUST_200600_302600_NS5tupleIffNS3_9null_typeES5_S5_S5_S5_S5_S5_S5_EELj1ELj1ELj0ELNS0_26block_radix_rank_algorithmE1ELNS0_18block_padding_hintE2ELNS0_4arch9wavefront6targetE1EE19radix_bits_per_passE
	.type	_ZN7rocprim17ROCPRIM_400000_NS16block_radix_sortIjLj256ELj4EN6thrust23THRUST_200600_302600_NS5tupleIffNS3_9null_typeES5_S5_S5_S5_S5_S5_S5_EELj1ELj1ELj0ELNS0_26block_radix_rank_algorithmE1ELNS0_18block_padding_hintE2ELNS0_4arch9wavefront6targetE1EE19radix_bits_per_passE,@object
	.section	.rodata._ZN7rocprim17ROCPRIM_400000_NS16block_radix_sortIjLj256ELj4EN6thrust23THRUST_200600_302600_NS5tupleIffNS3_9null_typeES5_S5_S5_S5_S5_S5_S5_EELj1ELj1ELj0ELNS0_26block_radix_rank_algorithmE1ELNS0_18block_padding_hintE2ELNS0_4arch9wavefront6targetE1EE19radix_bits_per_passE,"aG",@progbits,_ZN7rocprim17ROCPRIM_400000_NS16block_radix_sortIjLj256ELj4EN6thrust23THRUST_200600_302600_NS5tupleIffNS3_9null_typeES5_S5_S5_S5_S5_S5_S5_EELj1ELj1ELj0ELNS0_26block_radix_rank_algorithmE1ELNS0_18block_padding_hintE2ELNS0_4arch9wavefront6targetE1EE19radix_bits_per_passE,comdat
	.weak	_ZN7rocprim17ROCPRIM_400000_NS16block_radix_sortIjLj256ELj4EN6thrust23THRUST_200600_302600_NS5tupleIffNS3_9null_typeES5_S5_S5_S5_S5_S5_S5_EELj1ELj1ELj0ELNS0_26block_radix_rank_algorithmE1ELNS0_18block_padding_hintE2ELNS0_4arch9wavefront6targetE1EE19radix_bits_per_passE
	.p2align	2, 0x0
_ZN7rocprim17ROCPRIM_400000_NS16block_radix_sortIjLj256ELj4EN6thrust23THRUST_200600_302600_NS5tupleIffNS3_9null_typeES5_S5_S5_S5_S5_S5_S5_EELj1ELj1ELj0ELNS0_26block_radix_rank_algorithmE1ELNS0_18block_padding_hintE2ELNS0_4arch9wavefront6targetE1EE19radix_bits_per_passE:
	.long	8                               ; 0x8
	.size	_ZN7rocprim17ROCPRIM_400000_NS16block_radix_sortIjLj256ELj4EN6thrust23THRUST_200600_302600_NS5tupleIffNS3_9null_typeES5_S5_S5_S5_S5_S5_S5_EELj1ELj1ELj0ELNS0_26block_radix_rank_algorithmE1ELNS0_18block_padding_hintE2ELNS0_4arch9wavefront6targetE1EE19radix_bits_per_passE, 4

	.type	__hip_cuid_af1f42be73b2bffa,@object ; @__hip_cuid_af1f42be73b2bffa
	.section	.bss,"aw",@nobits
	.globl	__hip_cuid_af1f42be73b2bffa
__hip_cuid_af1f42be73b2bffa:
	.byte	0                               ; 0x0
	.size	__hip_cuid_af1f42be73b2bffa, 1

	.ident	"AMD clang version 19.0.0git (https://github.com/RadeonOpenCompute/llvm-project roc-6.4.0 25133 c7fe45cf4b819c5991fe208aaa96edf142730f1d)"
	.section	".note.GNU-stack","",@progbits
	.addrsig
	.addrsig_sym __hip_cuid_af1f42be73b2bffa
	.amdgpu_metadata
---
amdhsa.kernels:
  - .agpr_count:     0
    .args:
      - .offset:         0
        .size:           16
        .value_kind:     by_value
      - .offset:         16
        .size:           8
        .value_kind:     by_value
      - .offset:         24
        .size:           8
        .value_kind:     by_value
    .group_segment_fixed_size: 0
    .kernarg_segment_align: 8
    .kernarg_segment_size: 32
    .language:       OpenCL C
    .language_version:
      - 2
      - 0
    .max_flat_workgroup_size: 256
    .name:           _ZN6thrust23THRUST_200600_302600_NS11hip_rocprim14__parallel_for6kernelILj256ENS1_10for_each_fINS0_7pointerINS0_5tupleIffNS0_9null_typeES7_S7_S7_S7_S7_S7_S7_EENS1_3tagENS0_11use_defaultESA_EENS0_6detail16wrapped_functionINSC_23allocator_traits_detail24construct1_via_allocatorINSC_18no_throw_allocatorINSC_19temporary_allocatorIS8_S9_EEEEEEvEEEEmLj1EEEvT0_T1_SO_
    .private_segment_fixed_size: 0
    .sgpr_count:     16
    .sgpr_spill_count: 0
    .symbol:         _ZN6thrust23THRUST_200600_302600_NS11hip_rocprim14__parallel_for6kernelILj256ENS1_10for_each_fINS0_7pointerINS0_5tupleIffNS0_9null_typeES7_S7_S7_S7_S7_S7_S7_EENS1_3tagENS0_11use_defaultESA_EENS0_6detail16wrapped_functionINSC_23allocator_traits_detail24construct1_via_allocatorINSC_18no_throw_allocatorINSC_19temporary_allocatorIS8_S9_EEEEEEvEEEEmLj1EEEvT0_T1_SO_.kd
    .uniform_work_group_size: 1
    .uses_dynamic_stack: false
    .vgpr_count:     4
    .vgpr_spill_count: 0
    .wavefront_size: 64
  - .agpr_count:     0
    .args:
      - .offset:         0
        .size:           16
        .value_kind:     by_value
      - .offset:         16
        .size:           8
        .value_kind:     by_value
      - .offset:         24
        .size:           8
        .value_kind:     by_value
    .group_segment_fixed_size: 0
    .kernarg_segment_align: 8
    .kernarg_segment_size: 32
    .language:       OpenCL C
    .language_version:
      - 2
      - 0
    .max_flat_workgroup_size: 256
    .name:           _ZN6thrust23THRUST_200600_302600_NS11hip_rocprim14__parallel_for6kernelILj256ENS1_10for_each_fINS0_7pointerINS0_5tupleIffNS0_9null_typeES7_S7_S7_S7_S7_S7_S7_EENS1_3tagENS0_11use_defaultESA_EENS0_6detail16wrapped_functionINSC_23allocator_traits_detail5gozerEvEEEElLj1EEEvT0_T1_SJ_
    .private_segment_fixed_size: 0
    .sgpr_count:     4
    .sgpr_spill_count: 0
    .symbol:         _ZN6thrust23THRUST_200600_302600_NS11hip_rocprim14__parallel_for6kernelILj256ENS1_10for_each_fINS0_7pointerINS0_5tupleIffNS0_9null_typeES7_S7_S7_S7_S7_S7_S7_EENS1_3tagENS0_11use_defaultESA_EENS0_6detail16wrapped_functionINSC_23allocator_traits_detail5gozerEvEEEElLj1EEEvT0_T1_SJ_.kd
    .uniform_work_group_size: 1
    .uses_dynamic_stack: false
    .vgpr_count:     0
    .vgpr_spill_count: 0
    .wavefront_size: 64
  - .agpr_count:     0
    .args:
      - .offset:         0
        .size:           24
        .value_kind:     by_value
      - .offset:         24
        .size:           8
        .value_kind:     by_value
      - .offset:         32
        .size:           8
        .value_kind:     by_value
    .group_segment_fixed_size: 0
    .kernarg_segment_align: 8
    .kernarg_segment_size: 40
    .language:       OpenCL C
    .language_version:
      - 2
      - 0
    .max_flat_workgroup_size: 256
    .name:           _ZN6thrust23THRUST_200600_302600_NS11hip_rocprim14__parallel_for6kernelILj256ENS1_11__transform17unary_transform_fINS0_7pointerINS0_5tupleIffNS0_9null_typeES8_S8_S8_S8_S8_S8_S8_EENS1_3tagENS0_11use_defaultESB_EENS0_10device_ptrIS9_EENS4_14no_stencil_tagENS0_8identityIS9_EENS4_21always_true_predicateEEElLj1EEEvT0_T1_SL_
    .private_segment_fixed_size: 0
    .sgpr_count:     16
    .sgpr_spill_count: 0
    .symbol:         _ZN6thrust23THRUST_200600_302600_NS11hip_rocprim14__parallel_for6kernelILj256ENS1_11__transform17unary_transform_fINS0_7pointerINS0_5tupleIffNS0_9null_typeES8_S8_S8_S8_S8_S8_S8_EENS1_3tagENS0_11use_defaultESB_EENS0_10device_ptrIS9_EENS4_14no_stencil_tagENS0_8identityIS9_EENS4_21always_true_predicateEEElLj1EEEvT0_T1_SL_.kd
    .uniform_work_group_size: 1
    .uses_dynamic_stack: false
    .vgpr_count:     6
    .vgpr_spill_count: 0
    .wavefront_size: 64
  - .agpr_count:     0
    .args:
      - .offset:         0
        .size:           16
        .value_kind:     by_value
      - .offset:         16
        .size:           8
        .value_kind:     by_value
      - .offset:         24
        .size:           8
        .value_kind:     by_value
    .group_segment_fixed_size: 0
    .kernarg_segment_align: 8
    .kernarg_segment_size: 32
    .language:       OpenCL C
    .language_version:
      - 2
      - 0
    .max_flat_workgroup_size: 256
    .name:           _ZN6thrust23THRUST_200600_302600_NS11hip_rocprim14__parallel_for6kernelILj256ENS1_20__uninitialized_copy7functorINS0_7pointerINS0_5tupleIffNS0_9null_typeES8_S8_S8_S8_S8_S8_S8_EENS1_3tagENS0_11use_defaultESB_EESC_EEmLj1EEEvT0_T1_SF_
    .private_segment_fixed_size: 0
    .sgpr_count:     20
    .sgpr_spill_count: 0
    .symbol:         _ZN6thrust23THRUST_200600_302600_NS11hip_rocprim14__parallel_for6kernelILj256ENS1_20__uninitialized_copy7functorINS0_7pointerINS0_5tupleIffNS0_9null_typeES8_S8_S8_S8_S8_S8_S8_EENS1_3tagENS0_11use_defaultESB_EESC_EEmLj1EEEvT0_T1_SF_.kd
    .uniform_work_group_size: 1
    .uses_dynamic_stack: false
    .vgpr_count:     6
    .vgpr_spill_count: 0
    .wavefront_size: 64
  - .agpr_count:     0
    .args:
      - .offset:         0
        .size:           16
        .value_kind:     by_value
      - .offset:         16
        .size:           8
        .value_kind:     by_value
      - .offset:         24
        .size:           8
        .value_kind:     by_value
    .group_segment_fixed_size: 0
    .kernarg_segment_align: 8
    .kernarg_segment_size: 32
    .language:       OpenCL C
    .language_version:
      - 2
      - 0
    .max_flat_workgroup_size: 256
    .name:           _ZN6thrust23THRUST_200600_302600_NS11hip_rocprim14__parallel_for6kernelILj256ENS1_10for_each_fINS0_10device_ptrINS0_5tupleIffNS0_9null_typeES7_S7_S7_S7_S7_S7_S7_EEEENS0_6detail16wrapped_functionINSA_23allocator_traits_detail5gozerEvEEEElLj1EEEvT0_T1_SH_
    .private_segment_fixed_size: 0
    .sgpr_count:     4
    .sgpr_spill_count: 0
    .symbol:         _ZN6thrust23THRUST_200600_302600_NS11hip_rocprim14__parallel_for6kernelILj256ENS1_10for_each_fINS0_10device_ptrINS0_5tupleIffNS0_9null_typeES7_S7_S7_S7_S7_S7_S7_EEEENS0_6detail16wrapped_functionINSA_23allocator_traits_detail5gozerEvEEEElLj1EEEvT0_T1_SH_.kd
    .uniform_work_group_size: 1
    .uses_dynamic_stack: false
    .vgpr_count:     0
    .vgpr_spill_count: 0
    .wavefront_size: 64
  - .agpr_count:     0
    .args:
      - .offset:         0
        .size:           16
        .value_kind:     by_value
      - .offset:         16
        .size:           8
        .value_kind:     by_value
      - .offset:         24
        .size:           8
        .value_kind:     by_value
    .group_segment_fixed_size: 0
    .kernarg_segment_align: 8
    .kernarg_segment_size: 32
    .language:       OpenCL C
    .language_version:
      - 2
      - 0
    .max_flat_workgroup_size: 256
    .name:           _ZN6thrust23THRUST_200600_302600_NS11hip_rocprim14__parallel_for6kernelILj256ENS1_20__uninitialized_fill7functorINS0_10device_ptrIjEEjEEmLj1EEEvT0_T1_SA_
    .private_segment_fixed_size: 0
    .sgpr_count:     16
    .sgpr_spill_count: 0
    .symbol:         _ZN6thrust23THRUST_200600_302600_NS11hip_rocprim14__parallel_for6kernelILj256ENS1_20__uninitialized_fill7functorINS0_10device_ptrIjEEjEEmLj1EEEvT0_T1_SA_.kd
    .uniform_work_group_size: 1
    .uses_dynamic_stack: false
    .vgpr_count:     4
    .vgpr_spill_count: 0
    .wavefront_size: 64
  - .agpr_count:     0
    .args:
      - .offset:         0
        .size:           32
        .value_kind:     by_value
      - .offset:         32
        .size:           8
        .value_kind:     by_value
      - .offset:         40
        .size:           8
        .value_kind:     by_value
    .group_segment_fixed_size: 0
    .kernarg_segment_align: 8
    .kernarg_segment_size: 48
    .language:       OpenCL C
    .language_version:
      - 2
      - 0
    .max_flat_workgroup_size: 256
    .name:           _ZN6thrust23THRUST_200600_302600_NS11hip_rocprim14__parallel_for6kernelILj256ENS1_11__transform17unary_transform_fINS0_6detail15normal_iteratorINS0_10device_ptrINS0_5tupleIffNS0_9null_typeESA_SA_SA_SA_SA_SA_SA_EEEEEENS7_INS8_IjEEEENS4_14no_stencil_tagE21point_to_bucket_indexNS4_21always_true_predicateEEElLj1EEEvT0_T1_SL_
    .private_segment_fixed_size: 0
    .sgpr_count:     16
    .sgpr_spill_count: 0
    .symbol:         _ZN6thrust23THRUST_200600_302600_NS11hip_rocprim14__parallel_for6kernelILj256ENS1_11__transform17unary_transform_fINS0_6detail15normal_iteratorINS0_10device_ptrINS0_5tupleIffNS0_9null_typeESA_SA_SA_SA_SA_SA_SA_EEEEEENS7_INS8_IjEEEENS4_14no_stencil_tagE21point_to_bucket_indexNS4_21always_true_predicateEEElLj1EEEvT0_T1_SL_.kd
    .uniform_work_group_size: 1
    .uses_dynamic_stack: false
    .vgpr_count:     6
    .vgpr_spill_count: 0
    .wavefront_size: 64
  - .agpr_count:     0
    .args:
      - .offset:         0
        .size:           48
        .value_kind:     by_value
    .group_segment_fixed_size: 0
    .kernarg_segment_align: 8
    .kernarg_segment_size: 48
    .language:       OpenCL C
    .language_version:
      - 2
      - 0
    .max_flat_workgroup_size: 256
    .name:           _ZN7rocprim17ROCPRIM_400000_NS6detail17trampoline_kernelINS0_13kernel_configILj256ELj4ELj4294967295EEENS1_37radix_sort_block_sort_config_selectorIjN6thrust23THRUST_200600_302600_NS5tupleIffNS7_9null_typeES9_S9_S9_S9_S9_S9_S9_EEEEZNS1_21radix_sort_block_sortIS4_Lb0ENS7_6detail15normal_iteratorINS7_10device_ptrIjEEEESH_NSE_INSF_ISA_EEEESJ_NS0_19identity_decomposerEEE10hipError_tT1_T2_T3_T4_jRjT5_jjP12ihipStream_tbEUlT_E_NS1_11comp_targetILNS1_3genE0ELNS1_11target_archE4294967295ELNS1_3gpuE0ELNS1_3repE0EEENS1_44radix_sort_block_sort_config_static_selectorELNS0_4arch9wavefront6targetE1EEEvSM_
    .private_segment_fixed_size: 0
    .sgpr_count:     4
    .sgpr_spill_count: 0
    .symbol:         _ZN7rocprim17ROCPRIM_400000_NS6detail17trampoline_kernelINS0_13kernel_configILj256ELj4ELj4294967295EEENS1_37radix_sort_block_sort_config_selectorIjN6thrust23THRUST_200600_302600_NS5tupleIffNS7_9null_typeES9_S9_S9_S9_S9_S9_S9_EEEEZNS1_21radix_sort_block_sortIS4_Lb0ENS7_6detail15normal_iteratorINS7_10device_ptrIjEEEESH_NSE_INSF_ISA_EEEESJ_NS0_19identity_decomposerEEE10hipError_tT1_T2_T3_T4_jRjT5_jjP12ihipStream_tbEUlT_E_NS1_11comp_targetILNS1_3genE0ELNS1_11target_archE4294967295ELNS1_3gpuE0ELNS1_3repE0EEENS1_44radix_sort_block_sort_config_static_selectorELNS0_4arch9wavefront6targetE1EEEvSM_.kd
    .uniform_work_group_size: 1
    .uses_dynamic_stack: false
    .vgpr_count:     0
    .vgpr_spill_count: 0
    .wavefront_size: 64
  - .agpr_count:     0
    .args:
      - .offset:         0
        .size:           48
        .value_kind:     by_value
    .group_segment_fixed_size: 0
    .kernarg_segment_align: 8
    .kernarg_segment_size: 48
    .language:       OpenCL C
    .language_version:
      - 2
      - 0
    .max_flat_workgroup_size: 256
    .name:           _ZN7rocprim17ROCPRIM_400000_NS6detail17trampoline_kernelINS0_13kernel_configILj256ELj4ELj4294967295EEENS1_37radix_sort_block_sort_config_selectorIjN6thrust23THRUST_200600_302600_NS5tupleIffNS7_9null_typeES9_S9_S9_S9_S9_S9_S9_EEEEZNS1_21radix_sort_block_sortIS4_Lb0ENS7_6detail15normal_iteratorINS7_10device_ptrIjEEEESH_NSE_INSF_ISA_EEEESJ_NS0_19identity_decomposerEEE10hipError_tT1_T2_T3_T4_jRjT5_jjP12ihipStream_tbEUlT_E_NS1_11comp_targetILNS1_3genE5ELNS1_11target_archE942ELNS1_3gpuE9ELNS1_3repE0EEENS1_44radix_sort_block_sort_config_static_selectorELNS0_4arch9wavefront6targetE1EEEvSM_
    .private_segment_fixed_size: 0
    .sgpr_count:     4
    .sgpr_spill_count: 0
    .symbol:         _ZN7rocprim17ROCPRIM_400000_NS6detail17trampoline_kernelINS0_13kernel_configILj256ELj4ELj4294967295EEENS1_37radix_sort_block_sort_config_selectorIjN6thrust23THRUST_200600_302600_NS5tupleIffNS7_9null_typeES9_S9_S9_S9_S9_S9_S9_EEEEZNS1_21radix_sort_block_sortIS4_Lb0ENS7_6detail15normal_iteratorINS7_10device_ptrIjEEEESH_NSE_INSF_ISA_EEEESJ_NS0_19identity_decomposerEEE10hipError_tT1_T2_T3_T4_jRjT5_jjP12ihipStream_tbEUlT_E_NS1_11comp_targetILNS1_3genE5ELNS1_11target_archE942ELNS1_3gpuE9ELNS1_3repE0EEENS1_44radix_sort_block_sort_config_static_selectorELNS0_4arch9wavefront6targetE1EEEvSM_.kd
    .uniform_work_group_size: 1
    .uses_dynamic_stack: false
    .vgpr_count:     0
    .vgpr_spill_count: 0
    .wavefront_size: 64
  - .agpr_count:     0
    .args:
      - .offset:         0
        .size:           48
        .value_kind:     by_value
      - .offset:         48
        .size:           4
        .value_kind:     hidden_block_count_x
      - .offset:         52
        .size:           4
        .value_kind:     hidden_block_count_y
      - .offset:         56
        .size:           4
        .value_kind:     hidden_block_count_z
      - .offset:         60
        .size:           2
        .value_kind:     hidden_group_size_x
      - .offset:         62
        .size:           2
        .value_kind:     hidden_group_size_y
      - .offset:         64
        .size:           2
        .value_kind:     hidden_group_size_z
      - .offset:         66
        .size:           2
        .value_kind:     hidden_remainder_x
      - .offset:         68
        .size:           2
        .value_kind:     hidden_remainder_y
      - .offset:         70
        .size:           2
        .value_kind:     hidden_remainder_z
      - .offset:         88
        .size:           8
        .value_kind:     hidden_global_offset_x
      - .offset:         96
        .size:           8
        .value_kind:     hidden_global_offset_y
      - .offset:         104
        .size:           8
        .value_kind:     hidden_global_offset_z
      - .offset:         112
        .size:           2
        .value_kind:     hidden_grid_dims
    .group_segment_fixed_size: 8192
    .kernarg_segment_align: 8
    .kernarg_segment_size: 304
    .language:       OpenCL C
    .language_version:
      - 2
      - 0
    .max_flat_workgroup_size: 256
    .name:           _ZN7rocprim17ROCPRIM_400000_NS6detail17trampoline_kernelINS0_13kernel_configILj256ELj4ELj4294967295EEENS1_37radix_sort_block_sort_config_selectorIjN6thrust23THRUST_200600_302600_NS5tupleIffNS7_9null_typeES9_S9_S9_S9_S9_S9_S9_EEEEZNS1_21radix_sort_block_sortIS4_Lb0ENS7_6detail15normal_iteratorINS7_10device_ptrIjEEEESH_NSE_INSF_ISA_EEEESJ_NS0_19identity_decomposerEEE10hipError_tT1_T2_T3_T4_jRjT5_jjP12ihipStream_tbEUlT_E_NS1_11comp_targetILNS1_3genE4ELNS1_11target_archE910ELNS1_3gpuE8ELNS1_3repE0EEENS1_44radix_sort_block_sort_config_static_selectorELNS0_4arch9wavefront6targetE1EEEvSM_
    .private_segment_fixed_size: 0
    .sgpr_count:     52
    .sgpr_spill_count: 0
    .symbol:         _ZN7rocprim17ROCPRIM_400000_NS6detail17trampoline_kernelINS0_13kernel_configILj256ELj4ELj4294967295EEENS1_37radix_sort_block_sort_config_selectorIjN6thrust23THRUST_200600_302600_NS5tupleIffNS7_9null_typeES9_S9_S9_S9_S9_S9_S9_EEEEZNS1_21radix_sort_block_sortIS4_Lb0ENS7_6detail15normal_iteratorINS7_10device_ptrIjEEEESH_NSE_INSF_ISA_EEEESJ_NS0_19identity_decomposerEEE10hipError_tT1_T2_T3_T4_jRjT5_jjP12ihipStream_tbEUlT_E_NS1_11comp_targetILNS1_3genE4ELNS1_11target_archE910ELNS1_3gpuE8ELNS1_3repE0EEENS1_44radix_sort_block_sort_config_static_selectorELNS0_4arch9wavefront6targetE1EEEvSM_.kd
    .uniform_work_group_size: 1
    .uses_dynamic_stack: false
    .vgpr_count:     53
    .vgpr_spill_count: 0
    .wavefront_size: 64
  - .agpr_count:     0
    .args:
      - .offset:         0
        .size:           48
        .value_kind:     by_value
    .group_segment_fixed_size: 0
    .kernarg_segment_align: 8
    .kernarg_segment_size: 48
    .language:       OpenCL C
    .language_version:
      - 2
      - 0
    .max_flat_workgroup_size: 256
    .name:           _ZN7rocprim17ROCPRIM_400000_NS6detail17trampoline_kernelINS0_13kernel_configILj256ELj4ELj4294967295EEENS1_37radix_sort_block_sort_config_selectorIjN6thrust23THRUST_200600_302600_NS5tupleIffNS7_9null_typeES9_S9_S9_S9_S9_S9_S9_EEEEZNS1_21radix_sort_block_sortIS4_Lb0ENS7_6detail15normal_iteratorINS7_10device_ptrIjEEEESH_NSE_INSF_ISA_EEEESJ_NS0_19identity_decomposerEEE10hipError_tT1_T2_T3_T4_jRjT5_jjP12ihipStream_tbEUlT_E_NS1_11comp_targetILNS1_3genE3ELNS1_11target_archE908ELNS1_3gpuE7ELNS1_3repE0EEENS1_44radix_sort_block_sort_config_static_selectorELNS0_4arch9wavefront6targetE1EEEvSM_
    .private_segment_fixed_size: 0
    .sgpr_count:     4
    .sgpr_spill_count: 0
    .symbol:         _ZN7rocprim17ROCPRIM_400000_NS6detail17trampoline_kernelINS0_13kernel_configILj256ELj4ELj4294967295EEENS1_37radix_sort_block_sort_config_selectorIjN6thrust23THRUST_200600_302600_NS5tupleIffNS7_9null_typeES9_S9_S9_S9_S9_S9_S9_EEEEZNS1_21radix_sort_block_sortIS4_Lb0ENS7_6detail15normal_iteratorINS7_10device_ptrIjEEEESH_NSE_INSF_ISA_EEEESJ_NS0_19identity_decomposerEEE10hipError_tT1_T2_T3_T4_jRjT5_jjP12ihipStream_tbEUlT_E_NS1_11comp_targetILNS1_3genE3ELNS1_11target_archE908ELNS1_3gpuE7ELNS1_3repE0EEENS1_44radix_sort_block_sort_config_static_selectorELNS0_4arch9wavefront6targetE1EEEvSM_.kd
    .uniform_work_group_size: 1
    .uses_dynamic_stack: false
    .vgpr_count:     0
    .vgpr_spill_count: 0
    .wavefront_size: 64
  - .agpr_count:     0
    .args:
      - .offset:         0
        .size:           48
        .value_kind:     by_value
    .group_segment_fixed_size: 0
    .kernarg_segment_align: 8
    .kernarg_segment_size: 48
    .language:       OpenCL C
    .language_version:
      - 2
      - 0
    .max_flat_workgroup_size: 256
    .name:           _ZN7rocprim17ROCPRIM_400000_NS6detail17trampoline_kernelINS0_13kernel_configILj256ELj4ELj4294967295EEENS1_37radix_sort_block_sort_config_selectorIjN6thrust23THRUST_200600_302600_NS5tupleIffNS7_9null_typeES9_S9_S9_S9_S9_S9_S9_EEEEZNS1_21radix_sort_block_sortIS4_Lb0ENS7_6detail15normal_iteratorINS7_10device_ptrIjEEEESH_NSE_INSF_ISA_EEEESJ_NS0_19identity_decomposerEEE10hipError_tT1_T2_T3_T4_jRjT5_jjP12ihipStream_tbEUlT_E_NS1_11comp_targetILNS1_3genE2ELNS1_11target_archE906ELNS1_3gpuE6ELNS1_3repE0EEENS1_44radix_sort_block_sort_config_static_selectorELNS0_4arch9wavefront6targetE1EEEvSM_
    .private_segment_fixed_size: 0
    .sgpr_count:     4
    .sgpr_spill_count: 0
    .symbol:         _ZN7rocprim17ROCPRIM_400000_NS6detail17trampoline_kernelINS0_13kernel_configILj256ELj4ELj4294967295EEENS1_37radix_sort_block_sort_config_selectorIjN6thrust23THRUST_200600_302600_NS5tupleIffNS7_9null_typeES9_S9_S9_S9_S9_S9_S9_EEEEZNS1_21radix_sort_block_sortIS4_Lb0ENS7_6detail15normal_iteratorINS7_10device_ptrIjEEEESH_NSE_INSF_ISA_EEEESJ_NS0_19identity_decomposerEEE10hipError_tT1_T2_T3_T4_jRjT5_jjP12ihipStream_tbEUlT_E_NS1_11comp_targetILNS1_3genE2ELNS1_11target_archE906ELNS1_3gpuE6ELNS1_3repE0EEENS1_44radix_sort_block_sort_config_static_selectorELNS0_4arch9wavefront6targetE1EEEvSM_.kd
    .uniform_work_group_size: 1
    .uses_dynamic_stack: false
    .vgpr_count:     0
    .vgpr_spill_count: 0
    .wavefront_size: 64
  - .agpr_count:     0
    .args:
      - .offset:         0
        .size:           48
        .value_kind:     by_value
    .group_segment_fixed_size: 0
    .kernarg_segment_align: 8
    .kernarg_segment_size: 48
    .language:       OpenCL C
    .language_version:
      - 2
      - 0
    .max_flat_workgroup_size: 256
    .name:           _ZN7rocprim17ROCPRIM_400000_NS6detail17trampoline_kernelINS0_13kernel_configILj256ELj4ELj4294967295EEENS1_37radix_sort_block_sort_config_selectorIjN6thrust23THRUST_200600_302600_NS5tupleIffNS7_9null_typeES9_S9_S9_S9_S9_S9_S9_EEEEZNS1_21radix_sort_block_sortIS4_Lb0ENS7_6detail15normal_iteratorINS7_10device_ptrIjEEEESH_NSE_INSF_ISA_EEEESJ_NS0_19identity_decomposerEEE10hipError_tT1_T2_T3_T4_jRjT5_jjP12ihipStream_tbEUlT_E_NS1_11comp_targetILNS1_3genE10ELNS1_11target_archE1201ELNS1_3gpuE5ELNS1_3repE0EEENS1_44radix_sort_block_sort_config_static_selectorELNS0_4arch9wavefront6targetE1EEEvSM_
    .private_segment_fixed_size: 0
    .sgpr_count:     4
    .sgpr_spill_count: 0
    .symbol:         _ZN7rocprim17ROCPRIM_400000_NS6detail17trampoline_kernelINS0_13kernel_configILj256ELj4ELj4294967295EEENS1_37radix_sort_block_sort_config_selectorIjN6thrust23THRUST_200600_302600_NS5tupleIffNS7_9null_typeES9_S9_S9_S9_S9_S9_S9_EEEEZNS1_21radix_sort_block_sortIS4_Lb0ENS7_6detail15normal_iteratorINS7_10device_ptrIjEEEESH_NSE_INSF_ISA_EEEESJ_NS0_19identity_decomposerEEE10hipError_tT1_T2_T3_T4_jRjT5_jjP12ihipStream_tbEUlT_E_NS1_11comp_targetILNS1_3genE10ELNS1_11target_archE1201ELNS1_3gpuE5ELNS1_3repE0EEENS1_44radix_sort_block_sort_config_static_selectorELNS0_4arch9wavefront6targetE1EEEvSM_.kd
    .uniform_work_group_size: 1
    .uses_dynamic_stack: false
    .vgpr_count:     0
    .vgpr_spill_count: 0
    .wavefront_size: 64
  - .agpr_count:     0
    .args:
      - .offset:         0
        .size:           48
        .value_kind:     by_value
    .group_segment_fixed_size: 0
    .kernarg_segment_align: 8
    .kernarg_segment_size: 48
    .language:       OpenCL C
    .language_version:
      - 2
      - 0
    .max_flat_workgroup_size: 256
    .name:           _ZN7rocprim17ROCPRIM_400000_NS6detail17trampoline_kernelINS0_13kernel_configILj256ELj4ELj4294967295EEENS1_37radix_sort_block_sort_config_selectorIjN6thrust23THRUST_200600_302600_NS5tupleIffNS7_9null_typeES9_S9_S9_S9_S9_S9_S9_EEEEZNS1_21radix_sort_block_sortIS4_Lb0ENS7_6detail15normal_iteratorINS7_10device_ptrIjEEEESH_NSE_INSF_ISA_EEEESJ_NS0_19identity_decomposerEEE10hipError_tT1_T2_T3_T4_jRjT5_jjP12ihipStream_tbEUlT_E_NS1_11comp_targetILNS1_3genE10ELNS1_11target_archE1200ELNS1_3gpuE4ELNS1_3repE0EEENS1_44radix_sort_block_sort_config_static_selectorELNS0_4arch9wavefront6targetE1EEEvSM_
    .private_segment_fixed_size: 0
    .sgpr_count:     4
    .sgpr_spill_count: 0
    .symbol:         _ZN7rocprim17ROCPRIM_400000_NS6detail17trampoline_kernelINS0_13kernel_configILj256ELj4ELj4294967295EEENS1_37radix_sort_block_sort_config_selectorIjN6thrust23THRUST_200600_302600_NS5tupleIffNS7_9null_typeES9_S9_S9_S9_S9_S9_S9_EEEEZNS1_21radix_sort_block_sortIS4_Lb0ENS7_6detail15normal_iteratorINS7_10device_ptrIjEEEESH_NSE_INSF_ISA_EEEESJ_NS0_19identity_decomposerEEE10hipError_tT1_T2_T3_T4_jRjT5_jjP12ihipStream_tbEUlT_E_NS1_11comp_targetILNS1_3genE10ELNS1_11target_archE1200ELNS1_3gpuE4ELNS1_3repE0EEENS1_44radix_sort_block_sort_config_static_selectorELNS0_4arch9wavefront6targetE1EEEvSM_.kd
    .uniform_work_group_size: 1
    .uses_dynamic_stack: false
    .vgpr_count:     0
    .vgpr_spill_count: 0
    .wavefront_size: 64
  - .agpr_count:     0
    .args:
      - .offset:         0
        .size:           48
        .value_kind:     by_value
    .group_segment_fixed_size: 0
    .kernarg_segment_align: 8
    .kernarg_segment_size: 48
    .language:       OpenCL C
    .language_version:
      - 2
      - 0
    .max_flat_workgroup_size: 256
    .name:           _ZN7rocprim17ROCPRIM_400000_NS6detail17trampoline_kernelINS0_13kernel_configILj256ELj4ELj4294967295EEENS1_37radix_sort_block_sort_config_selectorIjN6thrust23THRUST_200600_302600_NS5tupleIffNS7_9null_typeES9_S9_S9_S9_S9_S9_S9_EEEEZNS1_21radix_sort_block_sortIS4_Lb0ENS7_6detail15normal_iteratorINS7_10device_ptrIjEEEESH_NSE_INSF_ISA_EEEESJ_NS0_19identity_decomposerEEE10hipError_tT1_T2_T3_T4_jRjT5_jjP12ihipStream_tbEUlT_E_NS1_11comp_targetILNS1_3genE9ELNS1_11target_archE1100ELNS1_3gpuE3ELNS1_3repE0EEENS1_44radix_sort_block_sort_config_static_selectorELNS0_4arch9wavefront6targetE1EEEvSM_
    .private_segment_fixed_size: 0
    .sgpr_count:     4
    .sgpr_spill_count: 0
    .symbol:         _ZN7rocprim17ROCPRIM_400000_NS6detail17trampoline_kernelINS0_13kernel_configILj256ELj4ELj4294967295EEENS1_37radix_sort_block_sort_config_selectorIjN6thrust23THRUST_200600_302600_NS5tupleIffNS7_9null_typeES9_S9_S9_S9_S9_S9_S9_EEEEZNS1_21radix_sort_block_sortIS4_Lb0ENS7_6detail15normal_iteratorINS7_10device_ptrIjEEEESH_NSE_INSF_ISA_EEEESJ_NS0_19identity_decomposerEEE10hipError_tT1_T2_T3_T4_jRjT5_jjP12ihipStream_tbEUlT_E_NS1_11comp_targetILNS1_3genE9ELNS1_11target_archE1100ELNS1_3gpuE3ELNS1_3repE0EEENS1_44radix_sort_block_sort_config_static_selectorELNS0_4arch9wavefront6targetE1EEEvSM_.kd
    .uniform_work_group_size: 1
    .uses_dynamic_stack: false
    .vgpr_count:     0
    .vgpr_spill_count: 0
    .wavefront_size: 64
  - .agpr_count:     0
    .args:
      - .offset:         0
        .size:           48
        .value_kind:     by_value
    .group_segment_fixed_size: 0
    .kernarg_segment_align: 8
    .kernarg_segment_size: 48
    .language:       OpenCL C
    .language_version:
      - 2
      - 0
    .max_flat_workgroup_size: 256
    .name:           _ZN7rocprim17ROCPRIM_400000_NS6detail17trampoline_kernelINS0_13kernel_configILj256ELj4ELj4294967295EEENS1_37radix_sort_block_sort_config_selectorIjN6thrust23THRUST_200600_302600_NS5tupleIffNS7_9null_typeES9_S9_S9_S9_S9_S9_S9_EEEEZNS1_21radix_sort_block_sortIS4_Lb0ENS7_6detail15normal_iteratorINS7_10device_ptrIjEEEESH_NSE_INSF_ISA_EEEESJ_NS0_19identity_decomposerEEE10hipError_tT1_T2_T3_T4_jRjT5_jjP12ihipStream_tbEUlT_E_NS1_11comp_targetILNS1_3genE8ELNS1_11target_archE1030ELNS1_3gpuE2ELNS1_3repE0EEENS1_44radix_sort_block_sort_config_static_selectorELNS0_4arch9wavefront6targetE1EEEvSM_
    .private_segment_fixed_size: 0
    .sgpr_count:     4
    .sgpr_spill_count: 0
    .symbol:         _ZN7rocprim17ROCPRIM_400000_NS6detail17trampoline_kernelINS0_13kernel_configILj256ELj4ELj4294967295EEENS1_37radix_sort_block_sort_config_selectorIjN6thrust23THRUST_200600_302600_NS5tupleIffNS7_9null_typeES9_S9_S9_S9_S9_S9_S9_EEEEZNS1_21radix_sort_block_sortIS4_Lb0ENS7_6detail15normal_iteratorINS7_10device_ptrIjEEEESH_NSE_INSF_ISA_EEEESJ_NS0_19identity_decomposerEEE10hipError_tT1_T2_T3_T4_jRjT5_jjP12ihipStream_tbEUlT_E_NS1_11comp_targetILNS1_3genE8ELNS1_11target_archE1030ELNS1_3gpuE2ELNS1_3repE0EEENS1_44radix_sort_block_sort_config_static_selectorELNS0_4arch9wavefront6targetE1EEEvSM_.kd
    .uniform_work_group_size: 1
    .uses_dynamic_stack: false
    .vgpr_count:     0
    .vgpr_spill_count: 0
    .wavefront_size: 64
  - .agpr_count:     0
    .args:           []
    .group_segment_fixed_size: 0
    .kernarg_segment_align: 4
    .kernarg_segment_size: 0
    .language:       OpenCL C
    .language_version:
      - 2
      - 0
    .max_flat_workgroup_size: 1024
    .name:           _ZN7rocprim17ROCPRIM_400000_NS6detail44device_merge_sort_compile_time_verifier_archINS1_11comp_targetILNS1_3genE0ELNS1_11target_archE4294967295ELNS1_3gpuE0ELNS1_3repE0EEES8_NS1_28merge_sort_block_sort_configILj256ELj4ELNS0_20block_sort_algorithmE0EEENS0_14default_configENS1_37merge_sort_block_sort_config_selectorIjN6thrust23THRUST_200600_302600_NS5tupleIffNSF_9null_typeESH_SH_SH_SH_SH_SH_SH_EEEENS1_38merge_sort_block_merge_config_selectorIjSI_EEEEvv
    .private_segment_fixed_size: 0
    .sgpr_count:     4
    .sgpr_spill_count: 0
    .symbol:         _ZN7rocprim17ROCPRIM_400000_NS6detail44device_merge_sort_compile_time_verifier_archINS1_11comp_targetILNS1_3genE0ELNS1_11target_archE4294967295ELNS1_3gpuE0ELNS1_3repE0EEES8_NS1_28merge_sort_block_sort_configILj256ELj4ELNS0_20block_sort_algorithmE0EEENS0_14default_configENS1_37merge_sort_block_sort_config_selectorIjN6thrust23THRUST_200600_302600_NS5tupleIffNSF_9null_typeESH_SH_SH_SH_SH_SH_SH_EEEENS1_38merge_sort_block_merge_config_selectorIjSI_EEEEvv.kd
    .uniform_work_group_size: 1
    .uses_dynamic_stack: false
    .vgpr_count:     0
    .vgpr_spill_count: 0
    .wavefront_size: 64
  - .agpr_count:     0
    .args:           []
    .group_segment_fixed_size: 0
    .kernarg_segment_align: 4
    .kernarg_segment_size: 0
    .language:       OpenCL C
    .language_version:
      - 2
      - 0
    .max_flat_workgroup_size: 1024
    .name:           _ZN7rocprim17ROCPRIM_400000_NS6detail44device_merge_sort_compile_time_verifier_archINS1_11comp_targetILNS1_3genE5ELNS1_11target_archE942ELNS1_3gpuE9ELNS1_3repE0EEES8_NS1_28merge_sort_block_sort_configILj256ELj4ELNS0_20block_sort_algorithmE0EEENS0_14default_configENS1_37merge_sort_block_sort_config_selectorIjN6thrust23THRUST_200600_302600_NS5tupleIffNSF_9null_typeESH_SH_SH_SH_SH_SH_SH_EEEENS1_38merge_sort_block_merge_config_selectorIjSI_EEEEvv
    .private_segment_fixed_size: 0
    .sgpr_count:     4
    .sgpr_spill_count: 0
    .symbol:         _ZN7rocprim17ROCPRIM_400000_NS6detail44device_merge_sort_compile_time_verifier_archINS1_11comp_targetILNS1_3genE5ELNS1_11target_archE942ELNS1_3gpuE9ELNS1_3repE0EEES8_NS1_28merge_sort_block_sort_configILj256ELj4ELNS0_20block_sort_algorithmE0EEENS0_14default_configENS1_37merge_sort_block_sort_config_selectorIjN6thrust23THRUST_200600_302600_NS5tupleIffNSF_9null_typeESH_SH_SH_SH_SH_SH_SH_EEEENS1_38merge_sort_block_merge_config_selectorIjSI_EEEEvv.kd
    .uniform_work_group_size: 1
    .uses_dynamic_stack: false
    .vgpr_count:     0
    .vgpr_spill_count: 0
    .wavefront_size: 64
  - .agpr_count:     0
    .args:           []
    .group_segment_fixed_size: 0
    .kernarg_segment_align: 4
    .kernarg_segment_size: 0
    .language:       OpenCL C
    .language_version:
      - 2
      - 0
    .max_flat_workgroup_size: 1024
    .name:           _ZN7rocprim17ROCPRIM_400000_NS6detail44device_merge_sort_compile_time_verifier_archINS1_11comp_targetILNS1_3genE4ELNS1_11target_archE910ELNS1_3gpuE8ELNS1_3repE0EEES8_NS1_28merge_sort_block_sort_configILj256ELj4ELNS0_20block_sort_algorithmE0EEENS0_14default_configENS1_37merge_sort_block_sort_config_selectorIjN6thrust23THRUST_200600_302600_NS5tupleIffNSF_9null_typeESH_SH_SH_SH_SH_SH_SH_EEEENS1_38merge_sort_block_merge_config_selectorIjSI_EEEEvv
    .private_segment_fixed_size: 0
    .sgpr_count:     4
    .sgpr_spill_count: 0
    .symbol:         _ZN7rocprim17ROCPRIM_400000_NS6detail44device_merge_sort_compile_time_verifier_archINS1_11comp_targetILNS1_3genE4ELNS1_11target_archE910ELNS1_3gpuE8ELNS1_3repE0EEES8_NS1_28merge_sort_block_sort_configILj256ELj4ELNS0_20block_sort_algorithmE0EEENS0_14default_configENS1_37merge_sort_block_sort_config_selectorIjN6thrust23THRUST_200600_302600_NS5tupleIffNSF_9null_typeESH_SH_SH_SH_SH_SH_SH_EEEENS1_38merge_sort_block_merge_config_selectorIjSI_EEEEvv.kd
    .uniform_work_group_size: 1
    .uses_dynamic_stack: false
    .vgpr_count:     0
    .vgpr_spill_count: 0
    .wavefront_size: 64
  - .agpr_count:     0
    .args:           []
    .group_segment_fixed_size: 0
    .kernarg_segment_align: 4
    .kernarg_segment_size: 0
    .language:       OpenCL C
    .language_version:
      - 2
      - 0
    .max_flat_workgroup_size: 1024
    .name:           _ZN7rocprim17ROCPRIM_400000_NS6detail44device_merge_sort_compile_time_verifier_archINS1_11comp_targetILNS1_3genE3ELNS1_11target_archE908ELNS1_3gpuE7ELNS1_3repE0EEES8_NS1_28merge_sort_block_sort_configILj256ELj4ELNS0_20block_sort_algorithmE0EEENS0_14default_configENS1_37merge_sort_block_sort_config_selectorIjN6thrust23THRUST_200600_302600_NS5tupleIffNSF_9null_typeESH_SH_SH_SH_SH_SH_SH_EEEENS1_38merge_sort_block_merge_config_selectorIjSI_EEEEvv
    .private_segment_fixed_size: 0
    .sgpr_count:     4
    .sgpr_spill_count: 0
    .symbol:         _ZN7rocprim17ROCPRIM_400000_NS6detail44device_merge_sort_compile_time_verifier_archINS1_11comp_targetILNS1_3genE3ELNS1_11target_archE908ELNS1_3gpuE7ELNS1_3repE0EEES8_NS1_28merge_sort_block_sort_configILj256ELj4ELNS0_20block_sort_algorithmE0EEENS0_14default_configENS1_37merge_sort_block_sort_config_selectorIjN6thrust23THRUST_200600_302600_NS5tupleIffNSF_9null_typeESH_SH_SH_SH_SH_SH_SH_EEEENS1_38merge_sort_block_merge_config_selectorIjSI_EEEEvv.kd
    .uniform_work_group_size: 1
    .uses_dynamic_stack: false
    .vgpr_count:     0
    .vgpr_spill_count: 0
    .wavefront_size: 64
  - .agpr_count:     0
    .args:           []
    .group_segment_fixed_size: 0
    .kernarg_segment_align: 4
    .kernarg_segment_size: 0
    .language:       OpenCL C
    .language_version:
      - 2
      - 0
    .max_flat_workgroup_size: 1024
    .name:           _ZN7rocprim17ROCPRIM_400000_NS6detail44device_merge_sort_compile_time_verifier_archINS1_11comp_targetILNS1_3genE2ELNS1_11target_archE906ELNS1_3gpuE6ELNS1_3repE0EEES8_NS1_28merge_sort_block_sort_configILj256ELj4ELNS0_20block_sort_algorithmE0EEENS0_14default_configENS1_37merge_sort_block_sort_config_selectorIjN6thrust23THRUST_200600_302600_NS5tupleIffNSF_9null_typeESH_SH_SH_SH_SH_SH_SH_EEEENS1_38merge_sort_block_merge_config_selectorIjSI_EEEEvv
    .private_segment_fixed_size: 0
    .sgpr_count:     4
    .sgpr_spill_count: 0
    .symbol:         _ZN7rocprim17ROCPRIM_400000_NS6detail44device_merge_sort_compile_time_verifier_archINS1_11comp_targetILNS1_3genE2ELNS1_11target_archE906ELNS1_3gpuE6ELNS1_3repE0EEES8_NS1_28merge_sort_block_sort_configILj256ELj4ELNS0_20block_sort_algorithmE0EEENS0_14default_configENS1_37merge_sort_block_sort_config_selectorIjN6thrust23THRUST_200600_302600_NS5tupleIffNSF_9null_typeESH_SH_SH_SH_SH_SH_SH_EEEENS1_38merge_sort_block_merge_config_selectorIjSI_EEEEvv.kd
    .uniform_work_group_size: 1
    .uses_dynamic_stack: false
    .vgpr_count:     0
    .vgpr_spill_count: 0
    .wavefront_size: 64
  - .agpr_count:     0
    .args:           []
    .group_segment_fixed_size: 0
    .kernarg_segment_align: 4
    .kernarg_segment_size: 0
    .language:       OpenCL C
    .language_version:
      - 2
      - 0
    .max_flat_workgroup_size: 1024
    .name:           _ZN7rocprim17ROCPRIM_400000_NS6detail44device_merge_sort_compile_time_verifier_archINS1_11comp_targetILNS1_3genE10ELNS1_11target_archE1201ELNS1_3gpuE5ELNS1_3repE0EEES8_NS1_28merge_sort_block_sort_configILj256ELj4ELNS0_20block_sort_algorithmE0EEENS0_14default_configENS1_37merge_sort_block_sort_config_selectorIjN6thrust23THRUST_200600_302600_NS5tupleIffNSF_9null_typeESH_SH_SH_SH_SH_SH_SH_EEEENS1_38merge_sort_block_merge_config_selectorIjSI_EEEEvv
    .private_segment_fixed_size: 0
    .sgpr_count:     4
    .sgpr_spill_count: 0
    .symbol:         _ZN7rocprim17ROCPRIM_400000_NS6detail44device_merge_sort_compile_time_verifier_archINS1_11comp_targetILNS1_3genE10ELNS1_11target_archE1201ELNS1_3gpuE5ELNS1_3repE0EEES8_NS1_28merge_sort_block_sort_configILj256ELj4ELNS0_20block_sort_algorithmE0EEENS0_14default_configENS1_37merge_sort_block_sort_config_selectorIjN6thrust23THRUST_200600_302600_NS5tupleIffNSF_9null_typeESH_SH_SH_SH_SH_SH_SH_EEEENS1_38merge_sort_block_merge_config_selectorIjSI_EEEEvv.kd
    .uniform_work_group_size: 1
    .uses_dynamic_stack: false
    .vgpr_count:     0
    .vgpr_spill_count: 0
    .wavefront_size: 64
  - .agpr_count:     0
    .args:           []
    .group_segment_fixed_size: 0
    .kernarg_segment_align: 4
    .kernarg_segment_size: 0
    .language:       OpenCL C
    .language_version:
      - 2
      - 0
    .max_flat_workgroup_size: 1024
    .name:           _ZN7rocprim17ROCPRIM_400000_NS6detail44device_merge_sort_compile_time_verifier_archINS1_11comp_targetILNS1_3genE10ELNS1_11target_archE1200ELNS1_3gpuE4ELNS1_3repE0EEENS3_ILS4_10ELS5_1201ELS6_5ELS7_0EEENS1_28merge_sort_block_sort_configILj256ELj4ELNS0_20block_sort_algorithmE0EEENS0_14default_configENS1_37merge_sort_block_sort_config_selectorIjN6thrust23THRUST_200600_302600_NS5tupleIffNSG_9null_typeESI_SI_SI_SI_SI_SI_SI_EEEENS1_38merge_sort_block_merge_config_selectorIjSJ_EEEEvv
    .private_segment_fixed_size: 0
    .sgpr_count:     4
    .sgpr_spill_count: 0
    .symbol:         _ZN7rocprim17ROCPRIM_400000_NS6detail44device_merge_sort_compile_time_verifier_archINS1_11comp_targetILNS1_3genE10ELNS1_11target_archE1200ELNS1_3gpuE4ELNS1_3repE0EEENS3_ILS4_10ELS5_1201ELS6_5ELS7_0EEENS1_28merge_sort_block_sort_configILj256ELj4ELNS0_20block_sort_algorithmE0EEENS0_14default_configENS1_37merge_sort_block_sort_config_selectorIjN6thrust23THRUST_200600_302600_NS5tupleIffNSG_9null_typeESI_SI_SI_SI_SI_SI_SI_EEEENS1_38merge_sort_block_merge_config_selectorIjSJ_EEEEvv.kd
    .uniform_work_group_size: 1
    .uses_dynamic_stack: false
    .vgpr_count:     0
    .vgpr_spill_count: 0
    .wavefront_size: 64
  - .agpr_count:     0
    .args:           []
    .group_segment_fixed_size: 0
    .kernarg_segment_align: 4
    .kernarg_segment_size: 0
    .language:       OpenCL C
    .language_version:
      - 2
      - 0
    .max_flat_workgroup_size: 1024
    .name:           _ZN7rocprim17ROCPRIM_400000_NS6detail44device_merge_sort_compile_time_verifier_archINS1_11comp_targetILNS1_3genE9ELNS1_11target_archE1100ELNS1_3gpuE3ELNS1_3repE0EEES8_NS1_28merge_sort_block_sort_configILj256ELj4ELNS0_20block_sort_algorithmE0EEENS0_14default_configENS1_37merge_sort_block_sort_config_selectorIjN6thrust23THRUST_200600_302600_NS5tupleIffNSF_9null_typeESH_SH_SH_SH_SH_SH_SH_EEEENS1_38merge_sort_block_merge_config_selectorIjSI_EEEEvv
    .private_segment_fixed_size: 0
    .sgpr_count:     4
    .sgpr_spill_count: 0
    .symbol:         _ZN7rocprim17ROCPRIM_400000_NS6detail44device_merge_sort_compile_time_verifier_archINS1_11comp_targetILNS1_3genE9ELNS1_11target_archE1100ELNS1_3gpuE3ELNS1_3repE0EEES8_NS1_28merge_sort_block_sort_configILj256ELj4ELNS0_20block_sort_algorithmE0EEENS0_14default_configENS1_37merge_sort_block_sort_config_selectorIjN6thrust23THRUST_200600_302600_NS5tupleIffNSF_9null_typeESH_SH_SH_SH_SH_SH_SH_EEEENS1_38merge_sort_block_merge_config_selectorIjSI_EEEEvv.kd
    .uniform_work_group_size: 1
    .uses_dynamic_stack: false
    .vgpr_count:     0
    .vgpr_spill_count: 0
    .wavefront_size: 64
  - .agpr_count:     0
    .args:           []
    .group_segment_fixed_size: 0
    .kernarg_segment_align: 4
    .kernarg_segment_size: 0
    .language:       OpenCL C
    .language_version:
      - 2
      - 0
    .max_flat_workgroup_size: 1024
    .name:           _ZN7rocprim17ROCPRIM_400000_NS6detail44device_merge_sort_compile_time_verifier_archINS1_11comp_targetILNS1_3genE8ELNS1_11target_archE1030ELNS1_3gpuE2ELNS1_3repE0EEES8_NS1_28merge_sort_block_sort_configILj256ELj4ELNS0_20block_sort_algorithmE0EEENS0_14default_configENS1_37merge_sort_block_sort_config_selectorIjN6thrust23THRUST_200600_302600_NS5tupleIffNSF_9null_typeESH_SH_SH_SH_SH_SH_SH_EEEENS1_38merge_sort_block_merge_config_selectorIjSI_EEEEvv
    .private_segment_fixed_size: 0
    .sgpr_count:     4
    .sgpr_spill_count: 0
    .symbol:         _ZN7rocprim17ROCPRIM_400000_NS6detail44device_merge_sort_compile_time_verifier_archINS1_11comp_targetILNS1_3genE8ELNS1_11target_archE1030ELNS1_3gpuE2ELNS1_3repE0EEES8_NS1_28merge_sort_block_sort_configILj256ELj4ELNS0_20block_sort_algorithmE0EEENS0_14default_configENS1_37merge_sort_block_sort_config_selectorIjN6thrust23THRUST_200600_302600_NS5tupleIffNSF_9null_typeESH_SH_SH_SH_SH_SH_SH_EEEENS1_38merge_sort_block_merge_config_selectorIjSI_EEEEvv.kd
    .uniform_work_group_size: 1
    .uses_dynamic_stack: false
    .vgpr_count:     0
    .vgpr_spill_count: 0
    .wavefront_size: 64
  - .agpr_count:     0
    .args:
      - .offset:         0
        .size:           40
        .value_kind:     by_value
    .group_segment_fixed_size: 0
    .kernarg_segment_align: 8
    .kernarg_segment_size: 40
    .language:       OpenCL C
    .language_version:
      - 2
      - 0
    .max_flat_workgroup_size: 128
    .name:           _ZN7rocprim17ROCPRIM_400000_NS6detail17trampoline_kernelINS0_14default_configENS1_38merge_sort_block_merge_config_selectorIjN6thrust23THRUST_200600_302600_NS5tupleIffNS6_9null_typeES8_S8_S8_S8_S8_S8_S8_EEEEZZNS1_27merge_sort_block_merge_implIS3_NS6_6detail15normal_iteratorINS6_10device_ptrIjEEEENSD_INSE_IS9_EEEEjNS1_19radix_merge_compareILb0ELb0EjNS0_19identity_decomposerEEEEE10hipError_tT0_T1_T2_jT3_P12ihipStream_tbPNSt15iterator_traitsISN_E10value_typeEPNST_ISO_E10value_typeEPSP_NS1_7vsmem_tEENKUlT_SN_SO_SP_E_clIPjSG_PS9_SI_EESM_S12_SN_SO_SP_EUlS12_E_NS1_11comp_targetILNS1_3genE0ELNS1_11target_archE4294967295ELNS1_3gpuE0ELNS1_3repE0EEENS1_48merge_mergepath_partition_config_static_selectorELNS0_4arch9wavefront6targetE1EEEvSO_
    .private_segment_fixed_size: 0
    .sgpr_count:     4
    .sgpr_spill_count: 0
    .symbol:         _ZN7rocprim17ROCPRIM_400000_NS6detail17trampoline_kernelINS0_14default_configENS1_38merge_sort_block_merge_config_selectorIjN6thrust23THRUST_200600_302600_NS5tupleIffNS6_9null_typeES8_S8_S8_S8_S8_S8_S8_EEEEZZNS1_27merge_sort_block_merge_implIS3_NS6_6detail15normal_iteratorINS6_10device_ptrIjEEEENSD_INSE_IS9_EEEEjNS1_19radix_merge_compareILb0ELb0EjNS0_19identity_decomposerEEEEE10hipError_tT0_T1_T2_jT3_P12ihipStream_tbPNSt15iterator_traitsISN_E10value_typeEPNST_ISO_E10value_typeEPSP_NS1_7vsmem_tEENKUlT_SN_SO_SP_E_clIPjSG_PS9_SI_EESM_S12_SN_SO_SP_EUlS12_E_NS1_11comp_targetILNS1_3genE0ELNS1_11target_archE4294967295ELNS1_3gpuE0ELNS1_3repE0EEENS1_48merge_mergepath_partition_config_static_selectorELNS0_4arch9wavefront6targetE1EEEvSO_.kd
    .uniform_work_group_size: 1
    .uses_dynamic_stack: false
    .vgpr_count:     0
    .vgpr_spill_count: 0
    .wavefront_size: 64
  - .agpr_count:     0
    .args:
      - .offset:         0
        .size:           40
        .value_kind:     by_value
    .group_segment_fixed_size: 0
    .kernarg_segment_align: 8
    .kernarg_segment_size: 40
    .language:       OpenCL C
    .language_version:
      - 2
      - 0
    .max_flat_workgroup_size: 128
    .name:           _ZN7rocprim17ROCPRIM_400000_NS6detail17trampoline_kernelINS0_14default_configENS1_38merge_sort_block_merge_config_selectorIjN6thrust23THRUST_200600_302600_NS5tupleIffNS6_9null_typeES8_S8_S8_S8_S8_S8_S8_EEEEZZNS1_27merge_sort_block_merge_implIS3_NS6_6detail15normal_iteratorINS6_10device_ptrIjEEEENSD_INSE_IS9_EEEEjNS1_19radix_merge_compareILb0ELb0EjNS0_19identity_decomposerEEEEE10hipError_tT0_T1_T2_jT3_P12ihipStream_tbPNSt15iterator_traitsISN_E10value_typeEPNST_ISO_E10value_typeEPSP_NS1_7vsmem_tEENKUlT_SN_SO_SP_E_clIPjSG_PS9_SI_EESM_S12_SN_SO_SP_EUlS12_E_NS1_11comp_targetILNS1_3genE10ELNS1_11target_archE1201ELNS1_3gpuE5ELNS1_3repE0EEENS1_48merge_mergepath_partition_config_static_selectorELNS0_4arch9wavefront6targetE1EEEvSO_
    .private_segment_fixed_size: 0
    .sgpr_count:     4
    .sgpr_spill_count: 0
    .symbol:         _ZN7rocprim17ROCPRIM_400000_NS6detail17trampoline_kernelINS0_14default_configENS1_38merge_sort_block_merge_config_selectorIjN6thrust23THRUST_200600_302600_NS5tupleIffNS6_9null_typeES8_S8_S8_S8_S8_S8_S8_EEEEZZNS1_27merge_sort_block_merge_implIS3_NS6_6detail15normal_iteratorINS6_10device_ptrIjEEEENSD_INSE_IS9_EEEEjNS1_19radix_merge_compareILb0ELb0EjNS0_19identity_decomposerEEEEE10hipError_tT0_T1_T2_jT3_P12ihipStream_tbPNSt15iterator_traitsISN_E10value_typeEPNST_ISO_E10value_typeEPSP_NS1_7vsmem_tEENKUlT_SN_SO_SP_E_clIPjSG_PS9_SI_EESM_S12_SN_SO_SP_EUlS12_E_NS1_11comp_targetILNS1_3genE10ELNS1_11target_archE1201ELNS1_3gpuE5ELNS1_3repE0EEENS1_48merge_mergepath_partition_config_static_selectorELNS0_4arch9wavefront6targetE1EEEvSO_.kd
    .uniform_work_group_size: 1
    .uses_dynamic_stack: false
    .vgpr_count:     0
    .vgpr_spill_count: 0
    .wavefront_size: 64
  - .agpr_count:     0
    .args:
      - .offset:         0
        .size:           40
        .value_kind:     by_value
    .group_segment_fixed_size: 0
    .kernarg_segment_align: 8
    .kernarg_segment_size: 40
    .language:       OpenCL C
    .language_version:
      - 2
      - 0
    .max_flat_workgroup_size: 128
    .name:           _ZN7rocprim17ROCPRIM_400000_NS6detail17trampoline_kernelINS0_14default_configENS1_38merge_sort_block_merge_config_selectorIjN6thrust23THRUST_200600_302600_NS5tupleIffNS6_9null_typeES8_S8_S8_S8_S8_S8_S8_EEEEZZNS1_27merge_sort_block_merge_implIS3_NS6_6detail15normal_iteratorINS6_10device_ptrIjEEEENSD_INSE_IS9_EEEEjNS1_19radix_merge_compareILb0ELb0EjNS0_19identity_decomposerEEEEE10hipError_tT0_T1_T2_jT3_P12ihipStream_tbPNSt15iterator_traitsISN_E10value_typeEPNST_ISO_E10value_typeEPSP_NS1_7vsmem_tEENKUlT_SN_SO_SP_E_clIPjSG_PS9_SI_EESM_S12_SN_SO_SP_EUlS12_E_NS1_11comp_targetILNS1_3genE5ELNS1_11target_archE942ELNS1_3gpuE9ELNS1_3repE0EEENS1_48merge_mergepath_partition_config_static_selectorELNS0_4arch9wavefront6targetE1EEEvSO_
    .private_segment_fixed_size: 0
    .sgpr_count:     4
    .sgpr_spill_count: 0
    .symbol:         _ZN7rocprim17ROCPRIM_400000_NS6detail17trampoline_kernelINS0_14default_configENS1_38merge_sort_block_merge_config_selectorIjN6thrust23THRUST_200600_302600_NS5tupleIffNS6_9null_typeES8_S8_S8_S8_S8_S8_S8_EEEEZZNS1_27merge_sort_block_merge_implIS3_NS6_6detail15normal_iteratorINS6_10device_ptrIjEEEENSD_INSE_IS9_EEEEjNS1_19radix_merge_compareILb0ELb0EjNS0_19identity_decomposerEEEEE10hipError_tT0_T1_T2_jT3_P12ihipStream_tbPNSt15iterator_traitsISN_E10value_typeEPNST_ISO_E10value_typeEPSP_NS1_7vsmem_tEENKUlT_SN_SO_SP_E_clIPjSG_PS9_SI_EESM_S12_SN_SO_SP_EUlS12_E_NS1_11comp_targetILNS1_3genE5ELNS1_11target_archE942ELNS1_3gpuE9ELNS1_3repE0EEENS1_48merge_mergepath_partition_config_static_selectorELNS0_4arch9wavefront6targetE1EEEvSO_.kd
    .uniform_work_group_size: 1
    .uses_dynamic_stack: false
    .vgpr_count:     0
    .vgpr_spill_count: 0
    .wavefront_size: 64
  - .agpr_count:     0
    .args:
      - .offset:         0
        .size:           40
        .value_kind:     by_value
    .group_segment_fixed_size: 0
    .kernarg_segment_align: 8
    .kernarg_segment_size: 40
    .language:       OpenCL C
    .language_version:
      - 2
      - 0
    .max_flat_workgroup_size: 128
    .name:           _ZN7rocprim17ROCPRIM_400000_NS6detail17trampoline_kernelINS0_14default_configENS1_38merge_sort_block_merge_config_selectorIjN6thrust23THRUST_200600_302600_NS5tupleIffNS6_9null_typeES8_S8_S8_S8_S8_S8_S8_EEEEZZNS1_27merge_sort_block_merge_implIS3_NS6_6detail15normal_iteratorINS6_10device_ptrIjEEEENSD_INSE_IS9_EEEEjNS1_19radix_merge_compareILb0ELb0EjNS0_19identity_decomposerEEEEE10hipError_tT0_T1_T2_jT3_P12ihipStream_tbPNSt15iterator_traitsISN_E10value_typeEPNST_ISO_E10value_typeEPSP_NS1_7vsmem_tEENKUlT_SN_SO_SP_E_clIPjSG_PS9_SI_EESM_S12_SN_SO_SP_EUlS12_E_NS1_11comp_targetILNS1_3genE4ELNS1_11target_archE910ELNS1_3gpuE8ELNS1_3repE0EEENS1_48merge_mergepath_partition_config_static_selectorELNS0_4arch9wavefront6targetE1EEEvSO_
    .private_segment_fixed_size: 0
    .sgpr_count:     12
    .sgpr_spill_count: 0
    .symbol:         _ZN7rocprim17ROCPRIM_400000_NS6detail17trampoline_kernelINS0_14default_configENS1_38merge_sort_block_merge_config_selectorIjN6thrust23THRUST_200600_302600_NS5tupleIffNS6_9null_typeES8_S8_S8_S8_S8_S8_S8_EEEEZZNS1_27merge_sort_block_merge_implIS3_NS6_6detail15normal_iteratorINS6_10device_ptrIjEEEENSD_INSE_IS9_EEEEjNS1_19radix_merge_compareILb0ELb0EjNS0_19identity_decomposerEEEEE10hipError_tT0_T1_T2_jT3_P12ihipStream_tbPNSt15iterator_traitsISN_E10value_typeEPNST_ISO_E10value_typeEPSP_NS1_7vsmem_tEENKUlT_SN_SO_SP_E_clIPjSG_PS9_SI_EESM_S12_SN_SO_SP_EUlS12_E_NS1_11comp_targetILNS1_3genE4ELNS1_11target_archE910ELNS1_3gpuE8ELNS1_3repE0EEENS1_48merge_mergepath_partition_config_static_selectorELNS0_4arch9wavefront6targetE1EEEvSO_.kd
    .uniform_work_group_size: 1
    .uses_dynamic_stack: false
    .vgpr_count:     17
    .vgpr_spill_count: 0
    .wavefront_size: 64
  - .agpr_count:     0
    .args:
      - .offset:         0
        .size:           40
        .value_kind:     by_value
    .group_segment_fixed_size: 0
    .kernarg_segment_align: 8
    .kernarg_segment_size: 40
    .language:       OpenCL C
    .language_version:
      - 2
      - 0
    .max_flat_workgroup_size: 128
    .name:           _ZN7rocprim17ROCPRIM_400000_NS6detail17trampoline_kernelINS0_14default_configENS1_38merge_sort_block_merge_config_selectorIjN6thrust23THRUST_200600_302600_NS5tupleIffNS6_9null_typeES8_S8_S8_S8_S8_S8_S8_EEEEZZNS1_27merge_sort_block_merge_implIS3_NS6_6detail15normal_iteratorINS6_10device_ptrIjEEEENSD_INSE_IS9_EEEEjNS1_19radix_merge_compareILb0ELb0EjNS0_19identity_decomposerEEEEE10hipError_tT0_T1_T2_jT3_P12ihipStream_tbPNSt15iterator_traitsISN_E10value_typeEPNST_ISO_E10value_typeEPSP_NS1_7vsmem_tEENKUlT_SN_SO_SP_E_clIPjSG_PS9_SI_EESM_S12_SN_SO_SP_EUlS12_E_NS1_11comp_targetILNS1_3genE3ELNS1_11target_archE908ELNS1_3gpuE7ELNS1_3repE0EEENS1_48merge_mergepath_partition_config_static_selectorELNS0_4arch9wavefront6targetE1EEEvSO_
    .private_segment_fixed_size: 0
    .sgpr_count:     4
    .sgpr_spill_count: 0
    .symbol:         _ZN7rocprim17ROCPRIM_400000_NS6detail17trampoline_kernelINS0_14default_configENS1_38merge_sort_block_merge_config_selectorIjN6thrust23THRUST_200600_302600_NS5tupleIffNS6_9null_typeES8_S8_S8_S8_S8_S8_S8_EEEEZZNS1_27merge_sort_block_merge_implIS3_NS6_6detail15normal_iteratorINS6_10device_ptrIjEEEENSD_INSE_IS9_EEEEjNS1_19radix_merge_compareILb0ELb0EjNS0_19identity_decomposerEEEEE10hipError_tT0_T1_T2_jT3_P12ihipStream_tbPNSt15iterator_traitsISN_E10value_typeEPNST_ISO_E10value_typeEPSP_NS1_7vsmem_tEENKUlT_SN_SO_SP_E_clIPjSG_PS9_SI_EESM_S12_SN_SO_SP_EUlS12_E_NS1_11comp_targetILNS1_3genE3ELNS1_11target_archE908ELNS1_3gpuE7ELNS1_3repE0EEENS1_48merge_mergepath_partition_config_static_selectorELNS0_4arch9wavefront6targetE1EEEvSO_.kd
    .uniform_work_group_size: 1
    .uses_dynamic_stack: false
    .vgpr_count:     0
    .vgpr_spill_count: 0
    .wavefront_size: 64
  - .agpr_count:     0
    .args:
      - .offset:         0
        .size:           40
        .value_kind:     by_value
    .group_segment_fixed_size: 0
    .kernarg_segment_align: 8
    .kernarg_segment_size: 40
    .language:       OpenCL C
    .language_version:
      - 2
      - 0
    .max_flat_workgroup_size: 128
    .name:           _ZN7rocprim17ROCPRIM_400000_NS6detail17trampoline_kernelINS0_14default_configENS1_38merge_sort_block_merge_config_selectorIjN6thrust23THRUST_200600_302600_NS5tupleIffNS6_9null_typeES8_S8_S8_S8_S8_S8_S8_EEEEZZNS1_27merge_sort_block_merge_implIS3_NS6_6detail15normal_iteratorINS6_10device_ptrIjEEEENSD_INSE_IS9_EEEEjNS1_19radix_merge_compareILb0ELb0EjNS0_19identity_decomposerEEEEE10hipError_tT0_T1_T2_jT3_P12ihipStream_tbPNSt15iterator_traitsISN_E10value_typeEPNST_ISO_E10value_typeEPSP_NS1_7vsmem_tEENKUlT_SN_SO_SP_E_clIPjSG_PS9_SI_EESM_S12_SN_SO_SP_EUlS12_E_NS1_11comp_targetILNS1_3genE2ELNS1_11target_archE906ELNS1_3gpuE6ELNS1_3repE0EEENS1_48merge_mergepath_partition_config_static_selectorELNS0_4arch9wavefront6targetE1EEEvSO_
    .private_segment_fixed_size: 0
    .sgpr_count:     4
    .sgpr_spill_count: 0
    .symbol:         _ZN7rocprim17ROCPRIM_400000_NS6detail17trampoline_kernelINS0_14default_configENS1_38merge_sort_block_merge_config_selectorIjN6thrust23THRUST_200600_302600_NS5tupleIffNS6_9null_typeES8_S8_S8_S8_S8_S8_S8_EEEEZZNS1_27merge_sort_block_merge_implIS3_NS6_6detail15normal_iteratorINS6_10device_ptrIjEEEENSD_INSE_IS9_EEEEjNS1_19radix_merge_compareILb0ELb0EjNS0_19identity_decomposerEEEEE10hipError_tT0_T1_T2_jT3_P12ihipStream_tbPNSt15iterator_traitsISN_E10value_typeEPNST_ISO_E10value_typeEPSP_NS1_7vsmem_tEENKUlT_SN_SO_SP_E_clIPjSG_PS9_SI_EESM_S12_SN_SO_SP_EUlS12_E_NS1_11comp_targetILNS1_3genE2ELNS1_11target_archE906ELNS1_3gpuE6ELNS1_3repE0EEENS1_48merge_mergepath_partition_config_static_selectorELNS0_4arch9wavefront6targetE1EEEvSO_.kd
    .uniform_work_group_size: 1
    .uses_dynamic_stack: false
    .vgpr_count:     0
    .vgpr_spill_count: 0
    .wavefront_size: 64
  - .agpr_count:     0
    .args:
      - .offset:         0
        .size:           40
        .value_kind:     by_value
    .group_segment_fixed_size: 0
    .kernarg_segment_align: 8
    .kernarg_segment_size: 40
    .language:       OpenCL C
    .language_version:
      - 2
      - 0
    .max_flat_workgroup_size: 128
    .name:           _ZN7rocprim17ROCPRIM_400000_NS6detail17trampoline_kernelINS0_14default_configENS1_38merge_sort_block_merge_config_selectorIjN6thrust23THRUST_200600_302600_NS5tupleIffNS6_9null_typeES8_S8_S8_S8_S8_S8_S8_EEEEZZNS1_27merge_sort_block_merge_implIS3_NS6_6detail15normal_iteratorINS6_10device_ptrIjEEEENSD_INSE_IS9_EEEEjNS1_19radix_merge_compareILb0ELb0EjNS0_19identity_decomposerEEEEE10hipError_tT0_T1_T2_jT3_P12ihipStream_tbPNSt15iterator_traitsISN_E10value_typeEPNST_ISO_E10value_typeEPSP_NS1_7vsmem_tEENKUlT_SN_SO_SP_E_clIPjSG_PS9_SI_EESM_S12_SN_SO_SP_EUlS12_E_NS1_11comp_targetILNS1_3genE9ELNS1_11target_archE1100ELNS1_3gpuE3ELNS1_3repE0EEENS1_48merge_mergepath_partition_config_static_selectorELNS0_4arch9wavefront6targetE1EEEvSO_
    .private_segment_fixed_size: 0
    .sgpr_count:     4
    .sgpr_spill_count: 0
    .symbol:         _ZN7rocprim17ROCPRIM_400000_NS6detail17trampoline_kernelINS0_14default_configENS1_38merge_sort_block_merge_config_selectorIjN6thrust23THRUST_200600_302600_NS5tupleIffNS6_9null_typeES8_S8_S8_S8_S8_S8_S8_EEEEZZNS1_27merge_sort_block_merge_implIS3_NS6_6detail15normal_iteratorINS6_10device_ptrIjEEEENSD_INSE_IS9_EEEEjNS1_19radix_merge_compareILb0ELb0EjNS0_19identity_decomposerEEEEE10hipError_tT0_T1_T2_jT3_P12ihipStream_tbPNSt15iterator_traitsISN_E10value_typeEPNST_ISO_E10value_typeEPSP_NS1_7vsmem_tEENKUlT_SN_SO_SP_E_clIPjSG_PS9_SI_EESM_S12_SN_SO_SP_EUlS12_E_NS1_11comp_targetILNS1_3genE9ELNS1_11target_archE1100ELNS1_3gpuE3ELNS1_3repE0EEENS1_48merge_mergepath_partition_config_static_selectorELNS0_4arch9wavefront6targetE1EEEvSO_.kd
    .uniform_work_group_size: 1
    .uses_dynamic_stack: false
    .vgpr_count:     0
    .vgpr_spill_count: 0
    .wavefront_size: 64
  - .agpr_count:     0
    .args:
      - .offset:         0
        .size:           40
        .value_kind:     by_value
    .group_segment_fixed_size: 0
    .kernarg_segment_align: 8
    .kernarg_segment_size: 40
    .language:       OpenCL C
    .language_version:
      - 2
      - 0
    .max_flat_workgroup_size: 128
    .name:           _ZN7rocprim17ROCPRIM_400000_NS6detail17trampoline_kernelINS0_14default_configENS1_38merge_sort_block_merge_config_selectorIjN6thrust23THRUST_200600_302600_NS5tupleIffNS6_9null_typeES8_S8_S8_S8_S8_S8_S8_EEEEZZNS1_27merge_sort_block_merge_implIS3_NS6_6detail15normal_iteratorINS6_10device_ptrIjEEEENSD_INSE_IS9_EEEEjNS1_19radix_merge_compareILb0ELb0EjNS0_19identity_decomposerEEEEE10hipError_tT0_T1_T2_jT3_P12ihipStream_tbPNSt15iterator_traitsISN_E10value_typeEPNST_ISO_E10value_typeEPSP_NS1_7vsmem_tEENKUlT_SN_SO_SP_E_clIPjSG_PS9_SI_EESM_S12_SN_SO_SP_EUlS12_E_NS1_11comp_targetILNS1_3genE8ELNS1_11target_archE1030ELNS1_3gpuE2ELNS1_3repE0EEENS1_48merge_mergepath_partition_config_static_selectorELNS0_4arch9wavefront6targetE1EEEvSO_
    .private_segment_fixed_size: 0
    .sgpr_count:     4
    .sgpr_spill_count: 0
    .symbol:         _ZN7rocprim17ROCPRIM_400000_NS6detail17trampoline_kernelINS0_14default_configENS1_38merge_sort_block_merge_config_selectorIjN6thrust23THRUST_200600_302600_NS5tupleIffNS6_9null_typeES8_S8_S8_S8_S8_S8_S8_EEEEZZNS1_27merge_sort_block_merge_implIS3_NS6_6detail15normal_iteratorINS6_10device_ptrIjEEEENSD_INSE_IS9_EEEEjNS1_19radix_merge_compareILb0ELb0EjNS0_19identity_decomposerEEEEE10hipError_tT0_T1_T2_jT3_P12ihipStream_tbPNSt15iterator_traitsISN_E10value_typeEPNST_ISO_E10value_typeEPSP_NS1_7vsmem_tEENKUlT_SN_SO_SP_E_clIPjSG_PS9_SI_EESM_S12_SN_SO_SP_EUlS12_E_NS1_11comp_targetILNS1_3genE8ELNS1_11target_archE1030ELNS1_3gpuE2ELNS1_3repE0EEENS1_48merge_mergepath_partition_config_static_selectorELNS0_4arch9wavefront6targetE1EEEvSO_.kd
    .uniform_work_group_size: 1
    .uses_dynamic_stack: false
    .vgpr_count:     0
    .vgpr_spill_count: 0
    .wavefront_size: 64
  - .agpr_count:     0
    .args:
      - .offset:         0
        .size:           64
        .value_kind:     by_value
    .group_segment_fixed_size: 0
    .kernarg_segment_align: 8
    .kernarg_segment_size: 64
    .language:       OpenCL C
    .language_version:
      - 2
      - 0
    .max_flat_workgroup_size: 512
    .name:           _ZN7rocprim17ROCPRIM_400000_NS6detail17trampoline_kernelINS0_14default_configENS1_38merge_sort_block_merge_config_selectorIjN6thrust23THRUST_200600_302600_NS5tupleIffNS6_9null_typeES8_S8_S8_S8_S8_S8_S8_EEEEZZNS1_27merge_sort_block_merge_implIS3_NS6_6detail15normal_iteratorINS6_10device_ptrIjEEEENSD_INSE_IS9_EEEEjNS1_19radix_merge_compareILb0ELb0EjNS0_19identity_decomposerEEEEE10hipError_tT0_T1_T2_jT3_P12ihipStream_tbPNSt15iterator_traitsISN_E10value_typeEPNST_ISO_E10value_typeEPSP_NS1_7vsmem_tEENKUlT_SN_SO_SP_E_clIPjSG_PS9_SI_EESM_S12_SN_SO_SP_EUlS12_E0_NS1_11comp_targetILNS1_3genE0ELNS1_11target_archE4294967295ELNS1_3gpuE0ELNS1_3repE0EEENS1_38merge_mergepath_config_static_selectorELNS0_4arch9wavefront6targetE1EEEvSO_
    .private_segment_fixed_size: 0
    .sgpr_count:     4
    .sgpr_spill_count: 0
    .symbol:         _ZN7rocprim17ROCPRIM_400000_NS6detail17trampoline_kernelINS0_14default_configENS1_38merge_sort_block_merge_config_selectorIjN6thrust23THRUST_200600_302600_NS5tupleIffNS6_9null_typeES8_S8_S8_S8_S8_S8_S8_EEEEZZNS1_27merge_sort_block_merge_implIS3_NS6_6detail15normal_iteratorINS6_10device_ptrIjEEEENSD_INSE_IS9_EEEEjNS1_19radix_merge_compareILb0ELb0EjNS0_19identity_decomposerEEEEE10hipError_tT0_T1_T2_jT3_P12ihipStream_tbPNSt15iterator_traitsISN_E10value_typeEPNST_ISO_E10value_typeEPSP_NS1_7vsmem_tEENKUlT_SN_SO_SP_E_clIPjSG_PS9_SI_EESM_S12_SN_SO_SP_EUlS12_E0_NS1_11comp_targetILNS1_3genE0ELNS1_11target_archE4294967295ELNS1_3gpuE0ELNS1_3repE0EEENS1_38merge_mergepath_config_static_selectorELNS0_4arch9wavefront6targetE1EEEvSO_.kd
    .uniform_work_group_size: 1
    .uses_dynamic_stack: false
    .vgpr_count:     0
    .vgpr_spill_count: 0
    .wavefront_size: 64
  - .agpr_count:     0
    .args:
      - .offset:         0
        .size:           64
        .value_kind:     by_value
    .group_segment_fixed_size: 0
    .kernarg_segment_align: 8
    .kernarg_segment_size: 64
    .language:       OpenCL C
    .language_version:
      - 2
      - 0
    .max_flat_workgroup_size: 512
    .name:           _ZN7rocprim17ROCPRIM_400000_NS6detail17trampoline_kernelINS0_14default_configENS1_38merge_sort_block_merge_config_selectorIjN6thrust23THRUST_200600_302600_NS5tupleIffNS6_9null_typeES8_S8_S8_S8_S8_S8_S8_EEEEZZNS1_27merge_sort_block_merge_implIS3_NS6_6detail15normal_iteratorINS6_10device_ptrIjEEEENSD_INSE_IS9_EEEEjNS1_19radix_merge_compareILb0ELb0EjNS0_19identity_decomposerEEEEE10hipError_tT0_T1_T2_jT3_P12ihipStream_tbPNSt15iterator_traitsISN_E10value_typeEPNST_ISO_E10value_typeEPSP_NS1_7vsmem_tEENKUlT_SN_SO_SP_E_clIPjSG_PS9_SI_EESM_S12_SN_SO_SP_EUlS12_E0_NS1_11comp_targetILNS1_3genE10ELNS1_11target_archE1201ELNS1_3gpuE5ELNS1_3repE0EEENS1_38merge_mergepath_config_static_selectorELNS0_4arch9wavefront6targetE1EEEvSO_
    .private_segment_fixed_size: 0
    .sgpr_count:     4
    .sgpr_spill_count: 0
    .symbol:         _ZN7rocprim17ROCPRIM_400000_NS6detail17trampoline_kernelINS0_14default_configENS1_38merge_sort_block_merge_config_selectorIjN6thrust23THRUST_200600_302600_NS5tupleIffNS6_9null_typeES8_S8_S8_S8_S8_S8_S8_EEEEZZNS1_27merge_sort_block_merge_implIS3_NS6_6detail15normal_iteratorINS6_10device_ptrIjEEEENSD_INSE_IS9_EEEEjNS1_19radix_merge_compareILb0ELb0EjNS0_19identity_decomposerEEEEE10hipError_tT0_T1_T2_jT3_P12ihipStream_tbPNSt15iterator_traitsISN_E10value_typeEPNST_ISO_E10value_typeEPSP_NS1_7vsmem_tEENKUlT_SN_SO_SP_E_clIPjSG_PS9_SI_EESM_S12_SN_SO_SP_EUlS12_E0_NS1_11comp_targetILNS1_3genE10ELNS1_11target_archE1201ELNS1_3gpuE5ELNS1_3repE0EEENS1_38merge_mergepath_config_static_selectorELNS0_4arch9wavefront6targetE1EEEvSO_.kd
    .uniform_work_group_size: 1
    .uses_dynamic_stack: false
    .vgpr_count:     0
    .vgpr_spill_count: 0
    .wavefront_size: 64
  - .agpr_count:     0
    .args:
      - .offset:         0
        .size:           64
        .value_kind:     by_value
    .group_segment_fixed_size: 0
    .kernarg_segment_align: 8
    .kernarg_segment_size: 64
    .language:       OpenCL C
    .language_version:
      - 2
      - 0
    .max_flat_workgroup_size: 256
    .name:           _ZN7rocprim17ROCPRIM_400000_NS6detail17trampoline_kernelINS0_14default_configENS1_38merge_sort_block_merge_config_selectorIjN6thrust23THRUST_200600_302600_NS5tupleIffNS6_9null_typeES8_S8_S8_S8_S8_S8_S8_EEEEZZNS1_27merge_sort_block_merge_implIS3_NS6_6detail15normal_iteratorINS6_10device_ptrIjEEEENSD_INSE_IS9_EEEEjNS1_19radix_merge_compareILb0ELb0EjNS0_19identity_decomposerEEEEE10hipError_tT0_T1_T2_jT3_P12ihipStream_tbPNSt15iterator_traitsISN_E10value_typeEPNST_ISO_E10value_typeEPSP_NS1_7vsmem_tEENKUlT_SN_SO_SP_E_clIPjSG_PS9_SI_EESM_S12_SN_SO_SP_EUlS12_E0_NS1_11comp_targetILNS1_3genE5ELNS1_11target_archE942ELNS1_3gpuE9ELNS1_3repE0EEENS1_38merge_mergepath_config_static_selectorELNS0_4arch9wavefront6targetE1EEEvSO_
    .private_segment_fixed_size: 0
    .sgpr_count:     4
    .sgpr_spill_count: 0
    .symbol:         _ZN7rocprim17ROCPRIM_400000_NS6detail17trampoline_kernelINS0_14default_configENS1_38merge_sort_block_merge_config_selectorIjN6thrust23THRUST_200600_302600_NS5tupleIffNS6_9null_typeES8_S8_S8_S8_S8_S8_S8_EEEEZZNS1_27merge_sort_block_merge_implIS3_NS6_6detail15normal_iteratorINS6_10device_ptrIjEEEENSD_INSE_IS9_EEEEjNS1_19radix_merge_compareILb0ELb0EjNS0_19identity_decomposerEEEEE10hipError_tT0_T1_T2_jT3_P12ihipStream_tbPNSt15iterator_traitsISN_E10value_typeEPNST_ISO_E10value_typeEPSP_NS1_7vsmem_tEENKUlT_SN_SO_SP_E_clIPjSG_PS9_SI_EESM_S12_SN_SO_SP_EUlS12_E0_NS1_11comp_targetILNS1_3genE5ELNS1_11target_archE942ELNS1_3gpuE9ELNS1_3repE0EEENS1_38merge_mergepath_config_static_selectorELNS0_4arch9wavefront6targetE1EEEvSO_.kd
    .uniform_work_group_size: 1
    .uses_dynamic_stack: false
    .vgpr_count:     0
    .vgpr_spill_count: 0
    .wavefront_size: 64
  - .agpr_count:     0
    .args:
      - .offset:         0
        .size:           64
        .value_kind:     by_value
      - .offset:         64
        .size:           4
        .value_kind:     hidden_block_count_x
      - .offset:         68
        .size:           4
        .value_kind:     hidden_block_count_y
      - .offset:         72
        .size:           4
        .value_kind:     hidden_block_count_z
      - .offset:         76
        .size:           2
        .value_kind:     hidden_group_size_x
      - .offset:         78
        .size:           2
        .value_kind:     hidden_group_size_y
      - .offset:         80
        .size:           2
        .value_kind:     hidden_group_size_z
      - .offset:         82
        .size:           2
        .value_kind:     hidden_remainder_x
      - .offset:         84
        .size:           2
        .value_kind:     hidden_remainder_y
      - .offset:         86
        .size:           2
        .value_kind:     hidden_remainder_z
      - .offset:         104
        .size:           8
        .value_kind:     hidden_global_offset_x
      - .offset:         112
        .size:           8
        .value_kind:     hidden_global_offset_y
      - .offset:         120
        .size:           8
        .value_kind:     hidden_global_offset_z
      - .offset:         128
        .size:           2
        .value_kind:     hidden_grid_dims
    .group_segment_fixed_size: 8448
    .kernarg_segment_align: 8
    .kernarg_segment_size: 320
    .language:       OpenCL C
    .language_version:
      - 2
      - 0
    .max_flat_workgroup_size: 256
    .name:           _ZN7rocprim17ROCPRIM_400000_NS6detail17trampoline_kernelINS0_14default_configENS1_38merge_sort_block_merge_config_selectorIjN6thrust23THRUST_200600_302600_NS5tupleIffNS6_9null_typeES8_S8_S8_S8_S8_S8_S8_EEEEZZNS1_27merge_sort_block_merge_implIS3_NS6_6detail15normal_iteratorINS6_10device_ptrIjEEEENSD_INSE_IS9_EEEEjNS1_19radix_merge_compareILb0ELb0EjNS0_19identity_decomposerEEEEE10hipError_tT0_T1_T2_jT3_P12ihipStream_tbPNSt15iterator_traitsISN_E10value_typeEPNST_ISO_E10value_typeEPSP_NS1_7vsmem_tEENKUlT_SN_SO_SP_E_clIPjSG_PS9_SI_EESM_S12_SN_SO_SP_EUlS12_E0_NS1_11comp_targetILNS1_3genE4ELNS1_11target_archE910ELNS1_3gpuE8ELNS1_3repE0EEENS1_38merge_mergepath_config_static_selectorELNS0_4arch9wavefront6targetE1EEEvSO_
    .private_segment_fixed_size: 0
    .sgpr_count:     34
    .sgpr_spill_count: 0
    .symbol:         _ZN7rocprim17ROCPRIM_400000_NS6detail17trampoline_kernelINS0_14default_configENS1_38merge_sort_block_merge_config_selectorIjN6thrust23THRUST_200600_302600_NS5tupleIffNS6_9null_typeES8_S8_S8_S8_S8_S8_S8_EEEEZZNS1_27merge_sort_block_merge_implIS3_NS6_6detail15normal_iteratorINS6_10device_ptrIjEEEENSD_INSE_IS9_EEEEjNS1_19radix_merge_compareILb0ELb0EjNS0_19identity_decomposerEEEEE10hipError_tT0_T1_T2_jT3_P12ihipStream_tbPNSt15iterator_traitsISN_E10value_typeEPNST_ISO_E10value_typeEPSP_NS1_7vsmem_tEENKUlT_SN_SO_SP_E_clIPjSG_PS9_SI_EESM_S12_SN_SO_SP_EUlS12_E0_NS1_11comp_targetILNS1_3genE4ELNS1_11target_archE910ELNS1_3gpuE8ELNS1_3repE0EEENS1_38merge_mergepath_config_static_selectorELNS0_4arch9wavefront6targetE1EEEvSO_.kd
    .uniform_work_group_size: 1
    .uses_dynamic_stack: false
    .vgpr_count:     35
    .vgpr_spill_count: 0
    .wavefront_size: 64
  - .agpr_count:     0
    .args:
      - .offset:         0
        .size:           64
        .value_kind:     by_value
    .group_segment_fixed_size: 0
    .kernarg_segment_align: 8
    .kernarg_segment_size: 64
    .language:       OpenCL C
    .language_version:
      - 2
      - 0
    .max_flat_workgroup_size: 512
    .name:           _ZN7rocprim17ROCPRIM_400000_NS6detail17trampoline_kernelINS0_14default_configENS1_38merge_sort_block_merge_config_selectorIjN6thrust23THRUST_200600_302600_NS5tupleIffNS6_9null_typeES8_S8_S8_S8_S8_S8_S8_EEEEZZNS1_27merge_sort_block_merge_implIS3_NS6_6detail15normal_iteratorINS6_10device_ptrIjEEEENSD_INSE_IS9_EEEEjNS1_19radix_merge_compareILb0ELb0EjNS0_19identity_decomposerEEEEE10hipError_tT0_T1_T2_jT3_P12ihipStream_tbPNSt15iterator_traitsISN_E10value_typeEPNST_ISO_E10value_typeEPSP_NS1_7vsmem_tEENKUlT_SN_SO_SP_E_clIPjSG_PS9_SI_EESM_S12_SN_SO_SP_EUlS12_E0_NS1_11comp_targetILNS1_3genE3ELNS1_11target_archE908ELNS1_3gpuE7ELNS1_3repE0EEENS1_38merge_mergepath_config_static_selectorELNS0_4arch9wavefront6targetE1EEEvSO_
    .private_segment_fixed_size: 0
    .sgpr_count:     4
    .sgpr_spill_count: 0
    .symbol:         _ZN7rocprim17ROCPRIM_400000_NS6detail17trampoline_kernelINS0_14default_configENS1_38merge_sort_block_merge_config_selectorIjN6thrust23THRUST_200600_302600_NS5tupleIffNS6_9null_typeES8_S8_S8_S8_S8_S8_S8_EEEEZZNS1_27merge_sort_block_merge_implIS3_NS6_6detail15normal_iteratorINS6_10device_ptrIjEEEENSD_INSE_IS9_EEEEjNS1_19radix_merge_compareILb0ELb0EjNS0_19identity_decomposerEEEEE10hipError_tT0_T1_T2_jT3_P12ihipStream_tbPNSt15iterator_traitsISN_E10value_typeEPNST_ISO_E10value_typeEPSP_NS1_7vsmem_tEENKUlT_SN_SO_SP_E_clIPjSG_PS9_SI_EESM_S12_SN_SO_SP_EUlS12_E0_NS1_11comp_targetILNS1_3genE3ELNS1_11target_archE908ELNS1_3gpuE7ELNS1_3repE0EEENS1_38merge_mergepath_config_static_selectorELNS0_4arch9wavefront6targetE1EEEvSO_.kd
    .uniform_work_group_size: 1
    .uses_dynamic_stack: false
    .vgpr_count:     0
    .vgpr_spill_count: 0
    .wavefront_size: 64
  - .agpr_count:     0
    .args:
      - .offset:         0
        .size:           64
        .value_kind:     by_value
    .group_segment_fixed_size: 0
    .kernarg_segment_align: 8
    .kernarg_segment_size: 64
    .language:       OpenCL C
    .language_version:
      - 2
      - 0
    .max_flat_workgroup_size: 256
    .name:           _ZN7rocprim17ROCPRIM_400000_NS6detail17trampoline_kernelINS0_14default_configENS1_38merge_sort_block_merge_config_selectorIjN6thrust23THRUST_200600_302600_NS5tupleIffNS6_9null_typeES8_S8_S8_S8_S8_S8_S8_EEEEZZNS1_27merge_sort_block_merge_implIS3_NS6_6detail15normal_iteratorINS6_10device_ptrIjEEEENSD_INSE_IS9_EEEEjNS1_19radix_merge_compareILb0ELb0EjNS0_19identity_decomposerEEEEE10hipError_tT0_T1_T2_jT3_P12ihipStream_tbPNSt15iterator_traitsISN_E10value_typeEPNST_ISO_E10value_typeEPSP_NS1_7vsmem_tEENKUlT_SN_SO_SP_E_clIPjSG_PS9_SI_EESM_S12_SN_SO_SP_EUlS12_E0_NS1_11comp_targetILNS1_3genE2ELNS1_11target_archE906ELNS1_3gpuE6ELNS1_3repE0EEENS1_38merge_mergepath_config_static_selectorELNS0_4arch9wavefront6targetE1EEEvSO_
    .private_segment_fixed_size: 0
    .sgpr_count:     4
    .sgpr_spill_count: 0
    .symbol:         _ZN7rocprim17ROCPRIM_400000_NS6detail17trampoline_kernelINS0_14default_configENS1_38merge_sort_block_merge_config_selectorIjN6thrust23THRUST_200600_302600_NS5tupleIffNS6_9null_typeES8_S8_S8_S8_S8_S8_S8_EEEEZZNS1_27merge_sort_block_merge_implIS3_NS6_6detail15normal_iteratorINS6_10device_ptrIjEEEENSD_INSE_IS9_EEEEjNS1_19radix_merge_compareILb0ELb0EjNS0_19identity_decomposerEEEEE10hipError_tT0_T1_T2_jT3_P12ihipStream_tbPNSt15iterator_traitsISN_E10value_typeEPNST_ISO_E10value_typeEPSP_NS1_7vsmem_tEENKUlT_SN_SO_SP_E_clIPjSG_PS9_SI_EESM_S12_SN_SO_SP_EUlS12_E0_NS1_11comp_targetILNS1_3genE2ELNS1_11target_archE906ELNS1_3gpuE6ELNS1_3repE0EEENS1_38merge_mergepath_config_static_selectorELNS0_4arch9wavefront6targetE1EEEvSO_.kd
    .uniform_work_group_size: 1
    .uses_dynamic_stack: false
    .vgpr_count:     0
    .vgpr_spill_count: 0
    .wavefront_size: 64
  - .agpr_count:     0
    .args:
      - .offset:         0
        .size:           64
        .value_kind:     by_value
    .group_segment_fixed_size: 0
    .kernarg_segment_align: 8
    .kernarg_segment_size: 64
    .language:       OpenCL C
    .language_version:
      - 2
      - 0
    .max_flat_workgroup_size: 512
    .name:           _ZN7rocprim17ROCPRIM_400000_NS6detail17trampoline_kernelINS0_14default_configENS1_38merge_sort_block_merge_config_selectorIjN6thrust23THRUST_200600_302600_NS5tupleIffNS6_9null_typeES8_S8_S8_S8_S8_S8_S8_EEEEZZNS1_27merge_sort_block_merge_implIS3_NS6_6detail15normal_iteratorINS6_10device_ptrIjEEEENSD_INSE_IS9_EEEEjNS1_19radix_merge_compareILb0ELb0EjNS0_19identity_decomposerEEEEE10hipError_tT0_T1_T2_jT3_P12ihipStream_tbPNSt15iterator_traitsISN_E10value_typeEPNST_ISO_E10value_typeEPSP_NS1_7vsmem_tEENKUlT_SN_SO_SP_E_clIPjSG_PS9_SI_EESM_S12_SN_SO_SP_EUlS12_E0_NS1_11comp_targetILNS1_3genE9ELNS1_11target_archE1100ELNS1_3gpuE3ELNS1_3repE0EEENS1_38merge_mergepath_config_static_selectorELNS0_4arch9wavefront6targetE1EEEvSO_
    .private_segment_fixed_size: 0
    .sgpr_count:     4
    .sgpr_spill_count: 0
    .symbol:         _ZN7rocprim17ROCPRIM_400000_NS6detail17trampoline_kernelINS0_14default_configENS1_38merge_sort_block_merge_config_selectorIjN6thrust23THRUST_200600_302600_NS5tupleIffNS6_9null_typeES8_S8_S8_S8_S8_S8_S8_EEEEZZNS1_27merge_sort_block_merge_implIS3_NS6_6detail15normal_iteratorINS6_10device_ptrIjEEEENSD_INSE_IS9_EEEEjNS1_19radix_merge_compareILb0ELb0EjNS0_19identity_decomposerEEEEE10hipError_tT0_T1_T2_jT3_P12ihipStream_tbPNSt15iterator_traitsISN_E10value_typeEPNST_ISO_E10value_typeEPSP_NS1_7vsmem_tEENKUlT_SN_SO_SP_E_clIPjSG_PS9_SI_EESM_S12_SN_SO_SP_EUlS12_E0_NS1_11comp_targetILNS1_3genE9ELNS1_11target_archE1100ELNS1_3gpuE3ELNS1_3repE0EEENS1_38merge_mergepath_config_static_selectorELNS0_4arch9wavefront6targetE1EEEvSO_.kd
    .uniform_work_group_size: 1
    .uses_dynamic_stack: false
    .vgpr_count:     0
    .vgpr_spill_count: 0
    .wavefront_size: 64
  - .agpr_count:     0
    .args:
      - .offset:         0
        .size:           64
        .value_kind:     by_value
    .group_segment_fixed_size: 0
    .kernarg_segment_align: 8
    .kernarg_segment_size: 64
    .language:       OpenCL C
    .language_version:
      - 2
      - 0
    .max_flat_workgroup_size: 1024
    .name:           _ZN7rocprim17ROCPRIM_400000_NS6detail17trampoline_kernelINS0_14default_configENS1_38merge_sort_block_merge_config_selectorIjN6thrust23THRUST_200600_302600_NS5tupleIffNS6_9null_typeES8_S8_S8_S8_S8_S8_S8_EEEEZZNS1_27merge_sort_block_merge_implIS3_NS6_6detail15normal_iteratorINS6_10device_ptrIjEEEENSD_INSE_IS9_EEEEjNS1_19radix_merge_compareILb0ELb0EjNS0_19identity_decomposerEEEEE10hipError_tT0_T1_T2_jT3_P12ihipStream_tbPNSt15iterator_traitsISN_E10value_typeEPNST_ISO_E10value_typeEPSP_NS1_7vsmem_tEENKUlT_SN_SO_SP_E_clIPjSG_PS9_SI_EESM_S12_SN_SO_SP_EUlS12_E0_NS1_11comp_targetILNS1_3genE8ELNS1_11target_archE1030ELNS1_3gpuE2ELNS1_3repE0EEENS1_38merge_mergepath_config_static_selectorELNS0_4arch9wavefront6targetE1EEEvSO_
    .private_segment_fixed_size: 0
    .sgpr_count:     4
    .sgpr_spill_count: 0
    .symbol:         _ZN7rocprim17ROCPRIM_400000_NS6detail17trampoline_kernelINS0_14default_configENS1_38merge_sort_block_merge_config_selectorIjN6thrust23THRUST_200600_302600_NS5tupleIffNS6_9null_typeES8_S8_S8_S8_S8_S8_S8_EEEEZZNS1_27merge_sort_block_merge_implIS3_NS6_6detail15normal_iteratorINS6_10device_ptrIjEEEENSD_INSE_IS9_EEEEjNS1_19radix_merge_compareILb0ELb0EjNS0_19identity_decomposerEEEEE10hipError_tT0_T1_T2_jT3_P12ihipStream_tbPNSt15iterator_traitsISN_E10value_typeEPNST_ISO_E10value_typeEPSP_NS1_7vsmem_tEENKUlT_SN_SO_SP_E_clIPjSG_PS9_SI_EESM_S12_SN_SO_SP_EUlS12_E0_NS1_11comp_targetILNS1_3genE8ELNS1_11target_archE1030ELNS1_3gpuE2ELNS1_3repE0EEENS1_38merge_mergepath_config_static_selectorELNS0_4arch9wavefront6targetE1EEEvSO_.kd
    .uniform_work_group_size: 1
    .uses_dynamic_stack: false
    .vgpr_count:     0
    .vgpr_spill_count: 0
    .wavefront_size: 64
  - .agpr_count:     0
    .args:
      - .offset:         0
        .size:           48
        .value_kind:     by_value
    .group_segment_fixed_size: 0
    .kernarg_segment_align: 8
    .kernarg_segment_size: 48
    .language:       OpenCL C
    .language_version:
      - 2
      - 0
    .max_flat_workgroup_size: 256
    .name:           _ZN7rocprim17ROCPRIM_400000_NS6detail17trampoline_kernelINS0_14default_configENS1_38merge_sort_block_merge_config_selectorIjN6thrust23THRUST_200600_302600_NS5tupleIffNS6_9null_typeES8_S8_S8_S8_S8_S8_S8_EEEEZZNS1_27merge_sort_block_merge_implIS3_NS6_6detail15normal_iteratorINS6_10device_ptrIjEEEENSD_INSE_IS9_EEEEjNS1_19radix_merge_compareILb0ELb0EjNS0_19identity_decomposerEEEEE10hipError_tT0_T1_T2_jT3_P12ihipStream_tbPNSt15iterator_traitsISN_E10value_typeEPNST_ISO_E10value_typeEPSP_NS1_7vsmem_tEENKUlT_SN_SO_SP_E_clIPjSG_PS9_SI_EESM_S12_SN_SO_SP_EUlS12_E1_NS1_11comp_targetILNS1_3genE0ELNS1_11target_archE4294967295ELNS1_3gpuE0ELNS1_3repE0EEENS1_36merge_oddeven_config_static_selectorELNS0_4arch9wavefront6targetE1EEEvSO_
    .private_segment_fixed_size: 0
    .sgpr_count:     4
    .sgpr_spill_count: 0
    .symbol:         _ZN7rocprim17ROCPRIM_400000_NS6detail17trampoline_kernelINS0_14default_configENS1_38merge_sort_block_merge_config_selectorIjN6thrust23THRUST_200600_302600_NS5tupleIffNS6_9null_typeES8_S8_S8_S8_S8_S8_S8_EEEEZZNS1_27merge_sort_block_merge_implIS3_NS6_6detail15normal_iteratorINS6_10device_ptrIjEEEENSD_INSE_IS9_EEEEjNS1_19radix_merge_compareILb0ELb0EjNS0_19identity_decomposerEEEEE10hipError_tT0_T1_T2_jT3_P12ihipStream_tbPNSt15iterator_traitsISN_E10value_typeEPNST_ISO_E10value_typeEPSP_NS1_7vsmem_tEENKUlT_SN_SO_SP_E_clIPjSG_PS9_SI_EESM_S12_SN_SO_SP_EUlS12_E1_NS1_11comp_targetILNS1_3genE0ELNS1_11target_archE4294967295ELNS1_3gpuE0ELNS1_3repE0EEENS1_36merge_oddeven_config_static_selectorELNS0_4arch9wavefront6targetE1EEEvSO_.kd
    .uniform_work_group_size: 1
    .uses_dynamic_stack: false
    .vgpr_count:     0
    .vgpr_spill_count: 0
    .wavefront_size: 64
  - .agpr_count:     0
    .args:
      - .offset:         0
        .size:           48
        .value_kind:     by_value
    .group_segment_fixed_size: 0
    .kernarg_segment_align: 8
    .kernarg_segment_size: 48
    .language:       OpenCL C
    .language_version:
      - 2
      - 0
    .max_flat_workgroup_size: 256
    .name:           _ZN7rocprim17ROCPRIM_400000_NS6detail17trampoline_kernelINS0_14default_configENS1_38merge_sort_block_merge_config_selectorIjN6thrust23THRUST_200600_302600_NS5tupleIffNS6_9null_typeES8_S8_S8_S8_S8_S8_S8_EEEEZZNS1_27merge_sort_block_merge_implIS3_NS6_6detail15normal_iteratorINS6_10device_ptrIjEEEENSD_INSE_IS9_EEEEjNS1_19radix_merge_compareILb0ELb0EjNS0_19identity_decomposerEEEEE10hipError_tT0_T1_T2_jT3_P12ihipStream_tbPNSt15iterator_traitsISN_E10value_typeEPNST_ISO_E10value_typeEPSP_NS1_7vsmem_tEENKUlT_SN_SO_SP_E_clIPjSG_PS9_SI_EESM_S12_SN_SO_SP_EUlS12_E1_NS1_11comp_targetILNS1_3genE10ELNS1_11target_archE1201ELNS1_3gpuE5ELNS1_3repE0EEENS1_36merge_oddeven_config_static_selectorELNS0_4arch9wavefront6targetE1EEEvSO_
    .private_segment_fixed_size: 0
    .sgpr_count:     4
    .sgpr_spill_count: 0
    .symbol:         _ZN7rocprim17ROCPRIM_400000_NS6detail17trampoline_kernelINS0_14default_configENS1_38merge_sort_block_merge_config_selectorIjN6thrust23THRUST_200600_302600_NS5tupleIffNS6_9null_typeES8_S8_S8_S8_S8_S8_S8_EEEEZZNS1_27merge_sort_block_merge_implIS3_NS6_6detail15normal_iteratorINS6_10device_ptrIjEEEENSD_INSE_IS9_EEEEjNS1_19radix_merge_compareILb0ELb0EjNS0_19identity_decomposerEEEEE10hipError_tT0_T1_T2_jT3_P12ihipStream_tbPNSt15iterator_traitsISN_E10value_typeEPNST_ISO_E10value_typeEPSP_NS1_7vsmem_tEENKUlT_SN_SO_SP_E_clIPjSG_PS9_SI_EESM_S12_SN_SO_SP_EUlS12_E1_NS1_11comp_targetILNS1_3genE10ELNS1_11target_archE1201ELNS1_3gpuE5ELNS1_3repE0EEENS1_36merge_oddeven_config_static_selectorELNS0_4arch9wavefront6targetE1EEEvSO_.kd
    .uniform_work_group_size: 1
    .uses_dynamic_stack: false
    .vgpr_count:     0
    .vgpr_spill_count: 0
    .wavefront_size: 64
  - .agpr_count:     0
    .args:
      - .offset:         0
        .size:           48
        .value_kind:     by_value
    .group_segment_fixed_size: 0
    .kernarg_segment_align: 8
    .kernarg_segment_size: 48
    .language:       OpenCL C
    .language_version:
      - 2
      - 0
    .max_flat_workgroup_size: 256
    .name:           _ZN7rocprim17ROCPRIM_400000_NS6detail17trampoline_kernelINS0_14default_configENS1_38merge_sort_block_merge_config_selectorIjN6thrust23THRUST_200600_302600_NS5tupleIffNS6_9null_typeES8_S8_S8_S8_S8_S8_S8_EEEEZZNS1_27merge_sort_block_merge_implIS3_NS6_6detail15normal_iteratorINS6_10device_ptrIjEEEENSD_INSE_IS9_EEEEjNS1_19radix_merge_compareILb0ELb0EjNS0_19identity_decomposerEEEEE10hipError_tT0_T1_T2_jT3_P12ihipStream_tbPNSt15iterator_traitsISN_E10value_typeEPNST_ISO_E10value_typeEPSP_NS1_7vsmem_tEENKUlT_SN_SO_SP_E_clIPjSG_PS9_SI_EESM_S12_SN_SO_SP_EUlS12_E1_NS1_11comp_targetILNS1_3genE5ELNS1_11target_archE942ELNS1_3gpuE9ELNS1_3repE0EEENS1_36merge_oddeven_config_static_selectorELNS0_4arch9wavefront6targetE1EEEvSO_
    .private_segment_fixed_size: 0
    .sgpr_count:     4
    .sgpr_spill_count: 0
    .symbol:         _ZN7rocprim17ROCPRIM_400000_NS6detail17trampoline_kernelINS0_14default_configENS1_38merge_sort_block_merge_config_selectorIjN6thrust23THRUST_200600_302600_NS5tupleIffNS6_9null_typeES8_S8_S8_S8_S8_S8_S8_EEEEZZNS1_27merge_sort_block_merge_implIS3_NS6_6detail15normal_iteratorINS6_10device_ptrIjEEEENSD_INSE_IS9_EEEEjNS1_19radix_merge_compareILb0ELb0EjNS0_19identity_decomposerEEEEE10hipError_tT0_T1_T2_jT3_P12ihipStream_tbPNSt15iterator_traitsISN_E10value_typeEPNST_ISO_E10value_typeEPSP_NS1_7vsmem_tEENKUlT_SN_SO_SP_E_clIPjSG_PS9_SI_EESM_S12_SN_SO_SP_EUlS12_E1_NS1_11comp_targetILNS1_3genE5ELNS1_11target_archE942ELNS1_3gpuE9ELNS1_3repE0EEENS1_36merge_oddeven_config_static_selectorELNS0_4arch9wavefront6targetE1EEEvSO_.kd
    .uniform_work_group_size: 1
    .uses_dynamic_stack: false
    .vgpr_count:     0
    .vgpr_spill_count: 0
    .wavefront_size: 64
  - .agpr_count:     0
    .args:
      - .offset:         0
        .size:           48
        .value_kind:     by_value
    .group_segment_fixed_size: 0
    .kernarg_segment_align: 8
    .kernarg_segment_size: 48
    .language:       OpenCL C
    .language_version:
      - 2
      - 0
    .max_flat_workgroup_size: 256
    .name:           _ZN7rocprim17ROCPRIM_400000_NS6detail17trampoline_kernelINS0_14default_configENS1_38merge_sort_block_merge_config_selectorIjN6thrust23THRUST_200600_302600_NS5tupleIffNS6_9null_typeES8_S8_S8_S8_S8_S8_S8_EEEEZZNS1_27merge_sort_block_merge_implIS3_NS6_6detail15normal_iteratorINS6_10device_ptrIjEEEENSD_INSE_IS9_EEEEjNS1_19radix_merge_compareILb0ELb0EjNS0_19identity_decomposerEEEEE10hipError_tT0_T1_T2_jT3_P12ihipStream_tbPNSt15iterator_traitsISN_E10value_typeEPNST_ISO_E10value_typeEPSP_NS1_7vsmem_tEENKUlT_SN_SO_SP_E_clIPjSG_PS9_SI_EESM_S12_SN_SO_SP_EUlS12_E1_NS1_11comp_targetILNS1_3genE4ELNS1_11target_archE910ELNS1_3gpuE8ELNS1_3repE0EEENS1_36merge_oddeven_config_static_selectorELNS0_4arch9wavefront6targetE1EEEvSO_
    .private_segment_fixed_size: 0
    .sgpr_count:     28
    .sgpr_spill_count: 0
    .symbol:         _ZN7rocprim17ROCPRIM_400000_NS6detail17trampoline_kernelINS0_14default_configENS1_38merge_sort_block_merge_config_selectorIjN6thrust23THRUST_200600_302600_NS5tupleIffNS6_9null_typeES8_S8_S8_S8_S8_S8_S8_EEEEZZNS1_27merge_sort_block_merge_implIS3_NS6_6detail15normal_iteratorINS6_10device_ptrIjEEEENSD_INSE_IS9_EEEEjNS1_19radix_merge_compareILb0ELb0EjNS0_19identity_decomposerEEEEE10hipError_tT0_T1_T2_jT3_P12ihipStream_tbPNSt15iterator_traitsISN_E10value_typeEPNST_ISO_E10value_typeEPSP_NS1_7vsmem_tEENKUlT_SN_SO_SP_E_clIPjSG_PS9_SI_EESM_S12_SN_SO_SP_EUlS12_E1_NS1_11comp_targetILNS1_3genE4ELNS1_11target_archE910ELNS1_3gpuE8ELNS1_3repE0EEENS1_36merge_oddeven_config_static_selectorELNS0_4arch9wavefront6targetE1EEEvSO_.kd
    .uniform_work_group_size: 1
    .uses_dynamic_stack: false
    .vgpr_count:     12
    .vgpr_spill_count: 0
    .wavefront_size: 64
  - .agpr_count:     0
    .args:
      - .offset:         0
        .size:           48
        .value_kind:     by_value
    .group_segment_fixed_size: 0
    .kernarg_segment_align: 8
    .kernarg_segment_size: 48
    .language:       OpenCL C
    .language_version:
      - 2
      - 0
    .max_flat_workgroup_size: 256
    .name:           _ZN7rocprim17ROCPRIM_400000_NS6detail17trampoline_kernelINS0_14default_configENS1_38merge_sort_block_merge_config_selectorIjN6thrust23THRUST_200600_302600_NS5tupleIffNS6_9null_typeES8_S8_S8_S8_S8_S8_S8_EEEEZZNS1_27merge_sort_block_merge_implIS3_NS6_6detail15normal_iteratorINS6_10device_ptrIjEEEENSD_INSE_IS9_EEEEjNS1_19radix_merge_compareILb0ELb0EjNS0_19identity_decomposerEEEEE10hipError_tT0_T1_T2_jT3_P12ihipStream_tbPNSt15iterator_traitsISN_E10value_typeEPNST_ISO_E10value_typeEPSP_NS1_7vsmem_tEENKUlT_SN_SO_SP_E_clIPjSG_PS9_SI_EESM_S12_SN_SO_SP_EUlS12_E1_NS1_11comp_targetILNS1_3genE3ELNS1_11target_archE908ELNS1_3gpuE7ELNS1_3repE0EEENS1_36merge_oddeven_config_static_selectorELNS0_4arch9wavefront6targetE1EEEvSO_
    .private_segment_fixed_size: 0
    .sgpr_count:     4
    .sgpr_spill_count: 0
    .symbol:         _ZN7rocprim17ROCPRIM_400000_NS6detail17trampoline_kernelINS0_14default_configENS1_38merge_sort_block_merge_config_selectorIjN6thrust23THRUST_200600_302600_NS5tupleIffNS6_9null_typeES8_S8_S8_S8_S8_S8_S8_EEEEZZNS1_27merge_sort_block_merge_implIS3_NS6_6detail15normal_iteratorINS6_10device_ptrIjEEEENSD_INSE_IS9_EEEEjNS1_19radix_merge_compareILb0ELb0EjNS0_19identity_decomposerEEEEE10hipError_tT0_T1_T2_jT3_P12ihipStream_tbPNSt15iterator_traitsISN_E10value_typeEPNST_ISO_E10value_typeEPSP_NS1_7vsmem_tEENKUlT_SN_SO_SP_E_clIPjSG_PS9_SI_EESM_S12_SN_SO_SP_EUlS12_E1_NS1_11comp_targetILNS1_3genE3ELNS1_11target_archE908ELNS1_3gpuE7ELNS1_3repE0EEENS1_36merge_oddeven_config_static_selectorELNS0_4arch9wavefront6targetE1EEEvSO_.kd
    .uniform_work_group_size: 1
    .uses_dynamic_stack: false
    .vgpr_count:     0
    .vgpr_spill_count: 0
    .wavefront_size: 64
  - .agpr_count:     0
    .args:
      - .offset:         0
        .size:           48
        .value_kind:     by_value
    .group_segment_fixed_size: 0
    .kernarg_segment_align: 8
    .kernarg_segment_size: 48
    .language:       OpenCL C
    .language_version:
      - 2
      - 0
    .max_flat_workgroup_size: 256
    .name:           _ZN7rocprim17ROCPRIM_400000_NS6detail17trampoline_kernelINS0_14default_configENS1_38merge_sort_block_merge_config_selectorIjN6thrust23THRUST_200600_302600_NS5tupleIffNS6_9null_typeES8_S8_S8_S8_S8_S8_S8_EEEEZZNS1_27merge_sort_block_merge_implIS3_NS6_6detail15normal_iteratorINS6_10device_ptrIjEEEENSD_INSE_IS9_EEEEjNS1_19radix_merge_compareILb0ELb0EjNS0_19identity_decomposerEEEEE10hipError_tT0_T1_T2_jT3_P12ihipStream_tbPNSt15iterator_traitsISN_E10value_typeEPNST_ISO_E10value_typeEPSP_NS1_7vsmem_tEENKUlT_SN_SO_SP_E_clIPjSG_PS9_SI_EESM_S12_SN_SO_SP_EUlS12_E1_NS1_11comp_targetILNS1_3genE2ELNS1_11target_archE906ELNS1_3gpuE6ELNS1_3repE0EEENS1_36merge_oddeven_config_static_selectorELNS0_4arch9wavefront6targetE1EEEvSO_
    .private_segment_fixed_size: 0
    .sgpr_count:     4
    .sgpr_spill_count: 0
    .symbol:         _ZN7rocprim17ROCPRIM_400000_NS6detail17trampoline_kernelINS0_14default_configENS1_38merge_sort_block_merge_config_selectorIjN6thrust23THRUST_200600_302600_NS5tupleIffNS6_9null_typeES8_S8_S8_S8_S8_S8_S8_EEEEZZNS1_27merge_sort_block_merge_implIS3_NS6_6detail15normal_iteratorINS6_10device_ptrIjEEEENSD_INSE_IS9_EEEEjNS1_19radix_merge_compareILb0ELb0EjNS0_19identity_decomposerEEEEE10hipError_tT0_T1_T2_jT3_P12ihipStream_tbPNSt15iterator_traitsISN_E10value_typeEPNST_ISO_E10value_typeEPSP_NS1_7vsmem_tEENKUlT_SN_SO_SP_E_clIPjSG_PS9_SI_EESM_S12_SN_SO_SP_EUlS12_E1_NS1_11comp_targetILNS1_3genE2ELNS1_11target_archE906ELNS1_3gpuE6ELNS1_3repE0EEENS1_36merge_oddeven_config_static_selectorELNS0_4arch9wavefront6targetE1EEEvSO_.kd
    .uniform_work_group_size: 1
    .uses_dynamic_stack: false
    .vgpr_count:     0
    .vgpr_spill_count: 0
    .wavefront_size: 64
  - .agpr_count:     0
    .args:
      - .offset:         0
        .size:           48
        .value_kind:     by_value
    .group_segment_fixed_size: 0
    .kernarg_segment_align: 8
    .kernarg_segment_size: 48
    .language:       OpenCL C
    .language_version:
      - 2
      - 0
    .max_flat_workgroup_size: 256
    .name:           _ZN7rocprim17ROCPRIM_400000_NS6detail17trampoline_kernelINS0_14default_configENS1_38merge_sort_block_merge_config_selectorIjN6thrust23THRUST_200600_302600_NS5tupleIffNS6_9null_typeES8_S8_S8_S8_S8_S8_S8_EEEEZZNS1_27merge_sort_block_merge_implIS3_NS6_6detail15normal_iteratorINS6_10device_ptrIjEEEENSD_INSE_IS9_EEEEjNS1_19radix_merge_compareILb0ELb0EjNS0_19identity_decomposerEEEEE10hipError_tT0_T1_T2_jT3_P12ihipStream_tbPNSt15iterator_traitsISN_E10value_typeEPNST_ISO_E10value_typeEPSP_NS1_7vsmem_tEENKUlT_SN_SO_SP_E_clIPjSG_PS9_SI_EESM_S12_SN_SO_SP_EUlS12_E1_NS1_11comp_targetILNS1_3genE9ELNS1_11target_archE1100ELNS1_3gpuE3ELNS1_3repE0EEENS1_36merge_oddeven_config_static_selectorELNS0_4arch9wavefront6targetE1EEEvSO_
    .private_segment_fixed_size: 0
    .sgpr_count:     4
    .sgpr_spill_count: 0
    .symbol:         _ZN7rocprim17ROCPRIM_400000_NS6detail17trampoline_kernelINS0_14default_configENS1_38merge_sort_block_merge_config_selectorIjN6thrust23THRUST_200600_302600_NS5tupleIffNS6_9null_typeES8_S8_S8_S8_S8_S8_S8_EEEEZZNS1_27merge_sort_block_merge_implIS3_NS6_6detail15normal_iteratorINS6_10device_ptrIjEEEENSD_INSE_IS9_EEEEjNS1_19radix_merge_compareILb0ELb0EjNS0_19identity_decomposerEEEEE10hipError_tT0_T1_T2_jT3_P12ihipStream_tbPNSt15iterator_traitsISN_E10value_typeEPNST_ISO_E10value_typeEPSP_NS1_7vsmem_tEENKUlT_SN_SO_SP_E_clIPjSG_PS9_SI_EESM_S12_SN_SO_SP_EUlS12_E1_NS1_11comp_targetILNS1_3genE9ELNS1_11target_archE1100ELNS1_3gpuE3ELNS1_3repE0EEENS1_36merge_oddeven_config_static_selectorELNS0_4arch9wavefront6targetE1EEEvSO_.kd
    .uniform_work_group_size: 1
    .uses_dynamic_stack: false
    .vgpr_count:     0
    .vgpr_spill_count: 0
    .wavefront_size: 64
  - .agpr_count:     0
    .args:
      - .offset:         0
        .size:           48
        .value_kind:     by_value
    .group_segment_fixed_size: 0
    .kernarg_segment_align: 8
    .kernarg_segment_size: 48
    .language:       OpenCL C
    .language_version:
      - 2
      - 0
    .max_flat_workgroup_size: 256
    .name:           _ZN7rocprim17ROCPRIM_400000_NS6detail17trampoline_kernelINS0_14default_configENS1_38merge_sort_block_merge_config_selectorIjN6thrust23THRUST_200600_302600_NS5tupleIffNS6_9null_typeES8_S8_S8_S8_S8_S8_S8_EEEEZZNS1_27merge_sort_block_merge_implIS3_NS6_6detail15normal_iteratorINS6_10device_ptrIjEEEENSD_INSE_IS9_EEEEjNS1_19radix_merge_compareILb0ELb0EjNS0_19identity_decomposerEEEEE10hipError_tT0_T1_T2_jT3_P12ihipStream_tbPNSt15iterator_traitsISN_E10value_typeEPNST_ISO_E10value_typeEPSP_NS1_7vsmem_tEENKUlT_SN_SO_SP_E_clIPjSG_PS9_SI_EESM_S12_SN_SO_SP_EUlS12_E1_NS1_11comp_targetILNS1_3genE8ELNS1_11target_archE1030ELNS1_3gpuE2ELNS1_3repE0EEENS1_36merge_oddeven_config_static_selectorELNS0_4arch9wavefront6targetE1EEEvSO_
    .private_segment_fixed_size: 0
    .sgpr_count:     4
    .sgpr_spill_count: 0
    .symbol:         _ZN7rocprim17ROCPRIM_400000_NS6detail17trampoline_kernelINS0_14default_configENS1_38merge_sort_block_merge_config_selectorIjN6thrust23THRUST_200600_302600_NS5tupleIffNS6_9null_typeES8_S8_S8_S8_S8_S8_S8_EEEEZZNS1_27merge_sort_block_merge_implIS3_NS6_6detail15normal_iteratorINS6_10device_ptrIjEEEENSD_INSE_IS9_EEEEjNS1_19radix_merge_compareILb0ELb0EjNS0_19identity_decomposerEEEEE10hipError_tT0_T1_T2_jT3_P12ihipStream_tbPNSt15iterator_traitsISN_E10value_typeEPNST_ISO_E10value_typeEPSP_NS1_7vsmem_tEENKUlT_SN_SO_SP_E_clIPjSG_PS9_SI_EESM_S12_SN_SO_SP_EUlS12_E1_NS1_11comp_targetILNS1_3genE8ELNS1_11target_archE1030ELNS1_3gpuE2ELNS1_3repE0EEENS1_36merge_oddeven_config_static_selectorELNS0_4arch9wavefront6targetE1EEEvSO_.kd
    .uniform_work_group_size: 1
    .uses_dynamic_stack: false
    .vgpr_count:     0
    .vgpr_spill_count: 0
    .wavefront_size: 64
  - .agpr_count:     0
    .args:
      - .offset:         0
        .size:           40
        .value_kind:     by_value
    .group_segment_fixed_size: 0
    .kernarg_segment_align: 8
    .kernarg_segment_size: 40
    .language:       OpenCL C
    .language_version:
      - 2
      - 0
    .max_flat_workgroup_size: 128
    .name:           _ZN7rocprim17ROCPRIM_400000_NS6detail17trampoline_kernelINS0_14default_configENS1_38merge_sort_block_merge_config_selectorIjN6thrust23THRUST_200600_302600_NS5tupleIffNS6_9null_typeES8_S8_S8_S8_S8_S8_S8_EEEEZZNS1_27merge_sort_block_merge_implIS3_NS6_6detail15normal_iteratorINS6_10device_ptrIjEEEENSD_INSE_IS9_EEEEjNS1_19radix_merge_compareILb0ELb0EjNS0_19identity_decomposerEEEEE10hipError_tT0_T1_T2_jT3_P12ihipStream_tbPNSt15iterator_traitsISN_E10value_typeEPNST_ISO_E10value_typeEPSP_NS1_7vsmem_tEENKUlT_SN_SO_SP_E_clISG_PjSI_PS9_EESM_S12_SN_SO_SP_EUlS12_E_NS1_11comp_targetILNS1_3genE0ELNS1_11target_archE4294967295ELNS1_3gpuE0ELNS1_3repE0EEENS1_48merge_mergepath_partition_config_static_selectorELNS0_4arch9wavefront6targetE1EEEvSO_
    .private_segment_fixed_size: 0
    .sgpr_count:     4
    .sgpr_spill_count: 0
    .symbol:         _ZN7rocprim17ROCPRIM_400000_NS6detail17trampoline_kernelINS0_14default_configENS1_38merge_sort_block_merge_config_selectorIjN6thrust23THRUST_200600_302600_NS5tupleIffNS6_9null_typeES8_S8_S8_S8_S8_S8_S8_EEEEZZNS1_27merge_sort_block_merge_implIS3_NS6_6detail15normal_iteratorINS6_10device_ptrIjEEEENSD_INSE_IS9_EEEEjNS1_19radix_merge_compareILb0ELb0EjNS0_19identity_decomposerEEEEE10hipError_tT0_T1_T2_jT3_P12ihipStream_tbPNSt15iterator_traitsISN_E10value_typeEPNST_ISO_E10value_typeEPSP_NS1_7vsmem_tEENKUlT_SN_SO_SP_E_clISG_PjSI_PS9_EESM_S12_SN_SO_SP_EUlS12_E_NS1_11comp_targetILNS1_3genE0ELNS1_11target_archE4294967295ELNS1_3gpuE0ELNS1_3repE0EEENS1_48merge_mergepath_partition_config_static_selectorELNS0_4arch9wavefront6targetE1EEEvSO_.kd
    .uniform_work_group_size: 1
    .uses_dynamic_stack: false
    .vgpr_count:     0
    .vgpr_spill_count: 0
    .wavefront_size: 64
  - .agpr_count:     0
    .args:
      - .offset:         0
        .size:           40
        .value_kind:     by_value
    .group_segment_fixed_size: 0
    .kernarg_segment_align: 8
    .kernarg_segment_size: 40
    .language:       OpenCL C
    .language_version:
      - 2
      - 0
    .max_flat_workgroup_size: 128
    .name:           _ZN7rocprim17ROCPRIM_400000_NS6detail17trampoline_kernelINS0_14default_configENS1_38merge_sort_block_merge_config_selectorIjN6thrust23THRUST_200600_302600_NS5tupleIffNS6_9null_typeES8_S8_S8_S8_S8_S8_S8_EEEEZZNS1_27merge_sort_block_merge_implIS3_NS6_6detail15normal_iteratorINS6_10device_ptrIjEEEENSD_INSE_IS9_EEEEjNS1_19radix_merge_compareILb0ELb0EjNS0_19identity_decomposerEEEEE10hipError_tT0_T1_T2_jT3_P12ihipStream_tbPNSt15iterator_traitsISN_E10value_typeEPNST_ISO_E10value_typeEPSP_NS1_7vsmem_tEENKUlT_SN_SO_SP_E_clISG_PjSI_PS9_EESM_S12_SN_SO_SP_EUlS12_E_NS1_11comp_targetILNS1_3genE10ELNS1_11target_archE1201ELNS1_3gpuE5ELNS1_3repE0EEENS1_48merge_mergepath_partition_config_static_selectorELNS0_4arch9wavefront6targetE1EEEvSO_
    .private_segment_fixed_size: 0
    .sgpr_count:     4
    .sgpr_spill_count: 0
    .symbol:         _ZN7rocprim17ROCPRIM_400000_NS6detail17trampoline_kernelINS0_14default_configENS1_38merge_sort_block_merge_config_selectorIjN6thrust23THRUST_200600_302600_NS5tupleIffNS6_9null_typeES8_S8_S8_S8_S8_S8_S8_EEEEZZNS1_27merge_sort_block_merge_implIS3_NS6_6detail15normal_iteratorINS6_10device_ptrIjEEEENSD_INSE_IS9_EEEEjNS1_19radix_merge_compareILb0ELb0EjNS0_19identity_decomposerEEEEE10hipError_tT0_T1_T2_jT3_P12ihipStream_tbPNSt15iterator_traitsISN_E10value_typeEPNST_ISO_E10value_typeEPSP_NS1_7vsmem_tEENKUlT_SN_SO_SP_E_clISG_PjSI_PS9_EESM_S12_SN_SO_SP_EUlS12_E_NS1_11comp_targetILNS1_3genE10ELNS1_11target_archE1201ELNS1_3gpuE5ELNS1_3repE0EEENS1_48merge_mergepath_partition_config_static_selectorELNS0_4arch9wavefront6targetE1EEEvSO_.kd
    .uniform_work_group_size: 1
    .uses_dynamic_stack: false
    .vgpr_count:     0
    .vgpr_spill_count: 0
    .wavefront_size: 64
  - .agpr_count:     0
    .args:
      - .offset:         0
        .size:           40
        .value_kind:     by_value
    .group_segment_fixed_size: 0
    .kernarg_segment_align: 8
    .kernarg_segment_size: 40
    .language:       OpenCL C
    .language_version:
      - 2
      - 0
    .max_flat_workgroup_size: 128
    .name:           _ZN7rocprim17ROCPRIM_400000_NS6detail17trampoline_kernelINS0_14default_configENS1_38merge_sort_block_merge_config_selectorIjN6thrust23THRUST_200600_302600_NS5tupleIffNS6_9null_typeES8_S8_S8_S8_S8_S8_S8_EEEEZZNS1_27merge_sort_block_merge_implIS3_NS6_6detail15normal_iteratorINS6_10device_ptrIjEEEENSD_INSE_IS9_EEEEjNS1_19radix_merge_compareILb0ELb0EjNS0_19identity_decomposerEEEEE10hipError_tT0_T1_T2_jT3_P12ihipStream_tbPNSt15iterator_traitsISN_E10value_typeEPNST_ISO_E10value_typeEPSP_NS1_7vsmem_tEENKUlT_SN_SO_SP_E_clISG_PjSI_PS9_EESM_S12_SN_SO_SP_EUlS12_E_NS1_11comp_targetILNS1_3genE5ELNS1_11target_archE942ELNS1_3gpuE9ELNS1_3repE0EEENS1_48merge_mergepath_partition_config_static_selectorELNS0_4arch9wavefront6targetE1EEEvSO_
    .private_segment_fixed_size: 0
    .sgpr_count:     4
    .sgpr_spill_count: 0
    .symbol:         _ZN7rocprim17ROCPRIM_400000_NS6detail17trampoline_kernelINS0_14default_configENS1_38merge_sort_block_merge_config_selectorIjN6thrust23THRUST_200600_302600_NS5tupleIffNS6_9null_typeES8_S8_S8_S8_S8_S8_S8_EEEEZZNS1_27merge_sort_block_merge_implIS3_NS6_6detail15normal_iteratorINS6_10device_ptrIjEEEENSD_INSE_IS9_EEEEjNS1_19radix_merge_compareILb0ELb0EjNS0_19identity_decomposerEEEEE10hipError_tT0_T1_T2_jT3_P12ihipStream_tbPNSt15iterator_traitsISN_E10value_typeEPNST_ISO_E10value_typeEPSP_NS1_7vsmem_tEENKUlT_SN_SO_SP_E_clISG_PjSI_PS9_EESM_S12_SN_SO_SP_EUlS12_E_NS1_11comp_targetILNS1_3genE5ELNS1_11target_archE942ELNS1_3gpuE9ELNS1_3repE0EEENS1_48merge_mergepath_partition_config_static_selectorELNS0_4arch9wavefront6targetE1EEEvSO_.kd
    .uniform_work_group_size: 1
    .uses_dynamic_stack: false
    .vgpr_count:     0
    .vgpr_spill_count: 0
    .wavefront_size: 64
  - .agpr_count:     0
    .args:
      - .offset:         0
        .size:           40
        .value_kind:     by_value
    .group_segment_fixed_size: 0
    .kernarg_segment_align: 8
    .kernarg_segment_size: 40
    .language:       OpenCL C
    .language_version:
      - 2
      - 0
    .max_flat_workgroup_size: 128
    .name:           _ZN7rocprim17ROCPRIM_400000_NS6detail17trampoline_kernelINS0_14default_configENS1_38merge_sort_block_merge_config_selectorIjN6thrust23THRUST_200600_302600_NS5tupleIffNS6_9null_typeES8_S8_S8_S8_S8_S8_S8_EEEEZZNS1_27merge_sort_block_merge_implIS3_NS6_6detail15normal_iteratorINS6_10device_ptrIjEEEENSD_INSE_IS9_EEEEjNS1_19radix_merge_compareILb0ELb0EjNS0_19identity_decomposerEEEEE10hipError_tT0_T1_T2_jT3_P12ihipStream_tbPNSt15iterator_traitsISN_E10value_typeEPNST_ISO_E10value_typeEPSP_NS1_7vsmem_tEENKUlT_SN_SO_SP_E_clISG_PjSI_PS9_EESM_S12_SN_SO_SP_EUlS12_E_NS1_11comp_targetILNS1_3genE4ELNS1_11target_archE910ELNS1_3gpuE8ELNS1_3repE0EEENS1_48merge_mergepath_partition_config_static_selectorELNS0_4arch9wavefront6targetE1EEEvSO_
    .private_segment_fixed_size: 0
    .sgpr_count:     12
    .sgpr_spill_count: 0
    .symbol:         _ZN7rocprim17ROCPRIM_400000_NS6detail17trampoline_kernelINS0_14default_configENS1_38merge_sort_block_merge_config_selectorIjN6thrust23THRUST_200600_302600_NS5tupleIffNS6_9null_typeES8_S8_S8_S8_S8_S8_S8_EEEEZZNS1_27merge_sort_block_merge_implIS3_NS6_6detail15normal_iteratorINS6_10device_ptrIjEEEENSD_INSE_IS9_EEEEjNS1_19radix_merge_compareILb0ELb0EjNS0_19identity_decomposerEEEEE10hipError_tT0_T1_T2_jT3_P12ihipStream_tbPNSt15iterator_traitsISN_E10value_typeEPNST_ISO_E10value_typeEPSP_NS1_7vsmem_tEENKUlT_SN_SO_SP_E_clISG_PjSI_PS9_EESM_S12_SN_SO_SP_EUlS12_E_NS1_11comp_targetILNS1_3genE4ELNS1_11target_archE910ELNS1_3gpuE8ELNS1_3repE0EEENS1_48merge_mergepath_partition_config_static_selectorELNS0_4arch9wavefront6targetE1EEEvSO_.kd
    .uniform_work_group_size: 1
    .uses_dynamic_stack: false
    .vgpr_count:     17
    .vgpr_spill_count: 0
    .wavefront_size: 64
  - .agpr_count:     0
    .args:
      - .offset:         0
        .size:           40
        .value_kind:     by_value
    .group_segment_fixed_size: 0
    .kernarg_segment_align: 8
    .kernarg_segment_size: 40
    .language:       OpenCL C
    .language_version:
      - 2
      - 0
    .max_flat_workgroup_size: 128
    .name:           _ZN7rocprim17ROCPRIM_400000_NS6detail17trampoline_kernelINS0_14default_configENS1_38merge_sort_block_merge_config_selectorIjN6thrust23THRUST_200600_302600_NS5tupleIffNS6_9null_typeES8_S8_S8_S8_S8_S8_S8_EEEEZZNS1_27merge_sort_block_merge_implIS3_NS6_6detail15normal_iteratorINS6_10device_ptrIjEEEENSD_INSE_IS9_EEEEjNS1_19radix_merge_compareILb0ELb0EjNS0_19identity_decomposerEEEEE10hipError_tT0_T1_T2_jT3_P12ihipStream_tbPNSt15iterator_traitsISN_E10value_typeEPNST_ISO_E10value_typeEPSP_NS1_7vsmem_tEENKUlT_SN_SO_SP_E_clISG_PjSI_PS9_EESM_S12_SN_SO_SP_EUlS12_E_NS1_11comp_targetILNS1_3genE3ELNS1_11target_archE908ELNS1_3gpuE7ELNS1_3repE0EEENS1_48merge_mergepath_partition_config_static_selectorELNS0_4arch9wavefront6targetE1EEEvSO_
    .private_segment_fixed_size: 0
    .sgpr_count:     4
    .sgpr_spill_count: 0
    .symbol:         _ZN7rocprim17ROCPRIM_400000_NS6detail17trampoline_kernelINS0_14default_configENS1_38merge_sort_block_merge_config_selectorIjN6thrust23THRUST_200600_302600_NS5tupleIffNS6_9null_typeES8_S8_S8_S8_S8_S8_S8_EEEEZZNS1_27merge_sort_block_merge_implIS3_NS6_6detail15normal_iteratorINS6_10device_ptrIjEEEENSD_INSE_IS9_EEEEjNS1_19radix_merge_compareILb0ELb0EjNS0_19identity_decomposerEEEEE10hipError_tT0_T1_T2_jT3_P12ihipStream_tbPNSt15iterator_traitsISN_E10value_typeEPNST_ISO_E10value_typeEPSP_NS1_7vsmem_tEENKUlT_SN_SO_SP_E_clISG_PjSI_PS9_EESM_S12_SN_SO_SP_EUlS12_E_NS1_11comp_targetILNS1_3genE3ELNS1_11target_archE908ELNS1_3gpuE7ELNS1_3repE0EEENS1_48merge_mergepath_partition_config_static_selectorELNS0_4arch9wavefront6targetE1EEEvSO_.kd
    .uniform_work_group_size: 1
    .uses_dynamic_stack: false
    .vgpr_count:     0
    .vgpr_spill_count: 0
    .wavefront_size: 64
  - .agpr_count:     0
    .args:
      - .offset:         0
        .size:           40
        .value_kind:     by_value
    .group_segment_fixed_size: 0
    .kernarg_segment_align: 8
    .kernarg_segment_size: 40
    .language:       OpenCL C
    .language_version:
      - 2
      - 0
    .max_flat_workgroup_size: 128
    .name:           _ZN7rocprim17ROCPRIM_400000_NS6detail17trampoline_kernelINS0_14default_configENS1_38merge_sort_block_merge_config_selectorIjN6thrust23THRUST_200600_302600_NS5tupleIffNS6_9null_typeES8_S8_S8_S8_S8_S8_S8_EEEEZZNS1_27merge_sort_block_merge_implIS3_NS6_6detail15normal_iteratorINS6_10device_ptrIjEEEENSD_INSE_IS9_EEEEjNS1_19radix_merge_compareILb0ELb0EjNS0_19identity_decomposerEEEEE10hipError_tT0_T1_T2_jT3_P12ihipStream_tbPNSt15iterator_traitsISN_E10value_typeEPNST_ISO_E10value_typeEPSP_NS1_7vsmem_tEENKUlT_SN_SO_SP_E_clISG_PjSI_PS9_EESM_S12_SN_SO_SP_EUlS12_E_NS1_11comp_targetILNS1_3genE2ELNS1_11target_archE906ELNS1_3gpuE6ELNS1_3repE0EEENS1_48merge_mergepath_partition_config_static_selectorELNS0_4arch9wavefront6targetE1EEEvSO_
    .private_segment_fixed_size: 0
    .sgpr_count:     4
    .sgpr_spill_count: 0
    .symbol:         _ZN7rocprim17ROCPRIM_400000_NS6detail17trampoline_kernelINS0_14default_configENS1_38merge_sort_block_merge_config_selectorIjN6thrust23THRUST_200600_302600_NS5tupleIffNS6_9null_typeES8_S8_S8_S8_S8_S8_S8_EEEEZZNS1_27merge_sort_block_merge_implIS3_NS6_6detail15normal_iteratorINS6_10device_ptrIjEEEENSD_INSE_IS9_EEEEjNS1_19radix_merge_compareILb0ELb0EjNS0_19identity_decomposerEEEEE10hipError_tT0_T1_T2_jT3_P12ihipStream_tbPNSt15iterator_traitsISN_E10value_typeEPNST_ISO_E10value_typeEPSP_NS1_7vsmem_tEENKUlT_SN_SO_SP_E_clISG_PjSI_PS9_EESM_S12_SN_SO_SP_EUlS12_E_NS1_11comp_targetILNS1_3genE2ELNS1_11target_archE906ELNS1_3gpuE6ELNS1_3repE0EEENS1_48merge_mergepath_partition_config_static_selectorELNS0_4arch9wavefront6targetE1EEEvSO_.kd
    .uniform_work_group_size: 1
    .uses_dynamic_stack: false
    .vgpr_count:     0
    .vgpr_spill_count: 0
    .wavefront_size: 64
  - .agpr_count:     0
    .args:
      - .offset:         0
        .size:           40
        .value_kind:     by_value
    .group_segment_fixed_size: 0
    .kernarg_segment_align: 8
    .kernarg_segment_size: 40
    .language:       OpenCL C
    .language_version:
      - 2
      - 0
    .max_flat_workgroup_size: 128
    .name:           _ZN7rocprim17ROCPRIM_400000_NS6detail17trampoline_kernelINS0_14default_configENS1_38merge_sort_block_merge_config_selectorIjN6thrust23THRUST_200600_302600_NS5tupleIffNS6_9null_typeES8_S8_S8_S8_S8_S8_S8_EEEEZZNS1_27merge_sort_block_merge_implIS3_NS6_6detail15normal_iteratorINS6_10device_ptrIjEEEENSD_INSE_IS9_EEEEjNS1_19radix_merge_compareILb0ELb0EjNS0_19identity_decomposerEEEEE10hipError_tT0_T1_T2_jT3_P12ihipStream_tbPNSt15iterator_traitsISN_E10value_typeEPNST_ISO_E10value_typeEPSP_NS1_7vsmem_tEENKUlT_SN_SO_SP_E_clISG_PjSI_PS9_EESM_S12_SN_SO_SP_EUlS12_E_NS1_11comp_targetILNS1_3genE9ELNS1_11target_archE1100ELNS1_3gpuE3ELNS1_3repE0EEENS1_48merge_mergepath_partition_config_static_selectorELNS0_4arch9wavefront6targetE1EEEvSO_
    .private_segment_fixed_size: 0
    .sgpr_count:     4
    .sgpr_spill_count: 0
    .symbol:         _ZN7rocprim17ROCPRIM_400000_NS6detail17trampoline_kernelINS0_14default_configENS1_38merge_sort_block_merge_config_selectorIjN6thrust23THRUST_200600_302600_NS5tupleIffNS6_9null_typeES8_S8_S8_S8_S8_S8_S8_EEEEZZNS1_27merge_sort_block_merge_implIS3_NS6_6detail15normal_iteratorINS6_10device_ptrIjEEEENSD_INSE_IS9_EEEEjNS1_19radix_merge_compareILb0ELb0EjNS0_19identity_decomposerEEEEE10hipError_tT0_T1_T2_jT3_P12ihipStream_tbPNSt15iterator_traitsISN_E10value_typeEPNST_ISO_E10value_typeEPSP_NS1_7vsmem_tEENKUlT_SN_SO_SP_E_clISG_PjSI_PS9_EESM_S12_SN_SO_SP_EUlS12_E_NS1_11comp_targetILNS1_3genE9ELNS1_11target_archE1100ELNS1_3gpuE3ELNS1_3repE0EEENS1_48merge_mergepath_partition_config_static_selectorELNS0_4arch9wavefront6targetE1EEEvSO_.kd
    .uniform_work_group_size: 1
    .uses_dynamic_stack: false
    .vgpr_count:     0
    .vgpr_spill_count: 0
    .wavefront_size: 64
  - .agpr_count:     0
    .args:
      - .offset:         0
        .size:           40
        .value_kind:     by_value
    .group_segment_fixed_size: 0
    .kernarg_segment_align: 8
    .kernarg_segment_size: 40
    .language:       OpenCL C
    .language_version:
      - 2
      - 0
    .max_flat_workgroup_size: 128
    .name:           _ZN7rocprim17ROCPRIM_400000_NS6detail17trampoline_kernelINS0_14default_configENS1_38merge_sort_block_merge_config_selectorIjN6thrust23THRUST_200600_302600_NS5tupleIffNS6_9null_typeES8_S8_S8_S8_S8_S8_S8_EEEEZZNS1_27merge_sort_block_merge_implIS3_NS6_6detail15normal_iteratorINS6_10device_ptrIjEEEENSD_INSE_IS9_EEEEjNS1_19radix_merge_compareILb0ELb0EjNS0_19identity_decomposerEEEEE10hipError_tT0_T1_T2_jT3_P12ihipStream_tbPNSt15iterator_traitsISN_E10value_typeEPNST_ISO_E10value_typeEPSP_NS1_7vsmem_tEENKUlT_SN_SO_SP_E_clISG_PjSI_PS9_EESM_S12_SN_SO_SP_EUlS12_E_NS1_11comp_targetILNS1_3genE8ELNS1_11target_archE1030ELNS1_3gpuE2ELNS1_3repE0EEENS1_48merge_mergepath_partition_config_static_selectorELNS0_4arch9wavefront6targetE1EEEvSO_
    .private_segment_fixed_size: 0
    .sgpr_count:     4
    .sgpr_spill_count: 0
    .symbol:         _ZN7rocprim17ROCPRIM_400000_NS6detail17trampoline_kernelINS0_14default_configENS1_38merge_sort_block_merge_config_selectorIjN6thrust23THRUST_200600_302600_NS5tupleIffNS6_9null_typeES8_S8_S8_S8_S8_S8_S8_EEEEZZNS1_27merge_sort_block_merge_implIS3_NS6_6detail15normal_iteratorINS6_10device_ptrIjEEEENSD_INSE_IS9_EEEEjNS1_19radix_merge_compareILb0ELb0EjNS0_19identity_decomposerEEEEE10hipError_tT0_T1_T2_jT3_P12ihipStream_tbPNSt15iterator_traitsISN_E10value_typeEPNST_ISO_E10value_typeEPSP_NS1_7vsmem_tEENKUlT_SN_SO_SP_E_clISG_PjSI_PS9_EESM_S12_SN_SO_SP_EUlS12_E_NS1_11comp_targetILNS1_3genE8ELNS1_11target_archE1030ELNS1_3gpuE2ELNS1_3repE0EEENS1_48merge_mergepath_partition_config_static_selectorELNS0_4arch9wavefront6targetE1EEEvSO_.kd
    .uniform_work_group_size: 1
    .uses_dynamic_stack: false
    .vgpr_count:     0
    .vgpr_spill_count: 0
    .wavefront_size: 64
  - .agpr_count:     0
    .args:
      - .offset:         0
        .size:           64
        .value_kind:     by_value
    .group_segment_fixed_size: 0
    .kernarg_segment_align: 8
    .kernarg_segment_size: 64
    .language:       OpenCL C
    .language_version:
      - 2
      - 0
    .max_flat_workgroup_size: 512
    .name:           _ZN7rocprim17ROCPRIM_400000_NS6detail17trampoline_kernelINS0_14default_configENS1_38merge_sort_block_merge_config_selectorIjN6thrust23THRUST_200600_302600_NS5tupleIffNS6_9null_typeES8_S8_S8_S8_S8_S8_S8_EEEEZZNS1_27merge_sort_block_merge_implIS3_NS6_6detail15normal_iteratorINS6_10device_ptrIjEEEENSD_INSE_IS9_EEEEjNS1_19radix_merge_compareILb0ELb0EjNS0_19identity_decomposerEEEEE10hipError_tT0_T1_T2_jT3_P12ihipStream_tbPNSt15iterator_traitsISN_E10value_typeEPNST_ISO_E10value_typeEPSP_NS1_7vsmem_tEENKUlT_SN_SO_SP_E_clISG_PjSI_PS9_EESM_S12_SN_SO_SP_EUlS12_E0_NS1_11comp_targetILNS1_3genE0ELNS1_11target_archE4294967295ELNS1_3gpuE0ELNS1_3repE0EEENS1_38merge_mergepath_config_static_selectorELNS0_4arch9wavefront6targetE1EEEvSO_
    .private_segment_fixed_size: 0
    .sgpr_count:     4
    .sgpr_spill_count: 0
    .symbol:         _ZN7rocprim17ROCPRIM_400000_NS6detail17trampoline_kernelINS0_14default_configENS1_38merge_sort_block_merge_config_selectorIjN6thrust23THRUST_200600_302600_NS5tupleIffNS6_9null_typeES8_S8_S8_S8_S8_S8_S8_EEEEZZNS1_27merge_sort_block_merge_implIS3_NS6_6detail15normal_iteratorINS6_10device_ptrIjEEEENSD_INSE_IS9_EEEEjNS1_19radix_merge_compareILb0ELb0EjNS0_19identity_decomposerEEEEE10hipError_tT0_T1_T2_jT3_P12ihipStream_tbPNSt15iterator_traitsISN_E10value_typeEPNST_ISO_E10value_typeEPSP_NS1_7vsmem_tEENKUlT_SN_SO_SP_E_clISG_PjSI_PS9_EESM_S12_SN_SO_SP_EUlS12_E0_NS1_11comp_targetILNS1_3genE0ELNS1_11target_archE4294967295ELNS1_3gpuE0ELNS1_3repE0EEENS1_38merge_mergepath_config_static_selectorELNS0_4arch9wavefront6targetE1EEEvSO_.kd
    .uniform_work_group_size: 1
    .uses_dynamic_stack: false
    .vgpr_count:     0
    .vgpr_spill_count: 0
    .wavefront_size: 64
  - .agpr_count:     0
    .args:
      - .offset:         0
        .size:           64
        .value_kind:     by_value
    .group_segment_fixed_size: 0
    .kernarg_segment_align: 8
    .kernarg_segment_size: 64
    .language:       OpenCL C
    .language_version:
      - 2
      - 0
    .max_flat_workgroup_size: 512
    .name:           _ZN7rocprim17ROCPRIM_400000_NS6detail17trampoline_kernelINS0_14default_configENS1_38merge_sort_block_merge_config_selectorIjN6thrust23THRUST_200600_302600_NS5tupleIffNS6_9null_typeES8_S8_S8_S8_S8_S8_S8_EEEEZZNS1_27merge_sort_block_merge_implIS3_NS6_6detail15normal_iteratorINS6_10device_ptrIjEEEENSD_INSE_IS9_EEEEjNS1_19radix_merge_compareILb0ELb0EjNS0_19identity_decomposerEEEEE10hipError_tT0_T1_T2_jT3_P12ihipStream_tbPNSt15iterator_traitsISN_E10value_typeEPNST_ISO_E10value_typeEPSP_NS1_7vsmem_tEENKUlT_SN_SO_SP_E_clISG_PjSI_PS9_EESM_S12_SN_SO_SP_EUlS12_E0_NS1_11comp_targetILNS1_3genE10ELNS1_11target_archE1201ELNS1_3gpuE5ELNS1_3repE0EEENS1_38merge_mergepath_config_static_selectorELNS0_4arch9wavefront6targetE1EEEvSO_
    .private_segment_fixed_size: 0
    .sgpr_count:     4
    .sgpr_spill_count: 0
    .symbol:         _ZN7rocprim17ROCPRIM_400000_NS6detail17trampoline_kernelINS0_14default_configENS1_38merge_sort_block_merge_config_selectorIjN6thrust23THRUST_200600_302600_NS5tupleIffNS6_9null_typeES8_S8_S8_S8_S8_S8_S8_EEEEZZNS1_27merge_sort_block_merge_implIS3_NS6_6detail15normal_iteratorINS6_10device_ptrIjEEEENSD_INSE_IS9_EEEEjNS1_19radix_merge_compareILb0ELb0EjNS0_19identity_decomposerEEEEE10hipError_tT0_T1_T2_jT3_P12ihipStream_tbPNSt15iterator_traitsISN_E10value_typeEPNST_ISO_E10value_typeEPSP_NS1_7vsmem_tEENKUlT_SN_SO_SP_E_clISG_PjSI_PS9_EESM_S12_SN_SO_SP_EUlS12_E0_NS1_11comp_targetILNS1_3genE10ELNS1_11target_archE1201ELNS1_3gpuE5ELNS1_3repE0EEENS1_38merge_mergepath_config_static_selectorELNS0_4arch9wavefront6targetE1EEEvSO_.kd
    .uniform_work_group_size: 1
    .uses_dynamic_stack: false
    .vgpr_count:     0
    .vgpr_spill_count: 0
    .wavefront_size: 64
  - .agpr_count:     0
    .args:
      - .offset:         0
        .size:           64
        .value_kind:     by_value
    .group_segment_fixed_size: 0
    .kernarg_segment_align: 8
    .kernarg_segment_size: 64
    .language:       OpenCL C
    .language_version:
      - 2
      - 0
    .max_flat_workgroup_size: 256
    .name:           _ZN7rocprim17ROCPRIM_400000_NS6detail17trampoline_kernelINS0_14default_configENS1_38merge_sort_block_merge_config_selectorIjN6thrust23THRUST_200600_302600_NS5tupleIffNS6_9null_typeES8_S8_S8_S8_S8_S8_S8_EEEEZZNS1_27merge_sort_block_merge_implIS3_NS6_6detail15normal_iteratorINS6_10device_ptrIjEEEENSD_INSE_IS9_EEEEjNS1_19radix_merge_compareILb0ELb0EjNS0_19identity_decomposerEEEEE10hipError_tT0_T1_T2_jT3_P12ihipStream_tbPNSt15iterator_traitsISN_E10value_typeEPNST_ISO_E10value_typeEPSP_NS1_7vsmem_tEENKUlT_SN_SO_SP_E_clISG_PjSI_PS9_EESM_S12_SN_SO_SP_EUlS12_E0_NS1_11comp_targetILNS1_3genE5ELNS1_11target_archE942ELNS1_3gpuE9ELNS1_3repE0EEENS1_38merge_mergepath_config_static_selectorELNS0_4arch9wavefront6targetE1EEEvSO_
    .private_segment_fixed_size: 0
    .sgpr_count:     4
    .sgpr_spill_count: 0
    .symbol:         _ZN7rocprim17ROCPRIM_400000_NS6detail17trampoline_kernelINS0_14default_configENS1_38merge_sort_block_merge_config_selectorIjN6thrust23THRUST_200600_302600_NS5tupleIffNS6_9null_typeES8_S8_S8_S8_S8_S8_S8_EEEEZZNS1_27merge_sort_block_merge_implIS3_NS6_6detail15normal_iteratorINS6_10device_ptrIjEEEENSD_INSE_IS9_EEEEjNS1_19radix_merge_compareILb0ELb0EjNS0_19identity_decomposerEEEEE10hipError_tT0_T1_T2_jT3_P12ihipStream_tbPNSt15iterator_traitsISN_E10value_typeEPNST_ISO_E10value_typeEPSP_NS1_7vsmem_tEENKUlT_SN_SO_SP_E_clISG_PjSI_PS9_EESM_S12_SN_SO_SP_EUlS12_E0_NS1_11comp_targetILNS1_3genE5ELNS1_11target_archE942ELNS1_3gpuE9ELNS1_3repE0EEENS1_38merge_mergepath_config_static_selectorELNS0_4arch9wavefront6targetE1EEEvSO_.kd
    .uniform_work_group_size: 1
    .uses_dynamic_stack: false
    .vgpr_count:     0
    .vgpr_spill_count: 0
    .wavefront_size: 64
  - .agpr_count:     0
    .args:
      - .offset:         0
        .size:           64
        .value_kind:     by_value
      - .offset:         64
        .size:           4
        .value_kind:     hidden_block_count_x
      - .offset:         68
        .size:           4
        .value_kind:     hidden_block_count_y
      - .offset:         72
        .size:           4
        .value_kind:     hidden_block_count_z
      - .offset:         76
        .size:           2
        .value_kind:     hidden_group_size_x
      - .offset:         78
        .size:           2
        .value_kind:     hidden_group_size_y
      - .offset:         80
        .size:           2
        .value_kind:     hidden_group_size_z
      - .offset:         82
        .size:           2
        .value_kind:     hidden_remainder_x
      - .offset:         84
        .size:           2
        .value_kind:     hidden_remainder_y
      - .offset:         86
        .size:           2
        .value_kind:     hidden_remainder_z
      - .offset:         104
        .size:           8
        .value_kind:     hidden_global_offset_x
      - .offset:         112
        .size:           8
        .value_kind:     hidden_global_offset_y
      - .offset:         120
        .size:           8
        .value_kind:     hidden_global_offset_z
      - .offset:         128
        .size:           2
        .value_kind:     hidden_grid_dims
    .group_segment_fixed_size: 8448
    .kernarg_segment_align: 8
    .kernarg_segment_size: 320
    .language:       OpenCL C
    .language_version:
      - 2
      - 0
    .max_flat_workgroup_size: 256
    .name:           _ZN7rocprim17ROCPRIM_400000_NS6detail17trampoline_kernelINS0_14default_configENS1_38merge_sort_block_merge_config_selectorIjN6thrust23THRUST_200600_302600_NS5tupleIffNS6_9null_typeES8_S8_S8_S8_S8_S8_S8_EEEEZZNS1_27merge_sort_block_merge_implIS3_NS6_6detail15normal_iteratorINS6_10device_ptrIjEEEENSD_INSE_IS9_EEEEjNS1_19radix_merge_compareILb0ELb0EjNS0_19identity_decomposerEEEEE10hipError_tT0_T1_T2_jT3_P12ihipStream_tbPNSt15iterator_traitsISN_E10value_typeEPNST_ISO_E10value_typeEPSP_NS1_7vsmem_tEENKUlT_SN_SO_SP_E_clISG_PjSI_PS9_EESM_S12_SN_SO_SP_EUlS12_E0_NS1_11comp_targetILNS1_3genE4ELNS1_11target_archE910ELNS1_3gpuE8ELNS1_3repE0EEENS1_38merge_mergepath_config_static_selectorELNS0_4arch9wavefront6targetE1EEEvSO_
    .private_segment_fixed_size: 0
    .sgpr_count:     34
    .sgpr_spill_count: 0
    .symbol:         _ZN7rocprim17ROCPRIM_400000_NS6detail17trampoline_kernelINS0_14default_configENS1_38merge_sort_block_merge_config_selectorIjN6thrust23THRUST_200600_302600_NS5tupleIffNS6_9null_typeES8_S8_S8_S8_S8_S8_S8_EEEEZZNS1_27merge_sort_block_merge_implIS3_NS6_6detail15normal_iteratorINS6_10device_ptrIjEEEENSD_INSE_IS9_EEEEjNS1_19radix_merge_compareILb0ELb0EjNS0_19identity_decomposerEEEEE10hipError_tT0_T1_T2_jT3_P12ihipStream_tbPNSt15iterator_traitsISN_E10value_typeEPNST_ISO_E10value_typeEPSP_NS1_7vsmem_tEENKUlT_SN_SO_SP_E_clISG_PjSI_PS9_EESM_S12_SN_SO_SP_EUlS12_E0_NS1_11comp_targetILNS1_3genE4ELNS1_11target_archE910ELNS1_3gpuE8ELNS1_3repE0EEENS1_38merge_mergepath_config_static_selectorELNS0_4arch9wavefront6targetE1EEEvSO_.kd
    .uniform_work_group_size: 1
    .uses_dynamic_stack: false
    .vgpr_count:     35
    .vgpr_spill_count: 0
    .wavefront_size: 64
  - .agpr_count:     0
    .args:
      - .offset:         0
        .size:           64
        .value_kind:     by_value
    .group_segment_fixed_size: 0
    .kernarg_segment_align: 8
    .kernarg_segment_size: 64
    .language:       OpenCL C
    .language_version:
      - 2
      - 0
    .max_flat_workgroup_size: 512
    .name:           _ZN7rocprim17ROCPRIM_400000_NS6detail17trampoline_kernelINS0_14default_configENS1_38merge_sort_block_merge_config_selectorIjN6thrust23THRUST_200600_302600_NS5tupleIffNS6_9null_typeES8_S8_S8_S8_S8_S8_S8_EEEEZZNS1_27merge_sort_block_merge_implIS3_NS6_6detail15normal_iteratorINS6_10device_ptrIjEEEENSD_INSE_IS9_EEEEjNS1_19radix_merge_compareILb0ELb0EjNS0_19identity_decomposerEEEEE10hipError_tT0_T1_T2_jT3_P12ihipStream_tbPNSt15iterator_traitsISN_E10value_typeEPNST_ISO_E10value_typeEPSP_NS1_7vsmem_tEENKUlT_SN_SO_SP_E_clISG_PjSI_PS9_EESM_S12_SN_SO_SP_EUlS12_E0_NS1_11comp_targetILNS1_3genE3ELNS1_11target_archE908ELNS1_3gpuE7ELNS1_3repE0EEENS1_38merge_mergepath_config_static_selectorELNS0_4arch9wavefront6targetE1EEEvSO_
    .private_segment_fixed_size: 0
    .sgpr_count:     4
    .sgpr_spill_count: 0
    .symbol:         _ZN7rocprim17ROCPRIM_400000_NS6detail17trampoline_kernelINS0_14default_configENS1_38merge_sort_block_merge_config_selectorIjN6thrust23THRUST_200600_302600_NS5tupleIffNS6_9null_typeES8_S8_S8_S8_S8_S8_S8_EEEEZZNS1_27merge_sort_block_merge_implIS3_NS6_6detail15normal_iteratorINS6_10device_ptrIjEEEENSD_INSE_IS9_EEEEjNS1_19radix_merge_compareILb0ELb0EjNS0_19identity_decomposerEEEEE10hipError_tT0_T1_T2_jT3_P12ihipStream_tbPNSt15iterator_traitsISN_E10value_typeEPNST_ISO_E10value_typeEPSP_NS1_7vsmem_tEENKUlT_SN_SO_SP_E_clISG_PjSI_PS9_EESM_S12_SN_SO_SP_EUlS12_E0_NS1_11comp_targetILNS1_3genE3ELNS1_11target_archE908ELNS1_3gpuE7ELNS1_3repE0EEENS1_38merge_mergepath_config_static_selectorELNS0_4arch9wavefront6targetE1EEEvSO_.kd
    .uniform_work_group_size: 1
    .uses_dynamic_stack: false
    .vgpr_count:     0
    .vgpr_spill_count: 0
    .wavefront_size: 64
  - .agpr_count:     0
    .args:
      - .offset:         0
        .size:           64
        .value_kind:     by_value
    .group_segment_fixed_size: 0
    .kernarg_segment_align: 8
    .kernarg_segment_size: 64
    .language:       OpenCL C
    .language_version:
      - 2
      - 0
    .max_flat_workgroup_size: 256
    .name:           _ZN7rocprim17ROCPRIM_400000_NS6detail17trampoline_kernelINS0_14default_configENS1_38merge_sort_block_merge_config_selectorIjN6thrust23THRUST_200600_302600_NS5tupleIffNS6_9null_typeES8_S8_S8_S8_S8_S8_S8_EEEEZZNS1_27merge_sort_block_merge_implIS3_NS6_6detail15normal_iteratorINS6_10device_ptrIjEEEENSD_INSE_IS9_EEEEjNS1_19radix_merge_compareILb0ELb0EjNS0_19identity_decomposerEEEEE10hipError_tT0_T1_T2_jT3_P12ihipStream_tbPNSt15iterator_traitsISN_E10value_typeEPNST_ISO_E10value_typeEPSP_NS1_7vsmem_tEENKUlT_SN_SO_SP_E_clISG_PjSI_PS9_EESM_S12_SN_SO_SP_EUlS12_E0_NS1_11comp_targetILNS1_3genE2ELNS1_11target_archE906ELNS1_3gpuE6ELNS1_3repE0EEENS1_38merge_mergepath_config_static_selectorELNS0_4arch9wavefront6targetE1EEEvSO_
    .private_segment_fixed_size: 0
    .sgpr_count:     4
    .sgpr_spill_count: 0
    .symbol:         _ZN7rocprim17ROCPRIM_400000_NS6detail17trampoline_kernelINS0_14default_configENS1_38merge_sort_block_merge_config_selectorIjN6thrust23THRUST_200600_302600_NS5tupleIffNS6_9null_typeES8_S8_S8_S8_S8_S8_S8_EEEEZZNS1_27merge_sort_block_merge_implIS3_NS6_6detail15normal_iteratorINS6_10device_ptrIjEEEENSD_INSE_IS9_EEEEjNS1_19radix_merge_compareILb0ELb0EjNS0_19identity_decomposerEEEEE10hipError_tT0_T1_T2_jT3_P12ihipStream_tbPNSt15iterator_traitsISN_E10value_typeEPNST_ISO_E10value_typeEPSP_NS1_7vsmem_tEENKUlT_SN_SO_SP_E_clISG_PjSI_PS9_EESM_S12_SN_SO_SP_EUlS12_E0_NS1_11comp_targetILNS1_3genE2ELNS1_11target_archE906ELNS1_3gpuE6ELNS1_3repE0EEENS1_38merge_mergepath_config_static_selectorELNS0_4arch9wavefront6targetE1EEEvSO_.kd
    .uniform_work_group_size: 1
    .uses_dynamic_stack: false
    .vgpr_count:     0
    .vgpr_spill_count: 0
    .wavefront_size: 64
  - .agpr_count:     0
    .args:
      - .offset:         0
        .size:           64
        .value_kind:     by_value
    .group_segment_fixed_size: 0
    .kernarg_segment_align: 8
    .kernarg_segment_size: 64
    .language:       OpenCL C
    .language_version:
      - 2
      - 0
    .max_flat_workgroup_size: 512
    .name:           _ZN7rocprim17ROCPRIM_400000_NS6detail17trampoline_kernelINS0_14default_configENS1_38merge_sort_block_merge_config_selectorIjN6thrust23THRUST_200600_302600_NS5tupleIffNS6_9null_typeES8_S8_S8_S8_S8_S8_S8_EEEEZZNS1_27merge_sort_block_merge_implIS3_NS6_6detail15normal_iteratorINS6_10device_ptrIjEEEENSD_INSE_IS9_EEEEjNS1_19radix_merge_compareILb0ELb0EjNS0_19identity_decomposerEEEEE10hipError_tT0_T1_T2_jT3_P12ihipStream_tbPNSt15iterator_traitsISN_E10value_typeEPNST_ISO_E10value_typeEPSP_NS1_7vsmem_tEENKUlT_SN_SO_SP_E_clISG_PjSI_PS9_EESM_S12_SN_SO_SP_EUlS12_E0_NS1_11comp_targetILNS1_3genE9ELNS1_11target_archE1100ELNS1_3gpuE3ELNS1_3repE0EEENS1_38merge_mergepath_config_static_selectorELNS0_4arch9wavefront6targetE1EEEvSO_
    .private_segment_fixed_size: 0
    .sgpr_count:     4
    .sgpr_spill_count: 0
    .symbol:         _ZN7rocprim17ROCPRIM_400000_NS6detail17trampoline_kernelINS0_14default_configENS1_38merge_sort_block_merge_config_selectorIjN6thrust23THRUST_200600_302600_NS5tupleIffNS6_9null_typeES8_S8_S8_S8_S8_S8_S8_EEEEZZNS1_27merge_sort_block_merge_implIS3_NS6_6detail15normal_iteratorINS6_10device_ptrIjEEEENSD_INSE_IS9_EEEEjNS1_19radix_merge_compareILb0ELb0EjNS0_19identity_decomposerEEEEE10hipError_tT0_T1_T2_jT3_P12ihipStream_tbPNSt15iterator_traitsISN_E10value_typeEPNST_ISO_E10value_typeEPSP_NS1_7vsmem_tEENKUlT_SN_SO_SP_E_clISG_PjSI_PS9_EESM_S12_SN_SO_SP_EUlS12_E0_NS1_11comp_targetILNS1_3genE9ELNS1_11target_archE1100ELNS1_3gpuE3ELNS1_3repE0EEENS1_38merge_mergepath_config_static_selectorELNS0_4arch9wavefront6targetE1EEEvSO_.kd
    .uniform_work_group_size: 1
    .uses_dynamic_stack: false
    .vgpr_count:     0
    .vgpr_spill_count: 0
    .wavefront_size: 64
  - .agpr_count:     0
    .args:
      - .offset:         0
        .size:           64
        .value_kind:     by_value
    .group_segment_fixed_size: 0
    .kernarg_segment_align: 8
    .kernarg_segment_size: 64
    .language:       OpenCL C
    .language_version:
      - 2
      - 0
    .max_flat_workgroup_size: 1024
    .name:           _ZN7rocprim17ROCPRIM_400000_NS6detail17trampoline_kernelINS0_14default_configENS1_38merge_sort_block_merge_config_selectorIjN6thrust23THRUST_200600_302600_NS5tupleIffNS6_9null_typeES8_S8_S8_S8_S8_S8_S8_EEEEZZNS1_27merge_sort_block_merge_implIS3_NS6_6detail15normal_iteratorINS6_10device_ptrIjEEEENSD_INSE_IS9_EEEEjNS1_19radix_merge_compareILb0ELb0EjNS0_19identity_decomposerEEEEE10hipError_tT0_T1_T2_jT3_P12ihipStream_tbPNSt15iterator_traitsISN_E10value_typeEPNST_ISO_E10value_typeEPSP_NS1_7vsmem_tEENKUlT_SN_SO_SP_E_clISG_PjSI_PS9_EESM_S12_SN_SO_SP_EUlS12_E0_NS1_11comp_targetILNS1_3genE8ELNS1_11target_archE1030ELNS1_3gpuE2ELNS1_3repE0EEENS1_38merge_mergepath_config_static_selectorELNS0_4arch9wavefront6targetE1EEEvSO_
    .private_segment_fixed_size: 0
    .sgpr_count:     4
    .sgpr_spill_count: 0
    .symbol:         _ZN7rocprim17ROCPRIM_400000_NS6detail17trampoline_kernelINS0_14default_configENS1_38merge_sort_block_merge_config_selectorIjN6thrust23THRUST_200600_302600_NS5tupleIffNS6_9null_typeES8_S8_S8_S8_S8_S8_S8_EEEEZZNS1_27merge_sort_block_merge_implIS3_NS6_6detail15normal_iteratorINS6_10device_ptrIjEEEENSD_INSE_IS9_EEEEjNS1_19radix_merge_compareILb0ELb0EjNS0_19identity_decomposerEEEEE10hipError_tT0_T1_T2_jT3_P12ihipStream_tbPNSt15iterator_traitsISN_E10value_typeEPNST_ISO_E10value_typeEPSP_NS1_7vsmem_tEENKUlT_SN_SO_SP_E_clISG_PjSI_PS9_EESM_S12_SN_SO_SP_EUlS12_E0_NS1_11comp_targetILNS1_3genE8ELNS1_11target_archE1030ELNS1_3gpuE2ELNS1_3repE0EEENS1_38merge_mergepath_config_static_selectorELNS0_4arch9wavefront6targetE1EEEvSO_.kd
    .uniform_work_group_size: 1
    .uses_dynamic_stack: false
    .vgpr_count:     0
    .vgpr_spill_count: 0
    .wavefront_size: 64
  - .agpr_count:     0
    .args:
      - .offset:         0
        .size:           48
        .value_kind:     by_value
    .group_segment_fixed_size: 0
    .kernarg_segment_align: 8
    .kernarg_segment_size: 48
    .language:       OpenCL C
    .language_version:
      - 2
      - 0
    .max_flat_workgroup_size: 256
    .name:           _ZN7rocprim17ROCPRIM_400000_NS6detail17trampoline_kernelINS0_14default_configENS1_38merge_sort_block_merge_config_selectorIjN6thrust23THRUST_200600_302600_NS5tupleIffNS6_9null_typeES8_S8_S8_S8_S8_S8_S8_EEEEZZNS1_27merge_sort_block_merge_implIS3_NS6_6detail15normal_iteratorINS6_10device_ptrIjEEEENSD_INSE_IS9_EEEEjNS1_19radix_merge_compareILb0ELb0EjNS0_19identity_decomposerEEEEE10hipError_tT0_T1_T2_jT3_P12ihipStream_tbPNSt15iterator_traitsISN_E10value_typeEPNST_ISO_E10value_typeEPSP_NS1_7vsmem_tEENKUlT_SN_SO_SP_E_clISG_PjSI_PS9_EESM_S12_SN_SO_SP_EUlS12_E1_NS1_11comp_targetILNS1_3genE0ELNS1_11target_archE4294967295ELNS1_3gpuE0ELNS1_3repE0EEENS1_36merge_oddeven_config_static_selectorELNS0_4arch9wavefront6targetE1EEEvSO_
    .private_segment_fixed_size: 0
    .sgpr_count:     4
    .sgpr_spill_count: 0
    .symbol:         _ZN7rocprim17ROCPRIM_400000_NS6detail17trampoline_kernelINS0_14default_configENS1_38merge_sort_block_merge_config_selectorIjN6thrust23THRUST_200600_302600_NS5tupleIffNS6_9null_typeES8_S8_S8_S8_S8_S8_S8_EEEEZZNS1_27merge_sort_block_merge_implIS3_NS6_6detail15normal_iteratorINS6_10device_ptrIjEEEENSD_INSE_IS9_EEEEjNS1_19radix_merge_compareILb0ELb0EjNS0_19identity_decomposerEEEEE10hipError_tT0_T1_T2_jT3_P12ihipStream_tbPNSt15iterator_traitsISN_E10value_typeEPNST_ISO_E10value_typeEPSP_NS1_7vsmem_tEENKUlT_SN_SO_SP_E_clISG_PjSI_PS9_EESM_S12_SN_SO_SP_EUlS12_E1_NS1_11comp_targetILNS1_3genE0ELNS1_11target_archE4294967295ELNS1_3gpuE0ELNS1_3repE0EEENS1_36merge_oddeven_config_static_selectorELNS0_4arch9wavefront6targetE1EEEvSO_.kd
    .uniform_work_group_size: 1
    .uses_dynamic_stack: false
    .vgpr_count:     0
    .vgpr_spill_count: 0
    .wavefront_size: 64
  - .agpr_count:     0
    .args:
      - .offset:         0
        .size:           48
        .value_kind:     by_value
    .group_segment_fixed_size: 0
    .kernarg_segment_align: 8
    .kernarg_segment_size: 48
    .language:       OpenCL C
    .language_version:
      - 2
      - 0
    .max_flat_workgroup_size: 256
    .name:           _ZN7rocprim17ROCPRIM_400000_NS6detail17trampoline_kernelINS0_14default_configENS1_38merge_sort_block_merge_config_selectorIjN6thrust23THRUST_200600_302600_NS5tupleIffNS6_9null_typeES8_S8_S8_S8_S8_S8_S8_EEEEZZNS1_27merge_sort_block_merge_implIS3_NS6_6detail15normal_iteratorINS6_10device_ptrIjEEEENSD_INSE_IS9_EEEEjNS1_19radix_merge_compareILb0ELb0EjNS0_19identity_decomposerEEEEE10hipError_tT0_T1_T2_jT3_P12ihipStream_tbPNSt15iterator_traitsISN_E10value_typeEPNST_ISO_E10value_typeEPSP_NS1_7vsmem_tEENKUlT_SN_SO_SP_E_clISG_PjSI_PS9_EESM_S12_SN_SO_SP_EUlS12_E1_NS1_11comp_targetILNS1_3genE10ELNS1_11target_archE1201ELNS1_3gpuE5ELNS1_3repE0EEENS1_36merge_oddeven_config_static_selectorELNS0_4arch9wavefront6targetE1EEEvSO_
    .private_segment_fixed_size: 0
    .sgpr_count:     4
    .sgpr_spill_count: 0
    .symbol:         _ZN7rocprim17ROCPRIM_400000_NS6detail17trampoline_kernelINS0_14default_configENS1_38merge_sort_block_merge_config_selectorIjN6thrust23THRUST_200600_302600_NS5tupleIffNS6_9null_typeES8_S8_S8_S8_S8_S8_S8_EEEEZZNS1_27merge_sort_block_merge_implIS3_NS6_6detail15normal_iteratorINS6_10device_ptrIjEEEENSD_INSE_IS9_EEEEjNS1_19radix_merge_compareILb0ELb0EjNS0_19identity_decomposerEEEEE10hipError_tT0_T1_T2_jT3_P12ihipStream_tbPNSt15iterator_traitsISN_E10value_typeEPNST_ISO_E10value_typeEPSP_NS1_7vsmem_tEENKUlT_SN_SO_SP_E_clISG_PjSI_PS9_EESM_S12_SN_SO_SP_EUlS12_E1_NS1_11comp_targetILNS1_3genE10ELNS1_11target_archE1201ELNS1_3gpuE5ELNS1_3repE0EEENS1_36merge_oddeven_config_static_selectorELNS0_4arch9wavefront6targetE1EEEvSO_.kd
    .uniform_work_group_size: 1
    .uses_dynamic_stack: false
    .vgpr_count:     0
    .vgpr_spill_count: 0
    .wavefront_size: 64
  - .agpr_count:     0
    .args:
      - .offset:         0
        .size:           48
        .value_kind:     by_value
    .group_segment_fixed_size: 0
    .kernarg_segment_align: 8
    .kernarg_segment_size: 48
    .language:       OpenCL C
    .language_version:
      - 2
      - 0
    .max_flat_workgroup_size: 256
    .name:           _ZN7rocprim17ROCPRIM_400000_NS6detail17trampoline_kernelINS0_14default_configENS1_38merge_sort_block_merge_config_selectorIjN6thrust23THRUST_200600_302600_NS5tupleIffNS6_9null_typeES8_S8_S8_S8_S8_S8_S8_EEEEZZNS1_27merge_sort_block_merge_implIS3_NS6_6detail15normal_iteratorINS6_10device_ptrIjEEEENSD_INSE_IS9_EEEEjNS1_19radix_merge_compareILb0ELb0EjNS0_19identity_decomposerEEEEE10hipError_tT0_T1_T2_jT3_P12ihipStream_tbPNSt15iterator_traitsISN_E10value_typeEPNST_ISO_E10value_typeEPSP_NS1_7vsmem_tEENKUlT_SN_SO_SP_E_clISG_PjSI_PS9_EESM_S12_SN_SO_SP_EUlS12_E1_NS1_11comp_targetILNS1_3genE5ELNS1_11target_archE942ELNS1_3gpuE9ELNS1_3repE0EEENS1_36merge_oddeven_config_static_selectorELNS0_4arch9wavefront6targetE1EEEvSO_
    .private_segment_fixed_size: 0
    .sgpr_count:     4
    .sgpr_spill_count: 0
    .symbol:         _ZN7rocprim17ROCPRIM_400000_NS6detail17trampoline_kernelINS0_14default_configENS1_38merge_sort_block_merge_config_selectorIjN6thrust23THRUST_200600_302600_NS5tupleIffNS6_9null_typeES8_S8_S8_S8_S8_S8_S8_EEEEZZNS1_27merge_sort_block_merge_implIS3_NS6_6detail15normal_iteratorINS6_10device_ptrIjEEEENSD_INSE_IS9_EEEEjNS1_19radix_merge_compareILb0ELb0EjNS0_19identity_decomposerEEEEE10hipError_tT0_T1_T2_jT3_P12ihipStream_tbPNSt15iterator_traitsISN_E10value_typeEPNST_ISO_E10value_typeEPSP_NS1_7vsmem_tEENKUlT_SN_SO_SP_E_clISG_PjSI_PS9_EESM_S12_SN_SO_SP_EUlS12_E1_NS1_11comp_targetILNS1_3genE5ELNS1_11target_archE942ELNS1_3gpuE9ELNS1_3repE0EEENS1_36merge_oddeven_config_static_selectorELNS0_4arch9wavefront6targetE1EEEvSO_.kd
    .uniform_work_group_size: 1
    .uses_dynamic_stack: false
    .vgpr_count:     0
    .vgpr_spill_count: 0
    .wavefront_size: 64
  - .agpr_count:     0
    .args:
      - .offset:         0
        .size:           48
        .value_kind:     by_value
    .group_segment_fixed_size: 0
    .kernarg_segment_align: 8
    .kernarg_segment_size: 48
    .language:       OpenCL C
    .language_version:
      - 2
      - 0
    .max_flat_workgroup_size: 256
    .name:           _ZN7rocprim17ROCPRIM_400000_NS6detail17trampoline_kernelINS0_14default_configENS1_38merge_sort_block_merge_config_selectorIjN6thrust23THRUST_200600_302600_NS5tupleIffNS6_9null_typeES8_S8_S8_S8_S8_S8_S8_EEEEZZNS1_27merge_sort_block_merge_implIS3_NS6_6detail15normal_iteratorINS6_10device_ptrIjEEEENSD_INSE_IS9_EEEEjNS1_19radix_merge_compareILb0ELb0EjNS0_19identity_decomposerEEEEE10hipError_tT0_T1_T2_jT3_P12ihipStream_tbPNSt15iterator_traitsISN_E10value_typeEPNST_ISO_E10value_typeEPSP_NS1_7vsmem_tEENKUlT_SN_SO_SP_E_clISG_PjSI_PS9_EESM_S12_SN_SO_SP_EUlS12_E1_NS1_11comp_targetILNS1_3genE4ELNS1_11target_archE910ELNS1_3gpuE8ELNS1_3repE0EEENS1_36merge_oddeven_config_static_selectorELNS0_4arch9wavefront6targetE1EEEvSO_
    .private_segment_fixed_size: 0
    .sgpr_count:     28
    .sgpr_spill_count: 0
    .symbol:         _ZN7rocprim17ROCPRIM_400000_NS6detail17trampoline_kernelINS0_14default_configENS1_38merge_sort_block_merge_config_selectorIjN6thrust23THRUST_200600_302600_NS5tupleIffNS6_9null_typeES8_S8_S8_S8_S8_S8_S8_EEEEZZNS1_27merge_sort_block_merge_implIS3_NS6_6detail15normal_iteratorINS6_10device_ptrIjEEEENSD_INSE_IS9_EEEEjNS1_19radix_merge_compareILb0ELb0EjNS0_19identity_decomposerEEEEE10hipError_tT0_T1_T2_jT3_P12ihipStream_tbPNSt15iterator_traitsISN_E10value_typeEPNST_ISO_E10value_typeEPSP_NS1_7vsmem_tEENKUlT_SN_SO_SP_E_clISG_PjSI_PS9_EESM_S12_SN_SO_SP_EUlS12_E1_NS1_11comp_targetILNS1_3genE4ELNS1_11target_archE910ELNS1_3gpuE8ELNS1_3repE0EEENS1_36merge_oddeven_config_static_selectorELNS0_4arch9wavefront6targetE1EEEvSO_.kd
    .uniform_work_group_size: 1
    .uses_dynamic_stack: false
    .vgpr_count:     12
    .vgpr_spill_count: 0
    .wavefront_size: 64
  - .agpr_count:     0
    .args:
      - .offset:         0
        .size:           48
        .value_kind:     by_value
    .group_segment_fixed_size: 0
    .kernarg_segment_align: 8
    .kernarg_segment_size: 48
    .language:       OpenCL C
    .language_version:
      - 2
      - 0
    .max_flat_workgroup_size: 256
    .name:           _ZN7rocprim17ROCPRIM_400000_NS6detail17trampoline_kernelINS0_14default_configENS1_38merge_sort_block_merge_config_selectorIjN6thrust23THRUST_200600_302600_NS5tupleIffNS6_9null_typeES8_S8_S8_S8_S8_S8_S8_EEEEZZNS1_27merge_sort_block_merge_implIS3_NS6_6detail15normal_iteratorINS6_10device_ptrIjEEEENSD_INSE_IS9_EEEEjNS1_19radix_merge_compareILb0ELb0EjNS0_19identity_decomposerEEEEE10hipError_tT0_T1_T2_jT3_P12ihipStream_tbPNSt15iterator_traitsISN_E10value_typeEPNST_ISO_E10value_typeEPSP_NS1_7vsmem_tEENKUlT_SN_SO_SP_E_clISG_PjSI_PS9_EESM_S12_SN_SO_SP_EUlS12_E1_NS1_11comp_targetILNS1_3genE3ELNS1_11target_archE908ELNS1_3gpuE7ELNS1_3repE0EEENS1_36merge_oddeven_config_static_selectorELNS0_4arch9wavefront6targetE1EEEvSO_
    .private_segment_fixed_size: 0
    .sgpr_count:     4
    .sgpr_spill_count: 0
    .symbol:         _ZN7rocprim17ROCPRIM_400000_NS6detail17trampoline_kernelINS0_14default_configENS1_38merge_sort_block_merge_config_selectorIjN6thrust23THRUST_200600_302600_NS5tupleIffNS6_9null_typeES8_S8_S8_S8_S8_S8_S8_EEEEZZNS1_27merge_sort_block_merge_implIS3_NS6_6detail15normal_iteratorINS6_10device_ptrIjEEEENSD_INSE_IS9_EEEEjNS1_19radix_merge_compareILb0ELb0EjNS0_19identity_decomposerEEEEE10hipError_tT0_T1_T2_jT3_P12ihipStream_tbPNSt15iterator_traitsISN_E10value_typeEPNST_ISO_E10value_typeEPSP_NS1_7vsmem_tEENKUlT_SN_SO_SP_E_clISG_PjSI_PS9_EESM_S12_SN_SO_SP_EUlS12_E1_NS1_11comp_targetILNS1_3genE3ELNS1_11target_archE908ELNS1_3gpuE7ELNS1_3repE0EEENS1_36merge_oddeven_config_static_selectorELNS0_4arch9wavefront6targetE1EEEvSO_.kd
    .uniform_work_group_size: 1
    .uses_dynamic_stack: false
    .vgpr_count:     0
    .vgpr_spill_count: 0
    .wavefront_size: 64
  - .agpr_count:     0
    .args:
      - .offset:         0
        .size:           48
        .value_kind:     by_value
    .group_segment_fixed_size: 0
    .kernarg_segment_align: 8
    .kernarg_segment_size: 48
    .language:       OpenCL C
    .language_version:
      - 2
      - 0
    .max_flat_workgroup_size: 256
    .name:           _ZN7rocprim17ROCPRIM_400000_NS6detail17trampoline_kernelINS0_14default_configENS1_38merge_sort_block_merge_config_selectorIjN6thrust23THRUST_200600_302600_NS5tupleIffNS6_9null_typeES8_S8_S8_S8_S8_S8_S8_EEEEZZNS1_27merge_sort_block_merge_implIS3_NS6_6detail15normal_iteratorINS6_10device_ptrIjEEEENSD_INSE_IS9_EEEEjNS1_19radix_merge_compareILb0ELb0EjNS0_19identity_decomposerEEEEE10hipError_tT0_T1_T2_jT3_P12ihipStream_tbPNSt15iterator_traitsISN_E10value_typeEPNST_ISO_E10value_typeEPSP_NS1_7vsmem_tEENKUlT_SN_SO_SP_E_clISG_PjSI_PS9_EESM_S12_SN_SO_SP_EUlS12_E1_NS1_11comp_targetILNS1_3genE2ELNS1_11target_archE906ELNS1_3gpuE6ELNS1_3repE0EEENS1_36merge_oddeven_config_static_selectorELNS0_4arch9wavefront6targetE1EEEvSO_
    .private_segment_fixed_size: 0
    .sgpr_count:     4
    .sgpr_spill_count: 0
    .symbol:         _ZN7rocprim17ROCPRIM_400000_NS6detail17trampoline_kernelINS0_14default_configENS1_38merge_sort_block_merge_config_selectorIjN6thrust23THRUST_200600_302600_NS5tupleIffNS6_9null_typeES8_S8_S8_S8_S8_S8_S8_EEEEZZNS1_27merge_sort_block_merge_implIS3_NS6_6detail15normal_iteratorINS6_10device_ptrIjEEEENSD_INSE_IS9_EEEEjNS1_19radix_merge_compareILb0ELb0EjNS0_19identity_decomposerEEEEE10hipError_tT0_T1_T2_jT3_P12ihipStream_tbPNSt15iterator_traitsISN_E10value_typeEPNST_ISO_E10value_typeEPSP_NS1_7vsmem_tEENKUlT_SN_SO_SP_E_clISG_PjSI_PS9_EESM_S12_SN_SO_SP_EUlS12_E1_NS1_11comp_targetILNS1_3genE2ELNS1_11target_archE906ELNS1_3gpuE6ELNS1_3repE0EEENS1_36merge_oddeven_config_static_selectorELNS0_4arch9wavefront6targetE1EEEvSO_.kd
    .uniform_work_group_size: 1
    .uses_dynamic_stack: false
    .vgpr_count:     0
    .vgpr_spill_count: 0
    .wavefront_size: 64
  - .agpr_count:     0
    .args:
      - .offset:         0
        .size:           48
        .value_kind:     by_value
    .group_segment_fixed_size: 0
    .kernarg_segment_align: 8
    .kernarg_segment_size: 48
    .language:       OpenCL C
    .language_version:
      - 2
      - 0
    .max_flat_workgroup_size: 256
    .name:           _ZN7rocprim17ROCPRIM_400000_NS6detail17trampoline_kernelINS0_14default_configENS1_38merge_sort_block_merge_config_selectorIjN6thrust23THRUST_200600_302600_NS5tupleIffNS6_9null_typeES8_S8_S8_S8_S8_S8_S8_EEEEZZNS1_27merge_sort_block_merge_implIS3_NS6_6detail15normal_iteratorINS6_10device_ptrIjEEEENSD_INSE_IS9_EEEEjNS1_19radix_merge_compareILb0ELb0EjNS0_19identity_decomposerEEEEE10hipError_tT0_T1_T2_jT3_P12ihipStream_tbPNSt15iterator_traitsISN_E10value_typeEPNST_ISO_E10value_typeEPSP_NS1_7vsmem_tEENKUlT_SN_SO_SP_E_clISG_PjSI_PS9_EESM_S12_SN_SO_SP_EUlS12_E1_NS1_11comp_targetILNS1_3genE9ELNS1_11target_archE1100ELNS1_3gpuE3ELNS1_3repE0EEENS1_36merge_oddeven_config_static_selectorELNS0_4arch9wavefront6targetE1EEEvSO_
    .private_segment_fixed_size: 0
    .sgpr_count:     4
    .sgpr_spill_count: 0
    .symbol:         _ZN7rocprim17ROCPRIM_400000_NS6detail17trampoline_kernelINS0_14default_configENS1_38merge_sort_block_merge_config_selectorIjN6thrust23THRUST_200600_302600_NS5tupleIffNS6_9null_typeES8_S8_S8_S8_S8_S8_S8_EEEEZZNS1_27merge_sort_block_merge_implIS3_NS6_6detail15normal_iteratorINS6_10device_ptrIjEEEENSD_INSE_IS9_EEEEjNS1_19radix_merge_compareILb0ELb0EjNS0_19identity_decomposerEEEEE10hipError_tT0_T1_T2_jT3_P12ihipStream_tbPNSt15iterator_traitsISN_E10value_typeEPNST_ISO_E10value_typeEPSP_NS1_7vsmem_tEENKUlT_SN_SO_SP_E_clISG_PjSI_PS9_EESM_S12_SN_SO_SP_EUlS12_E1_NS1_11comp_targetILNS1_3genE9ELNS1_11target_archE1100ELNS1_3gpuE3ELNS1_3repE0EEENS1_36merge_oddeven_config_static_selectorELNS0_4arch9wavefront6targetE1EEEvSO_.kd
    .uniform_work_group_size: 1
    .uses_dynamic_stack: false
    .vgpr_count:     0
    .vgpr_spill_count: 0
    .wavefront_size: 64
  - .agpr_count:     0
    .args:
      - .offset:         0
        .size:           48
        .value_kind:     by_value
    .group_segment_fixed_size: 0
    .kernarg_segment_align: 8
    .kernarg_segment_size: 48
    .language:       OpenCL C
    .language_version:
      - 2
      - 0
    .max_flat_workgroup_size: 256
    .name:           _ZN7rocprim17ROCPRIM_400000_NS6detail17trampoline_kernelINS0_14default_configENS1_38merge_sort_block_merge_config_selectorIjN6thrust23THRUST_200600_302600_NS5tupleIffNS6_9null_typeES8_S8_S8_S8_S8_S8_S8_EEEEZZNS1_27merge_sort_block_merge_implIS3_NS6_6detail15normal_iteratorINS6_10device_ptrIjEEEENSD_INSE_IS9_EEEEjNS1_19radix_merge_compareILb0ELb0EjNS0_19identity_decomposerEEEEE10hipError_tT0_T1_T2_jT3_P12ihipStream_tbPNSt15iterator_traitsISN_E10value_typeEPNST_ISO_E10value_typeEPSP_NS1_7vsmem_tEENKUlT_SN_SO_SP_E_clISG_PjSI_PS9_EESM_S12_SN_SO_SP_EUlS12_E1_NS1_11comp_targetILNS1_3genE8ELNS1_11target_archE1030ELNS1_3gpuE2ELNS1_3repE0EEENS1_36merge_oddeven_config_static_selectorELNS0_4arch9wavefront6targetE1EEEvSO_
    .private_segment_fixed_size: 0
    .sgpr_count:     4
    .sgpr_spill_count: 0
    .symbol:         _ZN7rocprim17ROCPRIM_400000_NS6detail17trampoline_kernelINS0_14default_configENS1_38merge_sort_block_merge_config_selectorIjN6thrust23THRUST_200600_302600_NS5tupleIffNS6_9null_typeES8_S8_S8_S8_S8_S8_S8_EEEEZZNS1_27merge_sort_block_merge_implIS3_NS6_6detail15normal_iteratorINS6_10device_ptrIjEEEENSD_INSE_IS9_EEEEjNS1_19radix_merge_compareILb0ELb0EjNS0_19identity_decomposerEEEEE10hipError_tT0_T1_T2_jT3_P12ihipStream_tbPNSt15iterator_traitsISN_E10value_typeEPNST_ISO_E10value_typeEPSP_NS1_7vsmem_tEENKUlT_SN_SO_SP_E_clISG_PjSI_PS9_EESM_S12_SN_SO_SP_EUlS12_E1_NS1_11comp_targetILNS1_3genE8ELNS1_11target_archE1030ELNS1_3gpuE2ELNS1_3repE0EEENS1_36merge_oddeven_config_static_selectorELNS0_4arch9wavefront6targetE1EEEvSO_.kd
    .uniform_work_group_size: 1
    .uses_dynamic_stack: false
    .vgpr_count:     0
    .vgpr_spill_count: 0
    .wavefront_size: 64
  - .agpr_count:     0
    .args:
      - .offset:         0
        .size:           40
        .value_kind:     by_value
    .group_segment_fixed_size: 0
    .kernarg_segment_align: 8
    .kernarg_segment_size: 40
    .language:       OpenCL C
    .language_version:
      - 2
      - 0
    .max_flat_workgroup_size: 128
    .name:           _ZN7rocprim17ROCPRIM_400000_NS6detail17trampoline_kernelINS0_14default_configENS1_25transform_config_selectorIjLb0EEEZNS1_14transform_implILb0ES3_S5_PjN6thrust23THRUST_200600_302600_NS6detail15normal_iteratorINS9_10device_ptrIjEEEENS0_8identityIjEEEE10hipError_tT2_T3_mT4_P12ihipStream_tbEUlT_E_NS1_11comp_targetILNS1_3genE0ELNS1_11target_archE4294967295ELNS1_3gpuE0ELNS1_3repE0EEENS1_30default_config_static_selectorELNS0_4arch9wavefront6targetE1EEEvT1_
    .private_segment_fixed_size: 0
    .sgpr_count:     4
    .sgpr_spill_count: 0
    .symbol:         _ZN7rocprim17ROCPRIM_400000_NS6detail17trampoline_kernelINS0_14default_configENS1_25transform_config_selectorIjLb0EEEZNS1_14transform_implILb0ES3_S5_PjN6thrust23THRUST_200600_302600_NS6detail15normal_iteratorINS9_10device_ptrIjEEEENS0_8identityIjEEEE10hipError_tT2_T3_mT4_P12ihipStream_tbEUlT_E_NS1_11comp_targetILNS1_3genE0ELNS1_11target_archE4294967295ELNS1_3gpuE0ELNS1_3repE0EEENS1_30default_config_static_selectorELNS0_4arch9wavefront6targetE1EEEvT1_.kd
    .uniform_work_group_size: 1
    .uses_dynamic_stack: false
    .vgpr_count:     0
    .vgpr_spill_count: 0
    .wavefront_size: 64
  - .agpr_count:     0
    .args:
      - .offset:         0
        .size:           40
        .value_kind:     by_value
    .group_segment_fixed_size: 0
    .kernarg_segment_align: 8
    .kernarg_segment_size: 40
    .language:       OpenCL C
    .language_version:
      - 2
      - 0
    .max_flat_workgroup_size: 512
    .name:           _ZN7rocprim17ROCPRIM_400000_NS6detail17trampoline_kernelINS0_14default_configENS1_25transform_config_selectorIjLb0EEEZNS1_14transform_implILb0ES3_S5_PjN6thrust23THRUST_200600_302600_NS6detail15normal_iteratorINS9_10device_ptrIjEEEENS0_8identityIjEEEE10hipError_tT2_T3_mT4_P12ihipStream_tbEUlT_E_NS1_11comp_targetILNS1_3genE5ELNS1_11target_archE942ELNS1_3gpuE9ELNS1_3repE0EEENS1_30default_config_static_selectorELNS0_4arch9wavefront6targetE1EEEvT1_
    .private_segment_fixed_size: 0
    .sgpr_count:     4
    .sgpr_spill_count: 0
    .symbol:         _ZN7rocprim17ROCPRIM_400000_NS6detail17trampoline_kernelINS0_14default_configENS1_25transform_config_selectorIjLb0EEEZNS1_14transform_implILb0ES3_S5_PjN6thrust23THRUST_200600_302600_NS6detail15normal_iteratorINS9_10device_ptrIjEEEENS0_8identityIjEEEE10hipError_tT2_T3_mT4_P12ihipStream_tbEUlT_E_NS1_11comp_targetILNS1_3genE5ELNS1_11target_archE942ELNS1_3gpuE9ELNS1_3repE0EEENS1_30default_config_static_selectorELNS0_4arch9wavefront6targetE1EEEvT1_.kd
    .uniform_work_group_size: 1
    .uses_dynamic_stack: false
    .vgpr_count:     0
    .vgpr_spill_count: 0
    .wavefront_size: 64
  - .agpr_count:     0
    .args:
      - .offset:         0
        .size:           40
        .value_kind:     by_value
      - .offset:         40
        .size:           4
        .value_kind:     hidden_block_count_x
      - .offset:         44
        .size:           4
        .value_kind:     hidden_block_count_y
      - .offset:         48
        .size:           4
        .value_kind:     hidden_block_count_z
      - .offset:         52
        .size:           2
        .value_kind:     hidden_group_size_x
      - .offset:         54
        .size:           2
        .value_kind:     hidden_group_size_y
      - .offset:         56
        .size:           2
        .value_kind:     hidden_group_size_z
      - .offset:         58
        .size:           2
        .value_kind:     hidden_remainder_x
      - .offset:         60
        .size:           2
        .value_kind:     hidden_remainder_y
      - .offset:         62
        .size:           2
        .value_kind:     hidden_remainder_z
      - .offset:         80
        .size:           8
        .value_kind:     hidden_global_offset_x
      - .offset:         88
        .size:           8
        .value_kind:     hidden_global_offset_y
      - .offset:         96
        .size:           8
        .value_kind:     hidden_global_offset_z
      - .offset:         104
        .size:           2
        .value_kind:     hidden_grid_dims
    .group_segment_fixed_size: 0
    .kernarg_segment_align: 8
    .kernarg_segment_size: 296
    .language:       OpenCL C
    .language_version:
      - 2
      - 0
    .max_flat_workgroup_size: 1024
    .name:           _ZN7rocprim17ROCPRIM_400000_NS6detail17trampoline_kernelINS0_14default_configENS1_25transform_config_selectorIjLb0EEEZNS1_14transform_implILb0ES3_S5_PjN6thrust23THRUST_200600_302600_NS6detail15normal_iteratorINS9_10device_ptrIjEEEENS0_8identityIjEEEE10hipError_tT2_T3_mT4_P12ihipStream_tbEUlT_E_NS1_11comp_targetILNS1_3genE4ELNS1_11target_archE910ELNS1_3gpuE8ELNS1_3repE0EEENS1_30default_config_static_selectorELNS0_4arch9wavefront6targetE1EEEvT1_
    .private_segment_fixed_size: 0
    .sgpr_count:     20
    .sgpr_spill_count: 0
    .symbol:         _ZN7rocprim17ROCPRIM_400000_NS6detail17trampoline_kernelINS0_14default_configENS1_25transform_config_selectorIjLb0EEEZNS1_14transform_implILb0ES3_S5_PjN6thrust23THRUST_200600_302600_NS6detail15normal_iteratorINS9_10device_ptrIjEEEENS0_8identityIjEEEE10hipError_tT2_T3_mT4_P12ihipStream_tbEUlT_E_NS1_11comp_targetILNS1_3genE4ELNS1_11target_archE910ELNS1_3gpuE8ELNS1_3repE0EEENS1_30default_config_static_selectorELNS0_4arch9wavefront6targetE1EEEvT1_.kd
    .uniform_work_group_size: 1
    .uses_dynamic_stack: false
    .vgpr_count:     7
    .vgpr_spill_count: 0
    .wavefront_size: 64
  - .agpr_count:     0
    .args:
      - .offset:         0
        .size:           40
        .value_kind:     by_value
    .group_segment_fixed_size: 0
    .kernarg_segment_align: 8
    .kernarg_segment_size: 40
    .language:       OpenCL C
    .language_version:
      - 2
      - 0
    .max_flat_workgroup_size: 128
    .name:           _ZN7rocprim17ROCPRIM_400000_NS6detail17trampoline_kernelINS0_14default_configENS1_25transform_config_selectorIjLb0EEEZNS1_14transform_implILb0ES3_S5_PjN6thrust23THRUST_200600_302600_NS6detail15normal_iteratorINS9_10device_ptrIjEEEENS0_8identityIjEEEE10hipError_tT2_T3_mT4_P12ihipStream_tbEUlT_E_NS1_11comp_targetILNS1_3genE3ELNS1_11target_archE908ELNS1_3gpuE7ELNS1_3repE0EEENS1_30default_config_static_selectorELNS0_4arch9wavefront6targetE1EEEvT1_
    .private_segment_fixed_size: 0
    .sgpr_count:     4
    .sgpr_spill_count: 0
    .symbol:         _ZN7rocprim17ROCPRIM_400000_NS6detail17trampoline_kernelINS0_14default_configENS1_25transform_config_selectorIjLb0EEEZNS1_14transform_implILb0ES3_S5_PjN6thrust23THRUST_200600_302600_NS6detail15normal_iteratorINS9_10device_ptrIjEEEENS0_8identityIjEEEE10hipError_tT2_T3_mT4_P12ihipStream_tbEUlT_E_NS1_11comp_targetILNS1_3genE3ELNS1_11target_archE908ELNS1_3gpuE7ELNS1_3repE0EEENS1_30default_config_static_selectorELNS0_4arch9wavefront6targetE1EEEvT1_.kd
    .uniform_work_group_size: 1
    .uses_dynamic_stack: false
    .vgpr_count:     0
    .vgpr_spill_count: 0
    .wavefront_size: 64
  - .agpr_count:     0
    .args:
      - .offset:         0
        .size:           40
        .value_kind:     by_value
    .group_segment_fixed_size: 0
    .kernarg_segment_align: 8
    .kernarg_segment_size: 40
    .language:       OpenCL C
    .language_version:
      - 2
      - 0
    .max_flat_workgroup_size: 1024
    .name:           _ZN7rocprim17ROCPRIM_400000_NS6detail17trampoline_kernelINS0_14default_configENS1_25transform_config_selectorIjLb0EEEZNS1_14transform_implILb0ES3_S5_PjN6thrust23THRUST_200600_302600_NS6detail15normal_iteratorINS9_10device_ptrIjEEEENS0_8identityIjEEEE10hipError_tT2_T3_mT4_P12ihipStream_tbEUlT_E_NS1_11comp_targetILNS1_3genE2ELNS1_11target_archE906ELNS1_3gpuE6ELNS1_3repE0EEENS1_30default_config_static_selectorELNS0_4arch9wavefront6targetE1EEEvT1_
    .private_segment_fixed_size: 0
    .sgpr_count:     4
    .sgpr_spill_count: 0
    .symbol:         _ZN7rocprim17ROCPRIM_400000_NS6detail17trampoline_kernelINS0_14default_configENS1_25transform_config_selectorIjLb0EEEZNS1_14transform_implILb0ES3_S5_PjN6thrust23THRUST_200600_302600_NS6detail15normal_iteratorINS9_10device_ptrIjEEEENS0_8identityIjEEEE10hipError_tT2_T3_mT4_P12ihipStream_tbEUlT_E_NS1_11comp_targetILNS1_3genE2ELNS1_11target_archE906ELNS1_3gpuE6ELNS1_3repE0EEENS1_30default_config_static_selectorELNS0_4arch9wavefront6targetE1EEEvT1_.kd
    .uniform_work_group_size: 1
    .uses_dynamic_stack: false
    .vgpr_count:     0
    .vgpr_spill_count: 0
    .wavefront_size: 64
  - .agpr_count:     0
    .args:
      - .offset:         0
        .size:           40
        .value_kind:     by_value
    .group_segment_fixed_size: 0
    .kernarg_segment_align: 8
    .kernarg_segment_size: 40
    .language:       OpenCL C
    .language_version:
      - 2
      - 0
    .max_flat_workgroup_size: 1024
    .name:           _ZN7rocprim17ROCPRIM_400000_NS6detail17trampoline_kernelINS0_14default_configENS1_25transform_config_selectorIjLb0EEEZNS1_14transform_implILb0ES3_S5_PjN6thrust23THRUST_200600_302600_NS6detail15normal_iteratorINS9_10device_ptrIjEEEENS0_8identityIjEEEE10hipError_tT2_T3_mT4_P12ihipStream_tbEUlT_E_NS1_11comp_targetILNS1_3genE10ELNS1_11target_archE1201ELNS1_3gpuE5ELNS1_3repE0EEENS1_30default_config_static_selectorELNS0_4arch9wavefront6targetE1EEEvT1_
    .private_segment_fixed_size: 0
    .sgpr_count:     4
    .sgpr_spill_count: 0
    .symbol:         _ZN7rocprim17ROCPRIM_400000_NS6detail17trampoline_kernelINS0_14default_configENS1_25transform_config_selectorIjLb0EEEZNS1_14transform_implILb0ES3_S5_PjN6thrust23THRUST_200600_302600_NS6detail15normal_iteratorINS9_10device_ptrIjEEEENS0_8identityIjEEEE10hipError_tT2_T3_mT4_P12ihipStream_tbEUlT_E_NS1_11comp_targetILNS1_3genE10ELNS1_11target_archE1201ELNS1_3gpuE5ELNS1_3repE0EEENS1_30default_config_static_selectorELNS0_4arch9wavefront6targetE1EEEvT1_.kd
    .uniform_work_group_size: 1
    .uses_dynamic_stack: false
    .vgpr_count:     0
    .vgpr_spill_count: 0
    .wavefront_size: 64
  - .agpr_count:     0
    .args:
      - .offset:         0
        .size:           40
        .value_kind:     by_value
    .group_segment_fixed_size: 0
    .kernarg_segment_align: 8
    .kernarg_segment_size: 40
    .language:       OpenCL C
    .language_version:
      - 2
      - 0
    .max_flat_workgroup_size: 512
    .name:           _ZN7rocprim17ROCPRIM_400000_NS6detail17trampoline_kernelINS0_14default_configENS1_25transform_config_selectorIjLb0EEEZNS1_14transform_implILb0ES3_S5_PjN6thrust23THRUST_200600_302600_NS6detail15normal_iteratorINS9_10device_ptrIjEEEENS0_8identityIjEEEE10hipError_tT2_T3_mT4_P12ihipStream_tbEUlT_E_NS1_11comp_targetILNS1_3genE10ELNS1_11target_archE1200ELNS1_3gpuE4ELNS1_3repE0EEENS1_30default_config_static_selectorELNS0_4arch9wavefront6targetE1EEEvT1_
    .private_segment_fixed_size: 0
    .sgpr_count:     4
    .sgpr_spill_count: 0
    .symbol:         _ZN7rocprim17ROCPRIM_400000_NS6detail17trampoline_kernelINS0_14default_configENS1_25transform_config_selectorIjLb0EEEZNS1_14transform_implILb0ES3_S5_PjN6thrust23THRUST_200600_302600_NS6detail15normal_iteratorINS9_10device_ptrIjEEEENS0_8identityIjEEEE10hipError_tT2_T3_mT4_P12ihipStream_tbEUlT_E_NS1_11comp_targetILNS1_3genE10ELNS1_11target_archE1200ELNS1_3gpuE4ELNS1_3repE0EEENS1_30default_config_static_selectorELNS0_4arch9wavefront6targetE1EEEvT1_.kd
    .uniform_work_group_size: 1
    .uses_dynamic_stack: false
    .vgpr_count:     0
    .vgpr_spill_count: 0
    .wavefront_size: 64
  - .agpr_count:     0
    .args:
      - .offset:         0
        .size:           40
        .value_kind:     by_value
    .group_segment_fixed_size: 0
    .kernarg_segment_align: 8
    .kernarg_segment_size: 40
    .language:       OpenCL C
    .language_version:
      - 2
      - 0
    .max_flat_workgroup_size: 64
    .name:           _ZN7rocprim17ROCPRIM_400000_NS6detail17trampoline_kernelINS0_14default_configENS1_25transform_config_selectorIjLb0EEEZNS1_14transform_implILb0ES3_S5_PjN6thrust23THRUST_200600_302600_NS6detail15normal_iteratorINS9_10device_ptrIjEEEENS0_8identityIjEEEE10hipError_tT2_T3_mT4_P12ihipStream_tbEUlT_E_NS1_11comp_targetILNS1_3genE9ELNS1_11target_archE1100ELNS1_3gpuE3ELNS1_3repE0EEENS1_30default_config_static_selectorELNS0_4arch9wavefront6targetE1EEEvT1_
    .private_segment_fixed_size: 0
    .sgpr_count:     4
    .sgpr_spill_count: 0
    .symbol:         _ZN7rocprim17ROCPRIM_400000_NS6detail17trampoline_kernelINS0_14default_configENS1_25transform_config_selectorIjLb0EEEZNS1_14transform_implILb0ES3_S5_PjN6thrust23THRUST_200600_302600_NS6detail15normal_iteratorINS9_10device_ptrIjEEEENS0_8identityIjEEEE10hipError_tT2_T3_mT4_P12ihipStream_tbEUlT_E_NS1_11comp_targetILNS1_3genE9ELNS1_11target_archE1100ELNS1_3gpuE3ELNS1_3repE0EEENS1_30default_config_static_selectorELNS0_4arch9wavefront6targetE1EEEvT1_.kd
    .uniform_work_group_size: 1
    .uses_dynamic_stack: false
    .vgpr_count:     0
    .vgpr_spill_count: 0
    .wavefront_size: 64
  - .agpr_count:     0
    .args:
      - .offset:         0
        .size:           40
        .value_kind:     by_value
    .group_segment_fixed_size: 0
    .kernarg_segment_align: 8
    .kernarg_segment_size: 40
    .language:       OpenCL C
    .language_version:
      - 2
      - 0
    .max_flat_workgroup_size: 256
    .name:           _ZN7rocprim17ROCPRIM_400000_NS6detail17trampoline_kernelINS0_14default_configENS1_25transform_config_selectorIjLb0EEEZNS1_14transform_implILb0ES3_S5_PjN6thrust23THRUST_200600_302600_NS6detail15normal_iteratorINS9_10device_ptrIjEEEENS0_8identityIjEEEE10hipError_tT2_T3_mT4_P12ihipStream_tbEUlT_E_NS1_11comp_targetILNS1_3genE8ELNS1_11target_archE1030ELNS1_3gpuE2ELNS1_3repE0EEENS1_30default_config_static_selectorELNS0_4arch9wavefront6targetE1EEEvT1_
    .private_segment_fixed_size: 0
    .sgpr_count:     4
    .sgpr_spill_count: 0
    .symbol:         _ZN7rocprim17ROCPRIM_400000_NS6detail17trampoline_kernelINS0_14default_configENS1_25transform_config_selectorIjLb0EEEZNS1_14transform_implILb0ES3_S5_PjN6thrust23THRUST_200600_302600_NS6detail15normal_iteratorINS9_10device_ptrIjEEEENS0_8identityIjEEEE10hipError_tT2_T3_mT4_P12ihipStream_tbEUlT_E_NS1_11comp_targetILNS1_3genE8ELNS1_11target_archE1030ELNS1_3gpuE2ELNS1_3repE0EEENS1_30default_config_static_selectorELNS0_4arch9wavefront6targetE1EEEvT1_.kd
    .uniform_work_group_size: 1
    .uses_dynamic_stack: false
    .vgpr_count:     0
    .vgpr_spill_count: 0
    .wavefront_size: 64
  - .agpr_count:     0
    .args:
      - .offset:         0
        .size:           40
        .value_kind:     by_value
    .group_segment_fixed_size: 0
    .kernarg_segment_align: 8
    .kernarg_segment_size: 40
    .language:       OpenCL C
    .language_version:
      - 2
      - 0
    .max_flat_workgroup_size: 128
    .name:           _ZN7rocprim17ROCPRIM_400000_NS6detail17trampoline_kernelINS0_14default_configENS1_25transform_config_selectorIN6thrust23THRUST_200600_302600_NS5tupleIffNS6_9null_typeES8_S8_S8_S8_S8_S8_S8_EELb0EEEZNS1_14transform_implILb0ES3_SA_PS9_NS6_6detail15normal_iteratorINS6_10device_ptrIS9_EEEENS0_8identityIS9_EEEE10hipError_tT2_T3_mT4_P12ihipStream_tbEUlT_E_NS1_11comp_targetILNS1_3genE0ELNS1_11target_archE4294967295ELNS1_3gpuE0ELNS1_3repE0EEENS1_30default_config_static_selectorELNS0_4arch9wavefront6targetE1EEEvT1_
    .private_segment_fixed_size: 0
    .sgpr_count:     4
    .sgpr_spill_count: 0
    .symbol:         _ZN7rocprim17ROCPRIM_400000_NS6detail17trampoline_kernelINS0_14default_configENS1_25transform_config_selectorIN6thrust23THRUST_200600_302600_NS5tupleIffNS6_9null_typeES8_S8_S8_S8_S8_S8_S8_EELb0EEEZNS1_14transform_implILb0ES3_SA_PS9_NS6_6detail15normal_iteratorINS6_10device_ptrIS9_EEEENS0_8identityIS9_EEEE10hipError_tT2_T3_mT4_P12ihipStream_tbEUlT_E_NS1_11comp_targetILNS1_3genE0ELNS1_11target_archE4294967295ELNS1_3gpuE0ELNS1_3repE0EEENS1_30default_config_static_selectorELNS0_4arch9wavefront6targetE1EEEvT1_.kd
    .uniform_work_group_size: 1
    .uses_dynamic_stack: false
    .vgpr_count:     0
    .vgpr_spill_count: 0
    .wavefront_size: 64
  - .agpr_count:     0
    .args:
      - .offset:         0
        .size:           40
        .value_kind:     by_value
    .group_segment_fixed_size: 0
    .kernarg_segment_align: 8
    .kernarg_segment_size: 40
    .language:       OpenCL C
    .language_version:
      - 2
      - 0
    .max_flat_workgroup_size: 512
    .name:           _ZN7rocprim17ROCPRIM_400000_NS6detail17trampoline_kernelINS0_14default_configENS1_25transform_config_selectorIN6thrust23THRUST_200600_302600_NS5tupleIffNS6_9null_typeES8_S8_S8_S8_S8_S8_S8_EELb0EEEZNS1_14transform_implILb0ES3_SA_PS9_NS6_6detail15normal_iteratorINS6_10device_ptrIS9_EEEENS0_8identityIS9_EEEE10hipError_tT2_T3_mT4_P12ihipStream_tbEUlT_E_NS1_11comp_targetILNS1_3genE5ELNS1_11target_archE942ELNS1_3gpuE9ELNS1_3repE0EEENS1_30default_config_static_selectorELNS0_4arch9wavefront6targetE1EEEvT1_
    .private_segment_fixed_size: 0
    .sgpr_count:     4
    .sgpr_spill_count: 0
    .symbol:         _ZN7rocprim17ROCPRIM_400000_NS6detail17trampoline_kernelINS0_14default_configENS1_25transform_config_selectorIN6thrust23THRUST_200600_302600_NS5tupleIffNS6_9null_typeES8_S8_S8_S8_S8_S8_S8_EELb0EEEZNS1_14transform_implILb0ES3_SA_PS9_NS6_6detail15normal_iteratorINS6_10device_ptrIS9_EEEENS0_8identityIS9_EEEE10hipError_tT2_T3_mT4_P12ihipStream_tbEUlT_E_NS1_11comp_targetILNS1_3genE5ELNS1_11target_archE942ELNS1_3gpuE9ELNS1_3repE0EEENS1_30default_config_static_selectorELNS0_4arch9wavefront6targetE1EEEvT1_.kd
    .uniform_work_group_size: 1
    .uses_dynamic_stack: false
    .vgpr_count:     0
    .vgpr_spill_count: 0
    .wavefront_size: 64
  - .agpr_count:     0
    .args:
      - .offset:         0
        .size:           40
        .value_kind:     by_value
      - .offset:         40
        .size:           4
        .value_kind:     hidden_block_count_x
      - .offset:         44
        .size:           4
        .value_kind:     hidden_block_count_y
      - .offset:         48
        .size:           4
        .value_kind:     hidden_block_count_z
      - .offset:         52
        .size:           2
        .value_kind:     hidden_group_size_x
      - .offset:         54
        .size:           2
        .value_kind:     hidden_group_size_y
      - .offset:         56
        .size:           2
        .value_kind:     hidden_group_size_z
      - .offset:         58
        .size:           2
        .value_kind:     hidden_remainder_x
      - .offset:         60
        .size:           2
        .value_kind:     hidden_remainder_y
      - .offset:         62
        .size:           2
        .value_kind:     hidden_remainder_z
      - .offset:         80
        .size:           8
        .value_kind:     hidden_global_offset_x
      - .offset:         88
        .size:           8
        .value_kind:     hidden_global_offset_y
      - .offset:         96
        .size:           8
        .value_kind:     hidden_global_offset_z
      - .offset:         104
        .size:           2
        .value_kind:     hidden_grid_dims
    .group_segment_fixed_size: 0
    .kernarg_segment_align: 8
    .kernarg_segment_size: 296
    .language:       OpenCL C
    .language_version:
      - 2
      - 0
    .max_flat_workgroup_size: 256
    .name:           _ZN7rocprim17ROCPRIM_400000_NS6detail17trampoline_kernelINS0_14default_configENS1_25transform_config_selectorIN6thrust23THRUST_200600_302600_NS5tupleIffNS6_9null_typeES8_S8_S8_S8_S8_S8_S8_EELb0EEEZNS1_14transform_implILb0ES3_SA_PS9_NS6_6detail15normal_iteratorINS6_10device_ptrIS9_EEEENS0_8identityIS9_EEEE10hipError_tT2_T3_mT4_P12ihipStream_tbEUlT_E_NS1_11comp_targetILNS1_3genE4ELNS1_11target_archE910ELNS1_3gpuE8ELNS1_3repE0EEENS1_30default_config_static_selectorELNS0_4arch9wavefront6targetE1EEEvT1_
    .private_segment_fixed_size: 0
    .sgpr_count:     20
    .sgpr_spill_count: 0
    .symbol:         _ZN7rocprim17ROCPRIM_400000_NS6detail17trampoline_kernelINS0_14default_configENS1_25transform_config_selectorIN6thrust23THRUST_200600_302600_NS5tupleIffNS6_9null_typeES8_S8_S8_S8_S8_S8_S8_EELb0EEEZNS1_14transform_implILb0ES3_SA_PS9_NS6_6detail15normal_iteratorINS6_10device_ptrIS9_EEEENS0_8identityIS9_EEEE10hipError_tT2_T3_mT4_P12ihipStream_tbEUlT_E_NS1_11comp_targetILNS1_3genE4ELNS1_11target_archE910ELNS1_3gpuE8ELNS1_3repE0EEENS1_30default_config_static_selectorELNS0_4arch9wavefront6targetE1EEEvT1_.kd
    .uniform_work_group_size: 1
    .uses_dynamic_stack: false
    .vgpr_count:     10
    .vgpr_spill_count: 0
    .wavefront_size: 64
  - .agpr_count:     0
    .args:
      - .offset:         0
        .size:           40
        .value_kind:     by_value
    .group_segment_fixed_size: 0
    .kernarg_segment_align: 8
    .kernarg_segment_size: 40
    .language:       OpenCL C
    .language_version:
      - 2
      - 0
    .max_flat_workgroup_size: 128
    .name:           _ZN7rocprim17ROCPRIM_400000_NS6detail17trampoline_kernelINS0_14default_configENS1_25transform_config_selectorIN6thrust23THRUST_200600_302600_NS5tupleIffNS6_9null_typeES8_S8_S8_S8_S8_S8_S8_EELb0EEEZNS1_14transform_implILb0ES3_SA_PS9_NS6_6detail15normal_iteratorINS6_10device_ptrIS9_EEEENS0_8identityIS9_EEEE10hipError_tT2_T3_mT4_P12ihipStream_tbEUlT_E_NS1_11comp_targetILNS1_3genE3ELNS1_11target_archE908ELNS1_3gpuE7ELNS1_3repE0EEENS1_30default_config_static_selectorELNS0_4arch9wavefront6targetE1EEEvT1_
    .private_segment_fixed_size: 0
    .sgpr_count:     4
    .sgpr_spill_count: 0
    .symbol:         _ZN7rocprim17ROCPRIM_400000_NS6detail17trampoline_kernelINS0_14default_configENS1_25transform_config_selectorIN6thrust23THRUST_200600_302600_NS5tupleIffNS6_9null_typeES8_S8_S8_S8_S8_S8_S8_EELb0EEEZNS1_14transform_implILb0ES3_SA_PS9_NS6_6detail15normal_iteratorINS6_10device_ptrIS9_EEEENS0_8identityIS9_EEEE10hipError_tT2_T3_mT4_P12ihipStream_tbEUlT_E_NS1_11comp_targetILNS1_3genE3ELNS1_11target_archE908ELNS1_3gpuE7ELNS1_3repE0EEENS1_30default_config_static_selectorELNS0_4arch9wavefront6targetE1EEEvT1_.kd
    .uniform_work_group_size: 1
    .uses_dynamic_stack: false
    .vgpr_count:     0
    .vgpr_spill_count: 0
    .wavefront_size: 64
  - .agpr_count:     0
    .args:
      - .offset:         0
        .size:           40
        .value_kind:     by_value
    .group_segment_fixed_size: 0
    .kernarg_segment_align: 8
    .kernarg_segment_size: 40
    .language:       OpenCL C
    .language_version:
      - 2
      - 0
    .max_flat_workgroup_size: 512
    .name:           _ZN7rocprim17ROCPRIM_400000_NS6detail17trampoline_kernelINS0_14default_configENS1_25transform_config_selectorIN6thrust23THRUST_200600_302600_NS5tupleIffNS6_9null_typeES8_S8_S8_S8_S8_S8_S8_EELb0EEEZNS1_14transform_implILb0ES3_SA_PS9_NS6_6detail15normal_iteratorINS6_10device_ptrIS9_EEEENS0_8identityIS9_EEEE10hipError_tT2_T3_mT4_P12ihipStream_tbEUlT_E_NS1_11comp_targetILNS1_3genE2ELNS1_11target_archE906ELNS1_3gpuE6ELNS1_3repE0EEENS1_30default_config_static_selectorELNS0_4arch9wavefront6targetE1EEEvT1_
    .private_segment_fixed_size: 0
    .sgpr_count:     4
    .sgpr_spill_count: 0
    .symbol:         _ZN7rocprim17ROCPRIM_400000_NS6detail17trampoline_kernelINS0_14default_configENS1_25transform_config_selectorIN6thrust23THRUST_200600_302600_NS5tupleIffNS6_9null_typeES8_S8_S8_S8_S8_S8_S8_EELb0EEEZNS1_14transform_implILb0ES3_SA_PS9_NS6_6detail15normal_iteratorINS6_10device_ptrIS9_EEEENS0_8identityIS9_EEEE10hipError_tT2_T3_mT4_P12ihipStream_tbEUlT_E_NS1_11comp_targetILNS1_3genE2ELNS1_11target_archE906ELNS1_3gpuE6ELNS1_3repE0EEENS1_30default_config_static_selectorELNS0_4arch9wavefront6targetE1EEEvT1_.kd
    .uniform_work_group_size: 1
    .uses_dynamic_stack: false
    .vgpr_count:     0
    .vgpr_spill_count: 0
    .wavefront_size: 64
  - .agpr_count:     0
    .args:
      - .offset:         0
        .size:           40
        .value_kind:     by_value
    .group_segment_fixed_size: 0
    .kernarg_segment_align: 8
    .kernarg_segment_size: 40
    .language:       OpenCL C
    .language_version:
      - 2
      - 0
    .max_flat_workgroup_size: 1024
    .name:           _ZN7rocprim17ROCPRIM_400000_NS6detail17trampoline_kernelINS0_14default_configENS1_25transform_config_selectorIN6thrust23THRUST_200600_302600_NS5tupleIffNS6_9null_typeES8_S8_S8_S8_S8_S8_S8_EELb0EEEZNS1_14transform_implILb0ES3_SA_PS9_NS6_6detail15normal_iteratorINS6_10device_ptrIS9_EEEENS0_8identityIS9_EEEE10hipError_tT2_T3_mT4_P12ihipStream_tbEUlT_E_NS1_11comp_targetILNS1_3genE10ELNS1_11target_archE1201ELNS1_3gpuE5ELNS1_3repE0EEENS1_30default_config_static_selectorELNS0_4arch9wavefront6targetE1EEEvT1_
    .private_segment_fixed_size: 0
    .sgpr_count:     4
    .sgpr_spill_count: 0
    .symbol:         _ZN7rocprim17ROCPRIM_400000_NS6detail17trampoline_kernelINS0_14default_configENS1_25transform_config_selectorIN6thrust23THRUST_200600_302600_NS5tupleIffNS6_9null_typeES8_S8_S8_S8_S8_S8_S8_EELb0EEEZNS1_14transform_implILb0ES3_SA_PS9_NS6_6detail15normal_iteratorINS6_10device_ptrIS9_EEEENS0_8identityIS9_EEEE10hipError_tT2_T3_mT4_P12ihipStream_tbEUlT_E_NS1_11comp_targetILNS1_3genE10ELNS1_11target_archE1201ELNS1_3gpuE5ELNS1_3repE0EEENS1_30default_config_static_selectorELNS0_4arch9wavefront6targetE1EEEvT1_.kd
    .uniform_work_group_size: 1
    .uses_dynamic_stack: false
    .vgpr_count:     0
    .vgpr_spill_count: 0
    .wavefront_size: 64
  - .agpr_count:     0
    .args:
      - .offset:         0
        .size:           40
        .value_kind:     by_value
    .group_segment_fixed_size: 0
    .kernarg_segment_align: 8
    .kernarg_segment_size: 40
    .language:       OpenCL C
    .language_version:
      - 2
      - 0
    .max_flat_workgroup_size: 512
    .name:           _ZN7rocprim17ROCPRIM_400000_NS6detail17trampoline_kernelINS0_14default_configENS1_25transform_config_selectorIN6thrust23THRUST_200600_302600_NS5tupleIffNS6_9null_typeES8_S8_S8_S8_S8_S8_S8_EELb0EEEZNS1_14transform_implILb0ES3_SA_PS9_NS6_6detail15normal_iteratorINS6_10device_ptrIS9_EEEENS0_8identityIS9_EEEE10hipError_tT2_T3_mT4_P12ihipStream_tbEUlT_E_NS1_11comp_targetILNS1_3genE10ELNS1_11target_archE1200ELNS1_3gpuE4ELNS1_3repE0EEENS1_30default_config_static_selectorELNS0_4arch9wavefront6targetE1EEEvT1_
    .private_segment_fixed_size: 0
    .sgpr_count:     4
    .sgpr_spill_count: 0
    .symbol:         _ZN7rocprim17ROCPRIM_400000_NS6detail17trampoline_kernelINS0_14default_configENS1_25transform_config_selectorIN6thrust23THRUST_200600_302600_NS5tupleIffNS6_9null_typeES8_S8_S8_S8_S8_S8_S8_EELb0EEEZNS1_14transform_implILb0ES3_SA_PS9_NS6_6detail15normal_iteratorINS6_10device_ptrIS9_EEEENS0_8identityIS9_EEEE10hipError_tT2_T3_mT4_P12ihipStream_tbEUlT_E_NS1_11comp_targetILNS1_3genE10ELNS1_11target_archE1200ELNS1_3gpuE4ELNS1_3repE0EEENS1_30default_config_static_selectorELNS0_4arch9wavefront6targetE1EEEvT1_.kd
    .uniform_work_group_size: 1
    .uses_dynamic_stack: false
    .vgpr_count:     0
    .vgpr_spill_count: 0
    .wavefront_size: 64
  - .agpr_count:     0
    .args:
      - .offset:         0
        .size:           40
        .value_kind:     by_value
    .group_segment_fixed_size: 0
    .kernarg_segment_align: 8
    .kernarg_segment_size: 40
    .language:       OpenCL C
    .language_version:
      - 2
      - 0
    .max_flat_workgroup_size: 512
    .name:           _ZN7rocprim17ROCPRIM_400000_NS6detail17trampoline_kernelINS0_14default_configENS1_25transform_config_selectorIN6thrust23THRUST_200600_302600_NS5tupleIffNS6_9null_typeES8_S8_S8_S8_S8_S8_S8_EELb0EEEZNS1_14transform_implILb0ES3_SA_PS9_NS6_6detail15normal_iteratorINS6_10device_ptrIS9_EEEENS0_8identityIS9_EEEE10hipError_tT2_T3_mT4_P12ihipStream_tbEUlT_E_NS1_11comp_targetILNS1_3genE9ELNS1_11target_archE1100ELNS1_3gpuE3ELNS1_3repE0EEENS1_30default_config_static_selectorELNS0_4arch9wavefront6targetE1EEEvT1_
    .private_segment_fixed_size: 0
    .sgpr_count:     4
    .sgpr_spill_count: 0
    .symbol:         _ZN7rocprim17ROCPRIM_400000_NS6detail17trampoline_kernelINS0_14default_configENS1_25transform_config_selectorIN6thrust23THRUST_200600_302600_NS5tupleIffNS6_9null_typeES8_S8_S8_S8_S8_S8_S8_EELb0EEEZNS1_14transform_implILb0ES3_SA_PS9_NS6_6detail15normal_iteratorINS6_10device_ptrIS9_EEEENS0_8identityIS9_EEEE10hipError_tT2_T3_mT4_P12ihipStream_tbEUlT_E_NS1_11comp_targetILNS1_3genE9ELNS1_11target_archE1100ELNS1_3gpuE3ELNS1_3repE0EEENS1_30default_config_static_selectorELNS0_4arch9wavefront6targetE1EEEvT1_.kd
    .uniform_work_group_size: 1
    .uses_dynamic_stack: false
    .vgpr_count:     0
    .vgpr_spill_count: 0
    .wavefront_size: 64
  - .agpr_count:     0
    .args:
      - .offset:         0
        .size:           40
        .value_kind:     by_value
    .group_segment_fixed_size: 0
    .kernarg_segment_align: 8
    .kernarg_segment_size: 40
    .language:       OpenCL C
    .language_version:
      - 2
      - 0
    .max_flat_workgroup_size: 512
    .name:           _ZN7rocprim17ROCPRIM_400000_NS6detail17trampoline_kernelINS0_14default_configENS1_25transform_config_selectorIN6thrust23THRUST_200600_302600_NS5tupleIffNS6_9null_typeES8_S8_S8_S8_S8_S8_S8_EELb0EEEZNS1_14transform_implILb0ES3_SA_PS9_NS6_6detail15normal_iteratorINS6_10device_ptrIS9_EEEENS0_8identityIS9_EEEE10hipError_tT2_T3_mT4_P12ihipStream_tbEUlT_E_NS1_11comp_targetILNS1_3genE8ELNS1_11target_archE1030ELNS1_3gpuE2ELNS1_3repE0EEENS1_30default_config_static_selectorELNS0_4arch9wavefront6targetE1EEEvT1_
    .private_segment_fixed_size: 0
    .sgpr_count:     4
    .sgpr_spill_count: 0
    .symbol:         _ZN7rocprim17ROCPRIM_400000_NS6detail17trampoline_kernelINS0_14default_configENS1_25transform_config_selectorIN6thrust23THRUST_200600_302600_NS5tupleIffNS6_9null_typeES8_S8_S8_S8_S8_S8_S8_EELb0EEEZNS1_14transform_implILb0ES3_SA_PS9_NS6_6detail15normal_iteratorINS6_10device_ptrIS9_EEEENS0_8identityIS9_EEEE10hipError_tT2_T3_mT4_P12ihipStream_tbEUlT_E_NS1_11comp_targetILNS1_3genE8ELNS1_11target_archE1030ELNS1_3gpuE2ELNS1_3repE0EEENS1_30default_config_static_selectorELNS0_4arch9wavefront6targetE1EEEvT1_.kd
    .uniform_work_group_size: 1
    .uses_dynamic_stack: false
    .vgpr_count:     0
    .vgpr_spill_count: 0
    .wavefront_size: 64
  - .agpr_count:     0
    .args:
      - .offset:         0
        .size:           40
        .value_kind:     by_value
    .group_segment_fixed_size: 0
    .kernarg_segment_align: 8
    .kernarg_segment_size: 40
    .language:       OpenCL C
    .language_version:
      - 2
      - 0
    .max_flat_workgroup_size: 128
    .name:           _ZN7rocprim17ROCPRIM_400000_NS6detail17trampoline_kernelINS0_14default_configENS1_38merge_sort_block_merge_config_selectorIjN6thrust23THRUST_200600_302600_NS5tupleIffNS6_9null_typeES8_S8_S8_S8_S8_S8_S8_EEEEZZNS1_27merge_sort_block_merge_implIS3_NS6_6detail15normal_iteratorINS6_10device_ptrIjEEEENSD_INSE_IS9_EEEEjNS1_19radix_merge_compareILb0ELb1EjNS0_19identity_decomposerEEEEE10hipError_tT0_T1_T2_jT3_P12ihipStream_tbPNSt15iterator_traitsISN_E10value_typeEPNST_ISO_E10value_typeEPSP_NS1_7vsmem_tEENKUlT_SN_SO_SP_E_clIPjSG_PS9_SI_EESM_S12_SN_SO_SP_EUlS12_E_NS1_11comp_targetILNS1_3genE0ELNS1_11target_archE4294967295ELNS1_3gpuE0ELNS1_3repE0EEENS1_48merge_mergepath_partition_config_static_selectorELNS0_4arch9wavefront6targetE1EEEvSO_
    .private_segment_fixed_size: 0
    .sgpr_count:     4
    .sgpr_spill_count: 0
    .symbol:         _ZN7rocprim17ROCPRIM_400000_NS6detail17trampoline_kernelINS0_14default_configENS1_38merge_sort_block_merge_config_selectorIjN6thrust23THRUST_200600_302600_NS5tupleIffNS6_9null_typeES8_S8_S8_S8_S8_S8_S8_EEEEZZNS1_27merge_sort_block_merge_implIS3_NS6_6detail15normal_iteratorINS6_10device_ptrIjEEEENSD_INSE_IS9_EEEEjNS1_19radix_merge_compareILb0ELb1EjNS0_19identity_decomposerEEEEE10hipError_tT0_T1_T2_jT3_P12ihipStream_tbPNSt15iterator_traitsISN_E10value_typeEPNST_ISO_E10value_typeEPSP_NS1_7vsmem_tEENKUlT_SN_SO_SP_E_clIPjSG_PS9_SI_EESM_S12_SN_SO_SP_EUlS12_E_NS1_11comp_targetILNS1_3genE0ELNS1_11target_archE4294967295ELNS1_3gpuE0ELNS1_3repE0EEENS1_48merge_mergepath_partition_config_static_selectorELNS0_4arch9wavefront6targetE1EEEvSO_.kd
    .uniform_work_group_size: 1
    .uses_dynamic_stack: false
    .vgpr_count:     0
    .vgpr_spill_count: 0
    .wavefront_size: 64
  - .agpr_count:     0
    .args:
      - .offset:         0
        .size:           40
        .value_kind:     by_value
    .group_segment_fixed_size: 0
    .kernarg_segment_align: 8
    .kernarg_segment_size: 40
    .language:       OpenCL C
    .language_version:
      - 2
      - 0
    .max_flat_workgroup_size: 128
    .name:           _ZN7rocprim17ROCPRIM_400000_NS6detail17trampoline_kernelINS0_14default_configENS1_38merge_sort_block_merge_config_selectorIjN6thrust23THRUST_200600_302600_NS5tupleIffNS6_9null_typeES8_S8_S8_S8_S8_S8_S8_EEEEZZNS1_27merge_sort_block_merge_implIS3_NS6_6detail15normal_iteratorINS6_10device_ptrIjEEEENSD_INSE_IS9_EEEEjNS1_19radix_merge_compareILb0ELb1EjNS0_19identity_decomposerEEEEE10hipError_tT0_T1_T2_jT3_P12ihipStream_tbPNSt15iterator_traitsISN_E10value_typeEPNST_ISO_E10value_typeEPSP_NS1_7vsmem_tEENKUlT_SN_SO_SP_E_clIPjSG_PS9_SI_EESM_S12_SN_SO_SP_EUlS12_E_NS1_11comp_targetILNS1_3genE10ELNS1_11target_archE1201ELNS1_3gpuE5ELNS1_3repE0EEENS1_48merge_mergepath_partition_config_static_selectorELNS0_4arch9wavefront6targetE1EEEvSO_
    .private_segment_fixed_size: 0
    .sgpr_count:     4
    .sgpr_spill_count: 0
    .symbol:         _ZN7rocprim17ROCPRIM_400000_NS6detail17trampoline_kernelINS0_14default_configENS1_38merge_sort_block_merge_config_selectorIjN6thrust23THRUST_200600_302600_NS5tupleIffNS6_9null_typeES8_S8_S8_S8_S8_S8_S8_EEEEZZNS1_27merge_sort_block_merge_implIS3_NS6_6detail15normal_iteratorINS6_10device_ptrIjEEEENSD_INSE_IS9_EEEEjNS1_19radix_merge_compareILb0ELb1EjNS0_19identity_decomposerEEEEE10hipError_tT0_T1_T2_jT3_P12ihipStream_tbPNSt15iterator_traitsISN_E10value_typeEPNST_ISO_E10value_typeEPSP_NS1_7vsmem_tEENKUlT_SN_SO_SP_E_clIPjSG_PS9_SI_EESM_S12_SN_SO_SP_EUlS12_E_NS1_11comp_targetILNS1_3genE10ELNS1_11target_archE1201ELNS1_3gpuE5ELNS1_3repE0EEENS1_48merge_mergepath_partition_config_static_selectorELNS0_4arch9wavefront6targetE1EEEvSO_.kd
    .uniform_work_group_size: 1
    .uses_dynamic_stack: false
    .vgpr_count:     0
    .vgpr_spill_count: 0
    .wavefront_size: 64
  - .agpr_count:     0
    .args:
      - .offset:         0
        .size:           40
        .value_kind:     by_value
    .group_segment_fixed_size: 0
    .kernarg_segment_align: 8
    .kernarg_segment_size: 40
    .language:       OpenCL C
    .language_version:
      - 2
      - 0
    .max_flat_workgroup_size: 128
    .name:           _ZN7rocprim17ROCPRIM_400000_NS6detail17trampoline_kernelINS0_14default_configENS1_38merge_sort_block_merge_config_selectorIjN6thrust23THRUST_200600_302600_NS5tupleIffNS6_9null_typeES8_S8_S8_S8_S8_S8_S8_EEEEZZNS1_27merge_sort_block_merge_implIS3_NS6_6detail15normal_iteratorINS6_10device_ptrIjEEEENSD_INSE_IS9_EEEEjNS1_19radix_merge_compareILb0ELb1EjNS0_19identity_decomposerEEEEE10hipError_tT0_T1_T2_jT3_P12ihipStream_tbPNSt15iterator_traitsISN_E10value_typeEPNST_ISO_E10value_typeEPSP_NS1_7vsmem_tEENKUlT_SN_SO_SP_E_clIPjSG_PS9_SI_EESM_S12_SN_SO_SP_EUlS12_E_NS1_11comp_targetILNS1_3genE5ELNS1_11target_archE942ELNS1_3gpuE9ELNS1_3repE0EEENS1_48merge_mergepath_partition_config_static_selectorELNS0_4arch9wavefront6targetE1EEEvSO_
    .private_segment_fixed_size: 0
    .sgpr_count:     4
    .sgpr_spill_count: 0
    .symbol:         _ZN7rocprim17ROCPRIM_400000_NS6detail17trampoline_kernelINS0_14default_configENS1_38merge_sort_block_merge_config_selectorIjN6thrust23THRUST_200600_302600_NS5tupleIffNS6_9null_typeES8_S8_S8_S8_S8_S8_S8_EEEEZZNS1_27merge_sort_block_merge_implIS3_NS6_6detail15normal_iteratorINS6_10device_ptrIjEEEENSD_INSE_IS9_EEEEjNS1_19radix_merge_compareILb0ELb1EjNS0_19identity_decomposerEEEEE10hipError_tT0_T1_T2_jT3_P12ihipStream_tbPNSt15iterator_traitsISN_E10value_typeEPNST_ISO_E10value_typeEPSP_NS1_7vsmem_tEENKUlT_SN_SO_SP_E_clIPjSG_PS9_SI_EESM_S12_SN_SO_SP_EUlS12_E_NS1_11comp_targetILNS1_3genE5ELNS1_11target_archE942ELNS1_3gpuE9ELNS1_3repE0EEENS1_48merge_mergepath_partition_config_static_selectorELNS0_4arch9wavefront6targetE1EEEvSO_.kd
    .uniform_work_group_size: 1
    .uses_dynamic_stack: false
    .vgpr_count:     0
    .vgpr_spill_count: 0
    .wavefront_size: 64
  - .agpr_count:     0
    .args:
      - .offset:         0
        .size:           40
        .value_kind:     by_value
    .group_segment_fixed_size: 0
    .kernarg_segment_align: 8
    .kernarg_segment_size: 40
    .language:       OpenCL C
    .language_version:
      - 2
      - 0
    .max_flat_workgroup_size: 128
    .name:           _ZN7rocprim17ROCPRIM_400000_NS6detail17trampoline_kernelINS0_14default_configENS1_38merge_sort_block_merge_config_selectorIjN6thrust23THRUST_200600_302600_NS5tupleIffNS6_9null_typeES8_S8_S8_S8_S8_S8_S8_EEEEZZNS1_27merge_sort_block_merge_implIS3_NS6_6detail15normal_iteratorINS6_10device_ptrIjEEEENSD_INSE_IS9_EEEEjNS1_19radix_merge_compareILb0ELb1EjNS0_19identity_decomposerEEEEE10hipError_tT0_T1_T2_jT3_P12ihipStream_tbPNSt15iterator_traitsISN_E10value_typeEPNST_ISO_E10value_typeEPSP_NS1_7vsmem_tEENKUlT_SN_SO_SP_E_clIPjSG_PS9_SI_EESM_S12_SN_SO_SP_EUlS12_E_NS1_11comp_targetILNS1_3genE4ELNS1_11target_archE910ELNS1_3gpuE8ELNS1_3repE0EEENS1_48merge_mergepath_partition_config_static_selectorELNS0_4arch9wavefront6targetE1EEEvSO_
    .private_segment_fixed_size: 0
    .sgpr_count:     14
    .sgpr_spill_count: 0
    .symbol:         _ZN7rocprim17ROCPRIM_400000_NS6detail17trampoline_kernelINS0_14default_configENS1_38merge_sort_block_merge_config_selectorIjN6thrust23THRUST_200600_302600_NS5tupleIffNS6_9null_typeES8_S8_S8_S8_S8_S8_S8_EEEEZZNS1_27merge_sort_block_merge_implIS3_NS6_6detail15normal_iteratorINS6_10device_ptrIjEEEENSD_INSE_IS9_EEEEjNS1_19radix_merge_compareILb0ELb1EjNS0_19identity_decomposerEEEEE10hipError_tT0_T1_T2_jT3_P12ihipStream_tbPNSt15iterator_traitsISN_E10value_typeEPNST_ISO_E10value_typeEPSP_NS1_7vsmem_tEENKUlT_SN_SO_SP_E_clIPjSG_PS9_SI_EESM_S12_SN_SO_SP_EUlS12_E_NS1_11comp_targetILNS1_3genE4ELNS1_11target_archE910ELNS1_3gpuE8ELNS1_3repE0EEENS1_48merge_mergepath_partition_config_static_selectorELNS0_4arch9wavefront6targetE1EEEvSO_.kd
    .uniform_work_group_size: 1
    .uses_dynamic_stack: false
    .vgpr_count:     17
    .vgpr_spill_count: 0
    .wavefront_size: 64
  - .agpr_count:     0
    .args:
      - .offset:         0
        .size:           40
        .value_kind:     by_value
    .group_segment_fixed_size: 0
    .kernarg_segment_align: 8
    .kernarg_segment_size: 40
    .language:       OpenCL C
    .language_version:
      - 2
      - 0
    .max_flat_workgroup_size: 128
    .name:           _ZN7rocprim17ROCPRIM_400000_NS6detail17trampoline_kernelINS0_14default_configENS1_38merge_sort_block_merge_config_selectorIjN6thrust23THRUST_200600_302600_NS5tupleIffNS6_9null_typeES8_S8_S8_S8_S8_S8_S8_EEEEZZNS1_27merge_sort_block_merge_implIS3_NS6_6detail15normal_iteratorINS6_10device_ptrIjEEEENSD_INSE_IS9_EEEEjNS1_19radix_merge_compareILb0ELb1EjNS0_19identity_decomposerEEEEE10hipError_tT0_T1_T2_jT3_P12ihipStream_tbPNSt15iterator_traitsISN_E10value_typeEPNST_ISO_E10value_typeEPSP_NS1_7vsmem_tEENKUlT_SN_SO_SP_E_clIPjSG_PS9_SI_EESM_S12_SN_SO_SP_EUlS12_E_NS1_11comp_targetILNS1_3genE3ELNS1_11target_archE908ELNS1_3gpuE7ELNS1_3repE0EEENS1_48merge_mergepath_partition_config_static_selectorELNS0_4arch9wavefront6targetE1EEEvSO_
    .private_segment_fixed_size: 0
    .sgpr_count:     4
    .sgpr_spill_count: 0
    .symbol:         _ZN7rocprim17ROCPRIM_400000_NS6detail17trampoline_kernelINS0_14default_configENS1_38merge_sort_block_merge_config_selectorIjN6thrust23THRUST_200600_302600_NS5tupleIffNS6_9null_typeES8_S8_S8_S8_S8_S8_S8_EEEEZZNS1_27merge_sort_block_merge_implIS3_NS6_6detail15normal_iteratorINS6_10device_ptrIjEEEENSD_INSE_IS9_EEEEjNS1_19radix_merge_compareILb0ELb1EjNS0_19identity_decomposerEEEEE10hipError_tT0_T1_T2_jT3_P12ihipStream_tbPNSt15iterator_traitsISN_E10value_typeEPNST_ISO_E10value_typeEPSP_NS1_7vsmem_tEENKUlT_SN_SO_SP_E_clIPjSG_PS9_SI_EESM_S12_SN_SO_SP_EUlS12_E_NS1_11comp_targetILNS1_3genE3ELNS1_11target_archE908ELNS1_3gpuE7ELNS1_3repE0EEENS1_48merge_mergepath_partition_config_static_selectorELNS0_4arch9wavefront6targetE1EEEvSO_.kd
    .uniform_work_group_size: 1
    .uses_dynamic_stack: false
    .vgpr_count:     0
    .vgpr_spill_count: 0
    .wavefront_size: 64
  - .agpr_count:     0
    .args:
      - .offset:         0
        .size:           40
        .value_kind:     by_value
    .group_segment_fixed_size: 0
    .kernarg_segment_align: 8
    .kernarg_segment_size: 40
    .language:       OpenCL C
    .language_version:
      - 2
      - 0
    .max_flat_workgroup_size: 128
    .name:           _ZN7rocprim17ROCPRIM_400000_NS6detail17trampoline_kernelINS0_14default_configENS1_38merge_sort_block_merge_config_selectorIjN6thrust23THRUST_200600_302600_NS5tupleIffNS6_9null_typeES8_S8_S8_S8_S8_S8_S8_EEEEZZNS1_27merge_sort_block_merge_implIS3_NS6_6detail15normal_iteratorINS6_10device_ptrIjEEEENSD_INSE_IS9_EEEEjNS1_19radix_merge_compareILb0ELb1EjNS0_19identity_decomposerEEEEE10hipError_tT0_T1_T2_jT3_P12ihipStream_tbPNSt15iterator_traitsISN_E10value_typeEPNST_ISO_E10value_typeEPSP_NS1_7vsmem_tEENKUlT_SN_SO_SP_E_clIPjSG_PS9_SI_EESM_S12_SN_SO_SP_EUlS12_E_NS1_11comp_targetILNS1_3genE2ELNS1_11target_archE906ELNS1_3gpuE6ELNS1_3repE0EEENS1_48merge_mergepath_partition_config_static_selectorELNS0_4arch9wavefront6targetE1EEEvSO_
    .private_segment_fixed_size: 0
    .sgpr_count:     4
    .sgpr_spill_count: 0
    .symbol:         _ZN7rocprim17ROCPRIM_400000_NS6detail17trampoline_kernelINS0_14default_configENS1_38merge_sort_block_merge_config_selectorIjN6thrust23THRUST_200600_302600_NS5tupleIffNS6_9null_typeES8_S8_S8_S8_S8_S8_S8_EEEEZZNS1_27merge_sort_block_merge_implIS3_NS6_6detail15normal_iteratorINS6_10device_ptrIjEEEENSD_INSE_IS9_EEEEjNS1_19radix_merge_compareILb0ELb1EjNS0_19identity_decomposerEEEEE10hipError_tT0_T1_T2_jT3_P12ihipStream_tbPNSt15iterator_traitsISN_E10value_typeEPNST_ISO_E10value_typeEPSP_NS1_7vsmem_tEENKUlT_SN_SO_SP_E_clIPjSG_PS9_SI_EESM_S12_SN_SO_SP_EUlS12_E_NS1_11comp_targetILNS1_3genE2ELNS1_11target_archE906ELNS1_3gpuE6ELNS1_3repE0EEENS1_48merge_mergepath_partition_config_static_selectorELNS0_4arch9wavefront6targetE1EEEvSO_.kd
    .uniform_work_group_size: 1
    .uses_dynamic_stack: false
    .vgpr_count:     0
    .vgpr_spill_count: 0
    .wavefront_size: 64
  - .agpr_count:     0
    .args:
      - .offset:         0
        .size:           40
        .value_kind:     by_value
    .group_segment_fixed_size: 0
    .kernarg_segment_align: 8
    .kernarg_segment_size: 40
    .language:       OpenCL C
    .language_version:
      - 2
      - 0
    .max_flat_workgroup_size: 128
    .name:           _ZN7rocprim17ROCPRIM_400000_NS6detail17trampoline_kernelINS0_14default_configENS1_38merge_sort_block_merge_config_selectorIjN6thrust23THRUST_200600_302600_NS5tupleIffNS6_9null_typeES8_S8_S8_S8_S8_S8_S8_EEEEZZNS1_27merge_sort_block_merge_implIS3_NS6_6detail15normal_iteratorINS6_10device_ptrIjEEEENSD_INSE_IS9_EEEEjNS1_19radix_merge_compareILb0ELb1EjNS0_19identity_decomposerEEEEE10hipError_tT0_T1_T2_jT3_P12ihipStream_tbPNSt15iterator_traitsISN_E10value_typeEPNST_ISO_E10value_typeEPSP_NS1_7vsmem_tEENKUlT_SN_SO_SP_E_clIPjSG_PS9_SI_EESM_S12_SN_SO_SP_EUlS12_E_NS1_11comp_targetILNS1_3genE9ELNS1_11target_archE1100ELNS1_3gpuE3ELNS1_3repE0EEENS1_48merge_mergepath_partition_config_static_selectorELNS0_4arch9wavefront6targetE1EEEvSO_
    .private_segment_fixed_size: 0
    .sgpr_count:     4
    .sgpr_spill_count: 0
    .symbol:         _ZN7rocprim17ROCPRIM_400000_NS6detail17trampoline_kernelINS0_14default_configENS1_38merge_sort_block_merge_config_selectorIjN6thrust23THRUST_200600_302600_NS5tupleIffNS6_9null_typeES8_S8_S8_S8_S8_S8_S8_EEEEZZNS1_27merge_sort_block_merge_implIS3_NS6_6detail15normal_iteratorINS6_10device_ptrIjEEEENSD_INSE_IS9_EEEEjNS1_19radix_merge_compareILb0ELb1EjNS0_19identity_decomposerEEEEE10hipError_tT0_T1_T2_jT3_P12ihipStream_tbPNSt15iterator_traitsISN_E10value_typeEPNST_ISO_E10value_typeEPSP_NS1_7vsmem_tEENKUlT_SN_SO_SP_E_clIPjSG_PS9_SI_EESM_S12_SN_SO_SP_EUlS12_E_NS1_11comp_targetILNS1_3genE9ELNS1_11target_archE1100ELNS1_3gpuE3ELNS1_3repE0EEENS1_48merge_mergepath_partition_config_static_selectorELNS0_4arch9wavefront6targetE1EEEvSO_.kd
    .uniform_work_group_size: 1
    .uses_dynamic_stack: false
    .vgpr_count:     0
    .vgpr_spill_count: 0
    .wavefront_size: 64
  - .agpr_count:     0
    .args:
      - .offset:         0
        .size:           40
        .value_kind:     by_value
    .group_segment_fixed_size: 0
    .kernarg_segment_align: 8
    .kernarg_segment_size: 40
    .language:       OpenCL C
    .language_version:
      - 2
      - 0
    .max_flat_workgroup_size: 128
    .name:           _ZN7rocprim17ROCPRIM_400000_NS6detail17trampoline_kernelINS0_14default_configENS1_38merge_sort_block_merge_config_selectorIjN6thrust23THRUST_200600_302600_NS5tupleIffNS6_9null_typeES8_S8_S8_S8_S8_S8_S8_EEEEZZNS1_27merge_sort_block_merge_implIS3_NS6_6detail15normal_iteratorINS6_10device_ptrIjEEEENSD_INSE_IS9_EEEEjNS1_19radix_merge_compareILb0ELb1EjNS0_19identity_decomposerEEEEE10hipError_tT0_T1_T2_jT3_P12ihipStream_tbPNSt15iterator_traitsISN_E10value_typeEPNST_ISO_E10value_typeEPSP_NS1_7vsmem_tEENKUlT_SN_SO_SP_E_clIPjSG_PS9_SI_EESM_S12_SN_SO_SP_EUlS12_E_NS1_11comp_targetILNS1_3genE8ELNS1_11target_archE1030ELNS1_3gpuE2ELNS1_3repE0EEENS1_48merge_mergepath_partition_config_static_selectorELNS0_4arch9wavefront6targetE1EEEvSO_
    .private_segment_fixed_size: 0
    .sgpr_count:     4
    .sgpr_spill_count: 0
    .symbol:         _ZN7rocprim17ROCPRIM_400000_NS6detail17trampoline_kernelINS0_14default_configENS1_38merge_sort_block_merge_config_selectorIjN6thrust23THRUST_200600_302600_NS5tupleIffNS6_9null_typeES8_S8_S8_S8_S8_S8_S8_EEEEZZNS1_27merge_sort_block_merge_implIS3_NS6_6detail15normal_iteratorINS6_10device_ptrIjEEEENSD_INSE_IS9_EEEEjNS1_19radix_merge_compareILb0ELb1EjNS0_19identity_decomposerEEEEE10hipError_tT0_T1_T2_jT3_P12ihipStream_tbPNSt15iterator_traitsISN_E10value_typeEPNST_ISO_E10value_typeEPSP_NS1_7vsmem_tEENKUlT_SN_SO_SP_E_clIPjSG_PS9_SI_EESM_S12_SN_SO_SP_EUlS12_E_NS1_11comp_targetILNS1_3genE8ELNS1_11target_archE1030ELNS1_3gpuE2ELNS1_3repE0EEENS1_48merge_mergepath_partition_config_static_selectorELNS0_4arch9wavefront6targetE1EEEvSO_.kd
    .uniform_work_group_size: 1
    .uses_dynamic_stack: false
    .vgpr_count:     0
    .vgpr_spill_count: 0
    .wavefront_size: 64
  - .agpr_count:     0
    .args:
      - .offset:         0
        .size:           64
        .value_kind:     by_value
    .group_segment_fixed_size: 0
    .kernarg_segment_align: 8
    .kernarg_segment_size: 64
    .language:       OpenCL C
    .language_version:
      - 2
      - 0
    .max_flat_workgroup_size: 512
    .name:           _ZN7rocprim17ROCPRIM_400000_NS6detail17trampoline_kernelINS0_14default_configENS1_38merge_sort_block_merge_config_selectorIjN6thrust23THRUST_200600_302600_NS5tupleIffNS6_9null_typeES8_S8_S8_S8_S8_S8_S8_EEEEZZNS1_27merge_sort_block_merge_implIS3_NS6_6detail15normal_iteratorINS6_10device_ptrIjEEEENSD_INSE_IS9_EEEEjNS1_19radix_merge_compareILb0ELb1EjNS0_19identity_decomposerEEEEE10hipError_tT0_T1_T2_jT3_P12ihipStream_tbPNSt15iterator_traitsISN_E10value_typeEPNST_ISO_E10value_typeEPSP_NS1_7vsmem_tEENKUlT_SN_SO_SP_E_clIPjSG_PS9_SI_EESM_S12_SN_SO_SP_EUlS12_E0_NS1_11comp_targetILNS1_3genE0ELNS1_11target_archE4294967295ELNS1_3gpuE0ELNS1_3repE0EEENS1_38merge_mergepath_config_static_selectorELNS0_4arch9wavefront6targetE1EEEvSO_
    .private_segment_fixed_size: 0
    .sgpr_count:     4
    .sgpr_spill_count: 0
    .symbol:         _ZN7rocprim17ROCPRIM_400000_NS6detail17trampoline_kernelINS0_14default_configENS1_38merge_sort_block_merge_config_selectorIjN6thrust23THRUST_200600_302600_NS5tupleIffNS6_9null_typeES8_S8_S8_S8_S8_S8_S8_EEEEZZNS1_27merge_sort_block_merge_implIS3_NS6_6detail15normal_iteratorINS6_10device_ptrIjEEEENSD_INSE_IS9_EEEEjNS1_19radix_merge_compareILb0ELb1EjNS0_19identity_decomposerEEEEE10hipError_tT0_T1_T2_jT3_P12ihipStream_tbPNSt15iterator_traitsISN_E10value_typeEPNST_ISO_E10value_typeEPSP_NS1_7vsmem_tEENKUlT_SN_SO_SP_E_clIPjSG_PS9_SI_EESM_S12_SN_SO_SP_EUlS12_E0_NS1_11comp_targetILNS1_3genE0ELNS1_11target_archE4294967295ELNS1_3gpuE0ELNS1_3repE0EEENS1_38merge_mergepath_config_static_selectorELNS0_4arch9wavefront6targetE1EEEvSO_.kd
    .uniform_work_group_size: 1
    .uses_dynamic_stack: false
    .vgpr_count:     0
    .vgpr_spill_count: 0
    .wavefront_size: 64
  - .agpr_count:     0
    .args:
      - .offset:         0
        .size:           64
        .value_kind:     by_value
    .group_segment_fixed_size: 0
    .kernarg_segment_align: 8
    .kernarg_segment_size: 64
    .language:       OpenCL C
    .language_version:
      - 2
      - 0
    .max_flat_workgroup_size: 512
    .name:           _ZN7rocprim17ROCPRIM_400000_NS6detail17trampoline_kernelINS0_14default_configENS1_38merge_sort_block_merge_config_selectorIjN6thrust23THRUST_200600_302600_NS5tupleIffNS6_9null_typeES8_S8_S8_S8_S8_S8_S8_EEEEZZNS1_27merge_sort_block_merge_implIS3_NS6_6detail15normal_iteratorINS6_10device_ptrIjEEEENSD_INSE_IS9_EEEEjNS1_19radix_merge_compareILb0ELb1EjNS0_19identity_decomposerEEEEE10hipError_tT0_T1_T2_jT3_P12ihipStream_tbPNSt15iterator_traitsISN_E10value_typeEPNST_ISO_E10value_typeEPSP_NS1_7vsmem_tEENKUlT_SN_SO_SP_E_clIPjSG_PS9_SI_EESM_S12_SN_SO_SP_EUlS12_E0_NS1_11comp_targetILNS1_3genE10ELNS1_11target_archE1201ELNS1_3gpuE5ELNS1_3repE0EEENS1_38merge_mergepath_config_static_selectorELNS0_4arch9wavefront6targetE1EEEvSO_
    .private_segment_fixed_size: 0
    .sgpr_count:     4
    .sgpr_spill_count: 0
    .symbol:         _ZN7rocprim17ROCPRIM_400000_NS6detail17trampoline_kernelINS0_14default_configENS1_38merge_sort_block_merge_config_selectorIjN6thrust23THRUST_200600_302600_NS5tupleIffNS6_9null_typeES8_S8_S8_S8_S8_S8_S8_EEEEZZNS1_27merge_sort_block_merge_implIS3_NS6_6detail15normal_iteratorINS6_10device_ptrIjEEEENSD_INSE_IS9_EEEEjNS1_19radix_merge_compareILb0ELb1EjNS0_19identity_decomposerEEEEE10hipError_tT0_T1_T2_jT3_P12ihipStream_tbPNSt15iterator_traitsISN_E10value_typeEPNST_ISO_E10value_typeEPSP_NS1_7vsmem_tEENKUlT_SN_SO_SP_E_clIPjSG_PS9_SI_EESM_S12_SN_SO_SP_EUlS12_E0_NS1_11comp_targetILNS1_3genE10ELNS1_11target_archE1201ELNS1_3gpuE5ELNS1_3repE0EEENS1_38merge_mergepath_config_static_selectorELNS0_4arch9wavefront6targetE1EEEvSO_.kd
    .uniform_work_group_size: 1
    .uses_dynamic_stack: false
    .vgpr_count:     0
    .vgpr_spill_count: 0
    .wavefront_size: 64
  - .agpr_count:     0
    .args:
      - .offset:         0
        .size:           64
        .value_kind:     by_value
    .group_segment_fixed_size: 0
    .kernarg_segment_align: 8
    .kernarg_segment_size: 64
    .language:       OpenCL C
    .language_version:
      - 2
      - 0
    .max_flat_workgroup_size: 256
    .name:           _ZN7rocprim17ROCPRIM_400000_NS6detail17trampoline_kernelINS0_14default_configENS1_38merge_sort_block_merge_config_selectorIjN6thrust23THRUST_200600_302600_NS5tupleIffNS6_9null_typeES8_S8_S8_S8_S8_S8_S8_EEEEZZNS1_27merge_sort_block_merge_implIS3_NS6_6detail15normal_iteratorINS6_10device_ptrIjEEEENSD_INSE_IS9_EEEEjNS1_19radix_merge_compareILb0ELb1EjNS0_19identity_decomposerEEEEE10hipError_tT0_T1_T2_jT3_P12ihipStream_tbPNSt15iterator_traitsISN_E10value_typeEPNST_ISO_E10value_typeEPSP_NS1_7vsmem_tEENKUlT_SN_SO_SP_E_clIPjSG_PS9_SI_EESM_S12_SN_SO_SP_EUlS12_E0_NS1_11comp_targetILNS1_3genE5ELNS1_11target_archE942ELNS1_3gpuE9ELNS1_3repE0EEENS1_38merge_mergepath_config_static_selectorELNS0_4arch9wavefront6targetE1EEEvSO_
    .private_segment_fixed_size: 0
    .sgpr_count:     4
    .sgpr_spill_count: 0
    .symbol:         _ZN7rocprim17ROCPRIM_400000_NS6detail17trampoline_kernelINS0_14default_configENS1_38merge_sort_block_merge_config_selectorIjN6thrust23THRUST_200600_302600_NS5tupleIffNS6_9null_typeES8_S8_S8_S8_S8_S8_S8_EEEEZZNS1_27merge_sort_block_merge_implIS3_NS6_6detail15normal_iteratorINS6_10device_ptrIjEEEENSD_INSE_IS9_EEEEjNS1_19radix_merge_compareILb0ELb1EjNS0_19identity_decomposerEEEEE10hipError_tT0_T1_T2_jT3_P12ihipStream_tbPNSt15iterator_traitsISN_E10value_typeEPNST_ISO_E10value_typeEPSP_NS1_7vsmem_tEENKUlT_SN_SO_SP_E_clIPjSG_PS9_SI_EESM_S12_SN_SO_SP_EUlS12_E0_NS1_11comp_targetILNS1_3genE5ELNS1_11target_archE942ELNS1_3gpuE9ELNS1_3repE0EEENS1_38merge_mergepath_config_static_selectorELNS0_4arch9wavefront6targetE1EEEvSO_.kd
    .uniform_work_group_size: 1
    .uses_dynamic_stack: false
    .vgpr_count:     0
    .vgpr_spill_count: 0
    .wavefront_size: 64
  - .agpr_count:     0
    .args:
      - .offset:         0
        .size:           64
        .value_kind:     by_value
      - .offset:         64
        .size:           4
        .value_kind:     hidden_block_count_x
      - .offset:         68
        .size:           4
        .value_kind:     hidden_block_count_y
      - .offset:         72
        .size:           4
        .value_kind:     hidden_block_count_z
      - .offset:         76
        .size:           2
        .value_kind:     hidden_group_size_x
      - .offset:         78
        .size:           2
        .value_kind:     hidden_group_size_y
      - .offset:         80
        .size:           2
        .value_kind:     hidden_group_size_z
      - .offset:         82
        .size:           2
        .value_kind:     hidden_remainder_x
      - .offset:         84
        .size:           2
        .value_kind:     hidden_remainder_y
      - .offset:         86
        .size:           2
        .value_kind:     hidden_remainder_z
      - .offset:         104
        .size:           8
        .value_kind:     hidden_global_offset_x
      - .offset:         112
        .size:           8
        .value_kind:     hidden_global_offset_y
      - .offset:         120
        .size:           8
        .value_kind:     hidden_global_offset_z
      - .offset:         128
        .size:           2
        .value_kind:     hidden_grid_dims
    .group_segment_fixed_size: 8448
    .kernarg_segment_align: 8
    .kernarg_segment_size: 320
    .language:       OpenCL C
    .language_version:
      - 2
      - 0
    .max_flat_workgroup_size: 256
    .name:           _ZN7rocprim17ROCPRIM_400000_NS6detail17trampoline_kernelINS0_14default_configENS1_38merge_sort_block_merge_config_selectorIjN6thrust23THRUST_200600_302600_NS5tupleIffNS6_9null_typeES8_S8_S8_S8_S8_S8_S8_EEEEZZNS1_27merge_sort_block_merge_implIS3_NS6_6detail15normal_iteratorINS6_10device_ptrIjEEEENSD_INSE_IS9_EEEEjNS1_19radix_merge_compareILb0ELb1EjNS0_19identity_decomposerEEEEE10hipError_tT0_T1_T2_jT3_P12ihipStream_tbPNSt15iterator_traitsISN_E10value_typeEPNST_ISO_E10value_typeEPSP_NS1_7vsmem_tEENKUlT_SN_SO_SP_E_clIPjSG_PS9_SI_EESM_S12_SN_SO_SP_EUlS12_E0_NS1_11comp_targetILNS1_3genE4ELNS1_11target_archE910ELNS1_3gpuE8ELNS1_3repE0EEENS1_38merge_mergepath_config_static_selectorELNS0_4arch9wavefront6targetE1EEEvSO_
    .private_segment_fixed_size: 0
    .sgpr_count:     36
    .sgpr_spill_count: 0
    .symbol:         _ZN7rocprim17ROCPRIM_400000_NS6detail17trampoline_kernelINS0_14default_configENS1_38merge_sort_block_merge_config_selectorIjN6thrust23THRUST_200600_302600_NS5tupleIffNS6_9null_typeES8_S8_S8_S8_S8_S8_S8_EEEEZZNS1_27merge_sort_block_merge_implIS3_NS6_6detail15normal_iteratorINS6_10device_ptrIjEEEENSD_INSE_IS9_EEEEjNS1_19radix_merge_compareILb0ELb1EjNS0_19identity_decomposerEEEEE10hipError_tT0_T1_T2_jT3_P12ihipStream_tbPNSt15iterator_traitsISN_E10value_typeEPNST_ISO_E10value_typeEPSP_NS1_7vsmem_tEENKUlT_SN_SO_SP_E_clIPjSG_PS9_SI_EESM_S12_SN_SO_SP_EUlS12_E0_NS1_11comp_targetILNS1_3genE4ELNS1_11target_archE910ELNS1_3gpuE8ELNS1_3repE0EEENS1_38merge_mergepath_config_static_selectorELNS0_4arch9wavefront6targetE1EEEvSO_.kd
    .uniform_work_group_size: 1
    .uses_dynamic_stack: false
    .vgpr_count:     35
    .vgpr_spill_count: 0
    .wavefront_size: 64
  - .agpr_count:     0
    .args:
      - .offset:         0
        .size:           64
        .value_kind:     by_value
    .group_segment_fixed_size: 0
    .kernarg_segment_align: 8
    .kernarg_segment_size: 64
    .language:       OpenCL C
    .language_version:
      - 2
      - 0
    .max_flat_workgroup_size: 512
    .name:           _ZN7rocprim17ROCPRIM_400000_NS6detail17trampoline_kernelINS0_14default_configENS1_38merge_sort_block_merge_config_selectorIjN6thrust23THRUST_200600_302600_NS5tupleIffNS6_9null_typeES8_S8_S8_S8_S8_S8_S8_EEEEZZNS1_27merge_sort_block_merge_implIS3_NS6_6detail15normal_iteratorINS6_10device_ptrIjEEEENSD_INSE_IS9_EEEEjNS1_19radix_merge_compareILb0ELb1EjNS0_19identity_decomposerEEEEE10hipError_tT0_T1_T2_jT3_P12ihipStream_tbPNSt15iterator_traitsISN_E10value_typeEPNST_ISO_E10value_typeEPSP_NS1_7vsmem_tEENKUlT_SN_SO_SP_E_clIPjSG_PS9_SI_EESM_S12_SN_SO_SP_EUlS12_E0_NS1_11comp_targetILNS1_3genE3ELNS1_11target_archE908ELNS1_3gpuE7ELNS1_3repE0EEENS1_38merge_mergepath_config_static_selectorELNS0_4arch9wavefront6targetE1EEEvSO_
    .private_segment_fixed_size: 0
    .sgpr_count:     4
    .sgpr_spill_count: 0
    .symbol:         _ZN7rocprim17ROCPRIM_400000_NS6detail17trampoline_kernelINS0_14default_configENS1_38merge_sort_block_merge_config_selectorIjN6thrust23THRUST_200600_302600_NS5tupleIffNS6_9null_typeES8_S8_S8_S8_S8_S8_S8_EEEEZZNS1_27merge_sort_block_merge_implIS3_NS6_6detail15normal_iteratorINS6_10device_ptrIjEEEENSD_INSE_IS9_EEEEjNS1_19radix_merge_compareILb0ELb1EjNS0_19identity_decomposerEEEEE10hipError_tT0_T1_T2_jT3_P12ihipStream_tbPNSt15iterator_traitsISN_E10value_typeEPNST_ISO_E10value_typeEPSP_NS1_7vsmem_tEENKUlT_SN_SO_SP_E_clIPjSG_PS9_SI_EESM_S12_SN_SO_SP_EUlS12_E0_NS1_11comp_targetILNS1_3genE3ELNS1_11target_archE908ELNS1_3gpuE7ELNS1_3repE0EEENS1_38merge_mergepath_config_static_selectorELNS0_4arch9wavefront6targetE1EEEvSO_.kd
    .uniform_work_group_size: 1
    .uses_dynamic_stack: false
    .vgpr_count:     0
    .vgpr_spill_count: 0
    .wavefront_size: 64
  - .agpr_count:     0
    .args:
      - .offset:         0
        .size:           64
        .value_kind:     by_value
    .group_segment_fixed_size: 0
    .kernarg_segment_align: 8
    .kernarg_segment_size: 64
    .language:       OpenCL C
    .language_version:
      - 2
      - 0
    .max_flat_workgroup_size: 256
    .name:           _ZN7rocprim17ROCPRIM_400000_NS6detail17trampoline_kernelINS0_14default_configENS1_38merge_sort_block_merge_config_selectorIjN6thrust23THRUST_200600_302600_NS5tupleIffNS6_9null_typeES8_S8_S8_S8_S8_S8_S8_EEEEZZNS1_27merge_sort_block_merge_implIS3_NS6_6detail15normal_iteratorINS6_10device_ptrIjEEEENSD_INSE_IS9_EEEEjNS1_19radix_merge_compareILb0ELb1EjNS0_19identity_decomposerEEEEE10hipError_tT0_T1_T2_jT3_P12ihipStream_tbPNSt15iterator_traitsISN_E10value_typeEPNST_ISO_E10value_typeEPSP_NS1_7vsmem_tEENKUlT_SN_SO_SP_E_clIPjSG_PS9_SI_EESM_S12_SN_SO_SP_EUlS12_E0_NS1_11comp_targetILNS1_3genE2ELNS1_11target_archE906ELNS1_3gpuE6ELNS1_3repE0EEENS1_38merge_mergepath_config_static_selectorELNS0_4arch9wavefront6targetE1EEEvSO_
    .private_segment_fixed_size: 0
    .sgpr_count:     4
    .sgpr_spill_count: 0
    .symbol:         _ZN7rocprim17ROCPRIM_400000_NS6detail17trampoline_kernelINS0_14default_configENS1_38merge_sort_block_merge_config_selectorIjN6thrust23THRUST_200600_302600_NS5tupleIffNS6_9null_typeES8_S8_S8_S8_S8_S8_S8_EEEEZZNS1_27merge_sort_block_merge_implIS3_NS6_6detail15normal_iteratorINS6_10device_ptrIjEEEENSD_INSE_IS9_EEEEjNS1_19radix_merge_compareILb0ELb1EjNS0_19identity_decomposerEEEEE10hipError_tT0_T1_T2_jT3_P12ihipStream_tbPNSt15iterator_traitsISN_E10value_typeEPNST_ISO_E10value_typeEPSP_NS1_7vsmem_tEENKUlT_SN_SO_SP_E_clIPjSG_PS9_SI_EESM_S12_SN_SO_SP_EUlS12_E0_NS1_11comp_targetILNS1_3genE2ELNS1_11target_archE906ELNS1_3gpuE6ELNS1_3repE0EEENS1_38merge_mergepath_config_static_selectorELNS0_4arch9wavefront6targetE1EEEvSO_.kd
    .uniform_work_group_size: 1
    .uses_dynamic_stack: false
    .vgpr_count:     0
    .vgpr_spill_count: 0
    .wavefront_size: 64
  - .agpr_count:     0
    .args:
      - .offset:         0
        .size:           64
        .value_kind:     by_value
    .group_segment_fixed_size: 0
    .kernarg_segment_align: 8
    .kernarg_segment_size: 64
    .language:       OpenCL C
    .language_version:
      - 2
      - 0
    .max_flat_workgroup_size: 512
    .name:           _ZN7rocprim17ROCPRIM_400000_NS6detail17trampoline_kernelINS0_14default_configENS1_38merge_sort_block_merge_config_selectorIjN6thrust23THRUST_200600_302600_NS5tupleIffNS6_9null_typeES8_S8_S8_S8_S8_S8_S8_EEEEZZNS1_27merge_sort_block_merge_implIS3_NS6_6detail15normal_iteratorINS6_10device_ptrIjEEEENSD_INSE_IS9_EEEEjNS1_19radix_merge_compareILb0ELb1EjNS0_19identity_decomposerEEEEE10hipError_tT0_T1_T2_jT3_P12ihipStream_tbPNSt15iterator_traitsISN_E10value_typeEPNST_ISO_E10value_typeEPSP_NS1_7vsmem_tEENKUlT_SN_SO_SP_E_clIPjSG_PS9_SI_EESM_S12_SN_SO_SP_EUlS12_E0_NS1_11comp_targetILNS1_3genE9ELNS1_11target_archE1100ELNS1_3gpuE3ELNS1_3repE0EEENS1_38merge_mergepath_config_static_selectorELNS0_4arch9wavefront6targetE1EEEvSO_
    .private_segment_fixed_size: 0
    .sgpr_count:     4
    .sgpr_spill_count: 0
    .symbol:         _ZN7rocprim17ROCPRIM_400000_NS6detail17trampoline_kernelINS0_14default_configENS1_38merge_sort_block_merge_config_selectorIjN6thrust23THRUST_200600_302600_NS5tupleIffNS6_9null_typeES8_S8_S8_S8_S8_S8_S8_EEEEZZNS1_27merge_sort_block_merge_implIS3_NS6_6detail15normal_iteratorINS6_10device_ptrIjEEEENSD_INSE_IS9_EEEEjNS1_19radix_merge_compareILb0ELb1EjNS0_19identity_decomposerEEEEE10hipError_tT0_T1_T2_jT3_P12ihipStream_tbPNSt15iterator_traitsISN_E10value_typeEPNST_ISO_E10value_typeEPSP_NS1_7vsmem_tEENKUlT_SN_SO_SP_E_clIPjSG_PS9_SI_EESM_S12_SN_SO_SP_EUlS12_E0_NS1_11comp_targetILNS1_3genE9ELNS1_11target_archE1100ELNS1_3gpuE3ELNS1_3repE0EEENS1_38merge_mergepath_config_static_selectorELNS0_4arch9wavefront6targetE1EEEvSO_.kd
    .uniform_work_group_size: 1
    .uses_dynamic_stack: false
    .vgpr_count:     0
    .vgpr_spill_count: 0
    .wavefront_size: 64
  - .agpr_count:     0
    .args:
      - .offset:         0
        .size:           64
        .value_kind:     by_value
    .group_segment_fixed_size: 0
    .kernarg_segment_align: 8
    .kernarg_segment_size: 64
    .language:       OpenCL C
    .language_version:
      - 2
      - 0
    .max_flat_workgroup_size: 1024
    .name:           _ZN7rocprim17ROCPRIM_400000_NS6detail17trampoline_kernelINS0_14default_configENS1_38merge_sort_block_merge_config_selectorIjN6thrust23THRUST_200600_302600_NS5tupleIffNS6_9null_typeES8_S8_S8_S8_S8_S8_S8_EEEEZZNS1_27merge_sort_block_merge_implIS3_NS6_6detail15normal_iteratorINS6_10device_ptrIjEEEENSD_INSE_IS9_EEEEjNS1_19radix_merge_compareILb0ELb1EjNS0_19identity_decomposerEEEEE10hipError_tT0_T1_T2_jT3_P12ihipStream_tbPNSt15iterator_traitsISN_E10value_typeEPNST_ISO_E10value_typeEPSP_NS1_7vsmem_tEENKUlT_SN_SO_SP_E_clIPjSG_PS9_SI_EESM_S12_SN_SO_SP_EUlS12_E0_NS1_11comp_targetILNS1_3genE8ELNS1_11target_archE1030ELNS1_3gpuE2ELNS1_3repE0EEENS1_38merge_mergepath_config_static_selectorELNS0_4arch9wavefront6targetE1EEEvSO_
    .private_segment_fixed_size: 0
    .sgpr_count:     4
    .sgpr_spill_count: 0
    .symbol:         _ZN7rocprim17ROCPRIM_400000_NS6detail17trampoline_kernelINS0_14default_configENS1_38merge_sort_block_merge_config_selectorIjN6thrust23THRUST_200600_302600_NS5tupleIffNS6_9null_typeES8_S8_S8_S8_S8_S8_S8_EEEEZZNS1_27merge_sort_block_merge_implIS3_NS6_6detail15normal_iteratorINS6_10device_ptrIjEEEENSD_INSE_IS9_EEEEjNS1_19radix_merge_compareILb0ELb1EjNS0_19identity_decomposerEEEEE10hipError_tT0_T1_T2_jT3_P12ihipStream_tbPNSt15iterator_traitsISN_E10value_typeEPNST_ISO_E10value_typeEPSP_NS1_7vsmem_tEENKUlT_SN_SO_SP_E_clIPjSG_PS9_SI_EESM_S12_SN_SO_SP_EUlS12_E0_NS1_11comp_targetILNS1_3genE8ELNS1_11target_archE1030ELNS1_3gpuE2ELNS1_3repE0EEENS1_38merge_mergepath_config_static_selectorELNS0_4arch9wavefront6targetE1EEEvSO_.kd
    .uniform_work_group_size: 1
    .uses_dynamic_stack: false
    .vgpr_count:     0
    .vgpr_spill_count: 0
    .wavefront_size: 64
  - .agpr_count:     0
    .args:
      - .offset:         0
        .size:           48
        .value_kind:     by_value
    .group_segment_fixed_size: 0
    .kernarg_segment_align: 8
    .kernarg_segment_size: 48
    .language:       OpenCL C
    .language_version:
      - 2
      - 0
    .max_flat_workgroup_size: 256
    .name:           _ZN7rocprim17ROCPRIM_400000_NS6detail17trampoline_kernelINS0_14default_configENS1_38merge_sort_block_merge_config_selectorIjN6thrust23THRUST_200600_302600_NS5tupleIffNS6_9null_typeES8_S8_S8_S8_S8_S8_S8_EEEEZZNS1_27merge_sort_block_merge_implIS3_NS6_6detail15normal_iteratorINS6_10device_ptrIjEEEENSD_INSE_IS9_EEEEjNS1_19radix_merge_compareILb0ELb1EjNS0_19identity_decomposerEEEEE10hipError_tT0_T1_T2_jT3_P12ihipStream_tbPNSt15iterator_traitsISN_E10value_typeEPNST_ISO_E10value_typeEPSP_NS1_7vsmem_tEENKUlT_SN_SO_SP_E_clIPjSG_PS9_SI_EESM_S12_SN_SO_SP_EUlS12_E1_NS1_11comp_targetILNS1_3genE0ELNS1_11target_archE4294967295ELNS1_3gpuE0ELNS1_3repE0EEENS1_36merge_oddeven_config_static_selectorELNS0_4arch9wavefront6targetE1EEEvSO_
    .private_segment_fixed_size: 0
    .sgpr_count:     4
    .sgpr_spill_count: 0
    .symbol:         _ZN7rocprim17ROCPRIM_400000_NS6detail17trampoline_kernelINS0_14default_configENS1_38merge_sort_block_merge_config_selectorIjN6thrust23THRUST_200600_302600_NS5tupleIffNS6_9null_typeES8_S8_S8_S8_S8_S8_S8_EEEEZZNS1_27merge_sort_block_merge_implIS3_NS6_6detail15normal_iteratorINS6_10device_ptrIjEEEENSD_INSE_IS9_EEEEjNS1_19radix_merge_compareILb0ELb1EjNS0_19identity_decomposerEEEEE10hipError_tT0_T1_T2_jT3_P12ihipStream_tbPNSt15iterator_traitsISN_E10value_typeEPNST_ISO_E10value_typeEPSP_NS1_7vsmem_tEENKUlT_SN_SO_SP_E_clIPjSG_PS9_SI_EESM_S12_SN_SO_SP_EUlS12_E1_NS1_11comp_targetILNS1_3genE0ELNS1_11target_archE4294967295ELNS1_3gpuE0ELNS1_3repE0EEENS1_36merge_oddeven_config_static_selectorELNS0_4arch9wavefront6targetE1EEEvSO_.kd
    .uniform_work_group_size: 1
    .uses_dynamic_stack: false
    .vgpr_count:     0
    .vgpr_spill_count: 0
    .wavefront_size: 64
  - .agpr_count:     0
    .args:
      - .offset:         0
        .size:           48
        .value_kind:     by_value
    .group_segment_fixed_size: 0
    .kernarg_segment_align: 8
    .kernarg_segment_size: 48
    .language:       OpenCL C
    .language_version:
      - 2
      - 0
    .max_flat_workgroup_size: 256
    .name:           _ZN7rocprim17ROCPRIM_400000_NS6detail17trampoline_kernelINS0_14default_configENS1_38merge_sort_block_merge_config_selectorIjN6thrust23THRUST_200600_302600_NS5tupleIffNS6_9null_typeES8_S8_S8_S8_S8_S8_S8_EEEEZZNS1_27merge_sort_block_merge_implIS3_NS6_6detail15normal_iteratorINS6_10device_ptrIjEEEENSD_INSE_IS9_EEEEjNS1_19radix_merge_compareILb0ELb1EjNS0_19identity_decomposerEEEEE10hipError_tT0_T1_T2_jT3_P12ihipStream_tbPNSt15iterator_traitsISN_E10value_typeEPNST_ISO_E10value_typeEPSP_NS1_7vsmem_tEENKUlT_SN_SO_SP_E_clIPjSG_PS9_SI_EESM_S12_SN_SO_SP_EUlS12_E1_NS1_11comp_targetILNS1_3genE10ELNS1_11target_archE1201ELNS1_3gpuE5ELNS1_3repE0EEENS1_36merge_oddeven_config_static_selectorELNS0_4arch9wavefront6targetE1EEEvSO_
    .private_segment_fixed_size: 0
    .sgpr_count:     4
    .sgpr_spill_count: 0
    .symbol:         _ZN7rocprim17ROCPRIM_400000_NS6detail17trampoline_kernelINS0_14default_configENS1_38merge_sort_block_merge_config_selectorIjN6thrust23THRUST_200600_302600_NS5tupleIffNS6_9null_typeES8_S8_S8_S8_S8_S8_S8_EEEEZZNS1_27merge_sort_block_merge_implIS3_NS6_6detail15normal_iteratorINS6_10device_ptrIjEEEENSD_INSE_IS9_EEEEjNS1_19radix_merge_compareILb0ELb1EjNS0_19identity_decomposerEEEEE10hipError_tT0_T1_T2_jT3_P12ihipStream_tbPNSt15iterator_traitsISN_E10value_typeEPNST_ISO_E10value_typeEPSP_NS1_7vsmem_tEENKUlT_SN_SO_SP_E_clIPjSG_PS9_SI_EESM_S12_SN_SO_SP_EUlS12_E1_NS1_11comp_targetILNS1_3genE10ELNS1_11target_archE1201ELNS1_3gpuE5ELNS1_3repE0EEENS1_36merge_oddeven_config_static_selectorELNS0_4arch9wavefront6targetE1EEEvSO_.kd
    .uniform_work_group_size: 1
    .uses_dynamic_stack: false
    .vgpr_count:     0
    .vgpr_spill_count: 0
    .wavefront_size: 64
  - .agpr_count:     0
    .args:
      - .offset:         0
        .size:           48
        .value_kind:     by_value
    .group_segment_fixed_size: 0
    .kernarg_segment_align: 8
    .kernarg_segment_size: 48
    .language:       OpenCL C
    .language_version:
      - 2
      - 0
    .max_flat_workgroup_size: 256
    .name:           _ZN7rocprim17ROCPRIM_400000_NS6detail17trampoline_kernelINS0_14default_configENS1_38merge_sort_block_merge_config_selectorIjN6thrust23THRUST_200600_302600_NS5tupleIffNS6_9null_typeES8_S8_S8_S8_S8_S8_S8_EEEEZZNS1_27merge_sort_block_merge_implIS3_NS6_6detail15normal_iteratorINS6_10device_ptrIjEEEENSD_INSE_IS9_EEEEjNS1_19radix_merge_compareILb0ELb1EjNS0_19identity_decomposerEEEEE10hipError_tT0_T1_T2_jT3_P12ihipStream_tbPNSt15iterator_traitsISN_E10value_typeEPNST_ISO_E10value_typeEPSP_NS1_7vsmem_tEENKUlT_SN_SO_SP_E_clIPjSG_PS9_SI_EESM_S12_SN_SO_SP_EUlS12_E1_NS1_11comp_targetILNS1_3genE5ELNS1_11target_archE942ELNS1_3gpuE9ELNS1_3repE0EEENS1_36merge_oddeven_config_static_selectorELNS0_4arch9wavefront6targetE1EEEvSO_
    .private_segment_fixed_size: 0
    .sgpr_count:     4
    .sgpr_spill_count: 0
    .symbol:         _ZN7rocprim17ROCPRIM_400000_NS6detail17trampoline_kernelINS0_14default_configENS1_38merge_sort_block_merge_config_selectorIjN6thrust23THRUST_200600_302600_NS5tupleIffNS6_9null_typeES8_S8_S8_S8_S8_S8_S8_EEEEZZNS1_27merge_sort_block_merge_implIS3_NS6_6detail15normal_iteratorINS6_10device_ptrIjEEEENSD_INSE_IS9_EEEEjNS1_19radix_merge_compareILb0ELb1EjNS0_19identity_decomposerEEEEE10hipError_tT0_T1_T2_jT3_P12ihipStream_tbPNSt15iterator_traitsISN_E10value_typeEPNST_ISO_E10value_typeEPSP_NS1_7vsmem_tEENKUlT_SN_SO_SP_E_clIPjSG_PS9_SI_EESM_S12_SN_SO_SP_EUlS12_E1_NS1_11comp_targetILNS1_3genE5ELNS1_11target_archE942ELNS1_3gpuE9ELNS1_3repE0EEENS1_36merge_oddeven_config_static_selectorELNS0_4arch9wavefront6targetE1EEEvSO_.kd
    .uniform_work_group_size: 1
    .uses_dynamic_stack: false
    .vgpr_count:     0
    .vgpr_spill_count: 0
    .wavefront_size: 64
  - .agpr_count:     0
    .args:
      - .offset:         0
        .size:           48
        .value_kind:     by_value
    .group_segment_fixed_size: 0
    .kernarg_segment_align: 8
    .kernarg_segment_size: 48
    .language:       OpenCL C
    .language_version:
      - 2
      - 0
    .max_flat_workgroup_size: 256
    .name:           _ZN7rocprim17ROCPRIM_400000_NS6detail17trampoline_kernelINS0_14default_configENS1_38merge_sort_block_merge_config_selectorIjN6thrust23THRUST_200600_302600_NS5tupleIffNS6_9null_typeES8_S8_S8_S8_S8_S8_S8_EEEEZZNS1_27merge_sort_block_merge_implIS3_NS6_6detail15normal_iteratorINS6_10device_ptrIjEEEENSD_INSE_IS9_EEEEjNS1_19radix_merge_compareILb0ELb1EjNS0_19identity_decomposerEEEEE10hipError_tT0_T1_T2_jT3_P12ihipStream_tbPNSt15iterator_traitsISN_E10value_typeEPNST_ISO_E10value_typeEPSP_NS1_7vsmem_tEENKUlT_SN_SO_SP_E_clIPjSG_PS9_SI_EESM_S12_SN_SO_SP_EUlS12_E1_NS1_11comp_targetILNS1_3genE4ELNS1_11target_archE910ELNS1_3gpuE8ELNS1_3repE0EEENS1_36merge_oddeven_config_static_selectorELNS0_4arch9wavefront6targetE1EEEvSO_
    .private_segment_fixed_size: 0
    .sgpr_count:     28
    .sgpr_spill_count: 0
    .symbol:         _ZN7rocprim17ROCPRIM_400000_NS6detail17trampoline_kernelINS0_14default_configENS1_38merge_sort_block_merge_config_selectorIjN6thrust23THRUST_200600_302600_NS5tupleIffNS6_9null_typeES8_S8_S8_S8_S8_S8_S8_EEEEZZNS1_27merge_sort_block_merge_implIS3_NS6_6detail15normal_iteratorINS6_10device_ptrIjEEEENSD_INSE_IS9_EEEEjNS1_19radix_merge_compareILb0ELb1EjNS0_19identity_decomposerEEEEE10hipError_tT0_T1_T2_jT3_P12ihipStream_tbPNSt15iterator_traitsISN_E10value_typeEPNST_ISO_E10value_typeEPSP_NS1_7vsmem_tEENKUlT_SN_SO_SP_E_clIPjSG_PS9_SI_EESM_S12_SN_SO_SP_EUlS12_E1_NS1_11comp_targetILNS1_3genE4ELNS1_11target_archE910ELNS1_3gpuE8ELNS1_3repE0EEENS1_36merge_oddeven_config_static_selectorELNS0_4arch9wavefront6targetE1EEEvSO_.kd
    .uniform_work_group_size: 1
    .uses_dynamic_stack: false
    .vgpr_count:     13
    .vgpr_spill_count: 0
    .wavefront_size: 64
  - .agpr_count:     0
    .args:
      - .offset:         0
        .size:           48
        .value_kind:     by_value
    .group_segment_fixed_size: 0
    .kernarg_segment_align: 8
    .kernarg_segment_size: 48
    .language:       OpenCL C
    .language_version:
      - 2
      - 0
    .max_flat_workgroup_size: 256
    .name:           _ZN7rocprim17ROCPRIM_400000_NS6detail17trampoline_kernelINS0_14default_configENS1_38merge_sort_block_merge_config_selectorIjN6thrust23THRUST_200600_302600_NS5tupleIffNS6_9null_typeES8_S8_S8_S8_S8_S8_S8_EEEEZZNS1_27merge_sort_block_merge_implIS3_NS6_6detail15normal_iteratorINS6_10device_ptrIjEEEENSD_INSE_IS9_EEEEjNS1_19radix_merge_compareILb0ELb1EjNS0_19identity_decomposerEEEEE10hipError_tT0_T1_T2_jT3_P12ihipStream_tbPNSt15iterator_traitsISN_E10value_typeEPNST_ISO_E10value_typeEPSP_NS1_7vsmem_tEENKUlT_SN_SO_SP_E_clIPjSG_PS9_SI_EESM_S12_SN_SO_SP_EUlS12_E1_NS1_11comp_targetILNS1_3genE3ELNS1_11target_archE908ELNS1_3gpuE7ELNS1_3repE0EEENS1_36merge_oddeven_config_static_selectorELNS0_4arch9wavefront6targetE1EEEvSO_
    .private_segment_fixed_size: 0
    .sgpr_count:     4
    .sgpr_spill_count: 0
    .symbol:         _ZN7rocprim17ROCPRIM_400000_NS6detail17trampoline_kernelINS0_14default_configENS1_38merge_sort_block_merge_config_selectorIjN6thrust23THRUST_200600_302600_NS5tupleIffNS6_9null_typeES8_S8_S8_S8_S8_S8_S8_EEEEZZNS1_27merge_sort_block_merge_implIS3_NS6_6detail15normal_iteratorINS6_10device_ptrIjEEEENSD_INSE_IS9_EEEEjNS1_19radix_merge_compareILb0ELb1EjNS0_19identity_decomposerEEEEE10hipError_tT0_T1_T2_jT3_P12ihipStream_tbPNSt15iterator_traitsISN_E10value_typeEPNST_ISO_E10value_typeEPSP_NS1_7vsmem_tEENKUlT_SN_SO_SP_E_clIPjSG_PS9_SI_EESM_S12_SN_SO_SP_EUlS12_E1_NS1_11comp_targetILNS1_3genE3ELNS1_11target_archE908ELNS1_3gpuE7ELNS1_3repE0EEENS1_36merge_oddeven_config_static_selectorELNS0_4arch9wavefront6targetE1EEEvSO_.kd
    .uniform_work_group_size: 1
    .uses_dynamic_stack: false
    .vgpr_count:     0
    .vgpr_spill_count: 0
    .wavefront_size: 64
  - .agpr_count:     0
    .args:
      - .offset:         0
        .size:           48
        .value_kind:     by_value
    .group_segment_fixed_size: 0
    .kernarg_segment_align: 8
    .kernarg_segment_size: 48
    .language:       OpenCL C
    .language_version:
      - 2
      - 0
    .max_flat_workgroup_size: 256
    .name:           _ZN7rocprim17ROCPRIM_400000_NS6detail17trampoline_kernelINS0_14default_configENS1_38merge_sort_block_merge_config_selectorIjN6thrust23THRUST_200600_302600_NS5tupleIffNS6_9null_typeES8_S8_S8_S8_S8_S8_S8_EEEEZZNS1_27merge_sort_block_merge_implIS3_NS6_6detail15normal_iteratorINS6_10device_ptrIjEEEENSD_INSE_IS9_EEEEjNS1_19radix_merge_compareILb0ELb1EjNS0_19identity_decomposerEEEEE10hipError_tT0_T1_T2_jT3_P12ihipStream_tbPNSt15iterator_traitsISN_E10value_typeEPNST_ISO_E10value_typeEPSP_NS1_7vsmem_tEENKUlT_SN_SO_SP_E_clIPjSG_PS9_SI_EESM_S12_SN_SO_SP_EUlS12_E1_NS1_11comp_targetILNS1_3genE2ELNS1_11target_archE906ELNS1_3gpuE6ELNS1_3repE0EEENS1_36merge_oddeven_config_static_selectorELNS0_4arch9wavefront6targetE1EEEvSO_
    .private_segment_fixed_size: 0
    .sgpr_count:     4
    .sgpr_spill_count: 0
    .symbol:         _ZN7rocprim17ROCPRIM_400000_NS6detail17trampoline_kernelINS0_14default_configENS1_38merge_sort_block_merge_config_selectorIjN6thrust23THRUST_200600_302600_NS5tupleIffNS6_9null_typeES8_S8_S8_S8_S8_S8_S8_EEEEZZNS1_27merge_sort_block_merge_implIS3_NS6_6detail15normal_iteratorINS6_10device_ptrIjEEEENSD_INSE_IS9_EEEEjNS1_19radix_merge_compareILb0ELb1EjNS0_19identity_decomposerEEEEE10hipError_tT0_T1_T2_jT3_P12ihipStream_tbPNSt15iterator_traitsISN_E10value_typeEPNST_ISO_E10value_typeEPSP_NS1_7vsmem_tEENKUlT_SN_SO_SP_E_clIPjSG_PS9_SI_EESM_S12_SN_SO_SP_EUlS12_E1_NS1_11comp_targetILNS1_3genE2ELNS1_11target_archE906ELNS1_3gpuE6ELNS1_3repE0EEENS1_36merge_oddeven_config_static_selectorELNS0_4arch9wavefront6targetE1EEEvSO_.kd
    .uniform_work_group_size: 1
    .uses_dynamic_stack: false
    .vgpr_count:     0
    .vgpr_spill_count: 0
    .wavefront_size: 64
  - .agpr_count:     0
    .args:
      - .offset:         0
        .size:           48
        .value_kind:     by_value
    .group_segment_fixed_size: 0
    .kernarg_segment_align: 8
    .kernarg_segment_size: 48
    .language:       OpenCL C
    .language_version:
      - 2
      - 0
    .max_flat_workgroup_size: 256
    .name:           _ZN7rocprim17ROCPRIM_400000_NS6detail17trampoline_kernelINS0_14default_configENS1_38merge_sort_block_merge_config_selectorIjN6thrust23THRUST_200600_302600_NS5tupleIffNS6_9null_typeES8_S8_S8_S8_S8_S8_S8_EEEEZZNS1_27merge_sort_block_merge_implIS3_NS6_6detail15normal_iteratorINS6_10device_ptrIjEEEENSD_INSE_IS9_EEEEjNS1_19radix_merge_compareILb0ELb1EjNS0_19identity_decomposerEEEEE10hipError_tT0_T1_T2_jT3_P12ihipStream_tbPNSt15iterator_traitsISN_E10value_typeEPNST_ISO_E10value_typeEPSP_NS1_7vsmem_tEENKUlT_SN_SO_SP_E_clIPjSG_PS9_SI_EESM_S12_SN_SO_SP_EUlS12_E1_NS1_11comp_targetILNS1_3genE9ELNS1_11target_archE1100ELNS1_3gpuE3ELNS1_3repE0EEENS1_36merge_oddeven_config_static_selectorELNS0_4arch9wavefront6targetE1EEEvSO_
    .private_segment_fixed_size: 0
    .sgpr_count:     4
    .sgpr_spill_count: 0
    .symbol:         _ZN7rocprim17ROCPRIM_400000_NS6detail17trampoline_kernelINS0_14default_configENS1_38merge_sort_block_merge_config_selectorIjN6thrust23THRUST_200600_302600_NS5tupleIffNS6_9null_typeES8_S8_S8_S8_S8_S8_S8_EEEEZZNS1_27merge_sort_block_merge_implIS3_NS6_6detail15normal_iteratorINS6_10device_ptrIjEEEENSD_INSE_IS9_EEEEjNS1_19radix_merge_compareILb0ELb1EjNS0_19identity_decomposerEEEEE10hipError_tT0_T1_T2_jT3_P12ihipStream_tbPNSt15iterator_traitsISN_E10value_typeEPNST_ISO_E10value_typeEPSP_NS1_7vsmem_tEENKUlT_SN_SO_SP_E_clIPjSG_PS9_SI_EESM_S12_SN_SO_SP_EUlS12_E1_NS1_11comp_targetILNS1_3genE9ELNS1_11target_archE1100ELNS1_3gpuE3ELNS1_3repE0EEENS1_36merge_oddeven_config_static_selectorELNS0_4arch9wavefront6targetE1EEEvSO_.kd
    .uniform_work_group_size: 1
    .uses_dynamic_stack: false
    .vgpr_count:     0
    .vgpr_spill_count: 0
    .wavefront_size: 64
  - .agpr_count:     0
    .args:
      - .offset:         0
        .size:           48
        .value_kind:     by_value
    .group_segment_fixed_size: 0
    .kernarg_segment_align: 8
    .kernarg_segment_size: 48
    .language:       OpenCL C
    .language_version:
      - 2
      - 0
    .max_flat_workgroup_size: 256
    .name:           _ZN7rocprim17ROCPRIM_400000_NS6detail17trampoline_kernelINS0_14default_configENS1_38merge_sort_block_merge_config_selectorIjN6thrust23THRUST_200600_302600_NS5tupleIffNS6_9null_typeES8_S8_S8_S8_S8_S8_S8_EEEEZZNS1_27merge_sort_block_merge_implIS3_NS6_6detail15normal_iteratorINS6_10device_ptrIjEEEENSD_INSE_IS9_EEEEjNS1_19radix_merge_compareILb0ELb1EjNS0_19identity_decomposerEEEEE10hipError_tT0_T1_T2_jT3_P12ihipStream_tbPNSt15iterator_traitsISN_E10value_typeEPNST_ISO_E10value_typeEPSP_NS1_7vsmem_tEENKUlT_SN_SO_SP_E_clIPjSG_PS9_SI_EESM_S12_SN_SO_SP_EUlS12_E1_NS1_11comp_targetILNS1_3genE8ELNS1_11target_archE1030ELNS1_3gpuE2ELNS1_3repE0EEENS1_36merge_oddeven_config_static_selectorELNS0_4arch9wavefront6targetE1EEEvSO_
    .private_segment_fixed_size: 0
    .sgpr_count:     4
    .sgpr_spill_count: 0
    .symbol:         _ZN7rocprim17ROCPRIM_400000_NS6detail17trampoline_kernelINS0_14default_configENS1_38merge_sort_block_merge_config_selectorIjN6thrust23THRUST_200600_302600_NS5tupleIffNS6_9null_typeES8_S8_S8_S8_S8_S8_S8_EEEEZZNS1_27merge_sort_block_merge_implIS3_NS6_6detail15normal_iteratorINS6_10device_ptrIjEEEENSD_INSE_IS9_EEEEjNS1_19radix_merge_compareILb0ELb1EjNS0_19identity_decomposerEEEEE10hipError_tT0_T1_T2_jT3_P12ihipStream_tbPNSt15iterator_traitsISN_E10value_typeEPNST_ISO_E10value_typeEPSP_NS1_7vsmem_tEENKUlT_SN_SO_SP_E_clIPjSG_PS9_SI_EESM_S12_SN_SO_SP_EUlS12_E1_NS1_11comp_targetILNS1_3genE8ELNS1_11target_archE1030ELNS1_3gpuE2ELNS1_3repE0EEENS1_36merge_oddeven_config_static_selectorELNS0_4arch9wavefront6targetE1EEEvSO_.kd
    .uniform_work_group_size: 1
    .uses_dynamic_stack: false
    .vgpr_count:     0
    .vgpr_spill_count: 0
    .wavefront_size: 64
  - .agpr_count:     0
    .args:
      - .offset:         0
        .size:           40
        .value_kind:     by_value
    .group_segment_fixed_size: 0
    .kernarg_segment_align: 8
    .kernarg_segment_size: 40
    .language:       OpenCL C
    .language_version:
      - 2
      - 0
    .max_flat_workgroup_size: 128
    .name:           _ZN7rocprim17ROCPRIM_400000_NS6detail17trampoline_kernelINS0_14default_configENS1_38merge_sort_block_merge_config_selectorIjN6thrust23THRUST_200600_302600_NS5tupleIffNS6_9null_typeES8_S8_S8_S8_S8_S8_S8_EEEEZZNS1_27merge_sort_block_merge_implIS3_NS6_6detail15normal_iteratorINS6_10device_ptrIjEEEENSD_INSE_IS9_EEEEjNS1_19radix_merge_compareILb0ELb1EjNS0_19identity_decomposerEEEEE10hipError_tT0_T1_T2_jT3_P12ihipStream_tbPNSt15iterator_traitsISN_E10value_typeEPNST_ISO_E10value_typeEPSP_NS1_7vsmem_tEENKUlT_SN_SO_SP_E_clISG_PjSI_PS9_EESM_S12_SN_SO_SP_EUlS12_E_NS1_11comp_targetILNS1_3genE0ELNS1_11target_archE4294967295ELNS1_3gpuE0ELNS1_3repE0EEENS1_48merge_mergepath_partition_config_static_selectorELNS0_4arch9wavefront6targetE1EEEvSO_
    .private_segment_fixed_size: 0
    .sgpr_count:     4
    .sgpr_spill_count: 0
    .symbol:         _ZN7rocprim17ROCPRIM_400000_NS6detail17trampoline_kernelINS0_14default_configENS1_38merge_sort_block_merge_config_selectorIjN6thrust23THRUST_200600_302600_NS5tupleIffNS6_9null_typeES8_S8_S8_S8_S8_S8_S8_EEEEZZNS1_27merge_sort_block_merge_implIS3_NS6_6detail15normal_iteratorINS6_10device_ptrIjEEEENSD_INSE_IS9_EEEEjNS1_19radix_merge_compareILb0ELb1EjNS0_19identity_decomposerEEEEE10hipError_tT0_T1_T2_jT3_P12ihipStream_tbPNSt15iterator_traitsISN_E10value_typeEPNST_ISO_E10value_typeEPSP_NS1_7vsmem_tEENKUlT_SN_SO_SP_E_clISG_PjSI_PS9_EESM_S12_SN_SO_SP_EUlS12_E_NS1_11comp_targetILNS1_3genE0ELNS1_11target_archE4294967295ELNS1_3gpuE0ELNS1_3repE0EEENS1_48merge_mergepath_partition_config_static_selectorELNS0_4arch9wavefront6targetE1EEEvSO_.kd
    .uniform_work_group_size: 1
    .uses_dynamic_stack: false
    .vgpr_count:     0
    .vgpr_spill_count: 0
    .wavefront_size: 64
  - .agpr_count:     0
    .args:
      - .offset:         0
        .size:           40
        .value_kind:     by_value
    .group_segment_fixed_size: 0
    .kernarg_segment_align: 8
    .kernarg_segment_size: 40
    .language:       OpenCL C
    .language_version:
      - 2
      - 0
    .max_flat_workgroup_size: 128
    .name:           _ZN7rocprim17ROCPRIM_400000_NS6detail17trampoline_kernelINS0_14default_configENS1_38merge_sort_block_merge_config_selectorIjN6thrust23THRUST_200600_302600_NS5tupleIffNS6_9null_typeES8_S8_S8_S8_S8_S8_S8_EEEEZZNS1_27merge_sort_block_merge_implIS3_NS6_6detail15normal_iteratorINS6_10device_ptrIjEEEENSD_INSE_IS9_EEEEjNS1_19radix_merge_compareILb0ELb1EjNS0_19identity_decomposerEEEEE10hipError_tT0_T1_T2_jT3_P12ihipStream_tbPNSt15iterator_traitsISN_E10value_typeEPNST_ISO_E10value_typeEPSP_NS1_7vsmem_tEENKUlT_SN_SO_SP_E_clISG_PjSI_PS9_EESM_S12_SN_SO_SP_EUlS12_E_NS1_11comp_targetILNS1_3genE10ELNS1_11target_archE1201ELNS1_3gpuE5ELNS1_3repE0EEENS1_48merge_mergepath_partition_config_static_selectorELNS0_4arch9wavefront6targetE1EEEvSO_
    .private_segment_fixed_size: 0
    .sgpr_count:     4
    .sgpr_spill_count: 0
    .symbol:         _ZN7rocprim17ROCPRIM_400000_NS6detail17trampoline_kernelINS0_14default_configENS1_38merge_sort_block_merge_config_selectorIjN6thrust23THRUST_200600_302600_NS5tupleIffNS6_9null_typeES8_S8_S8_S8_S8_S8_S8_EEEEZZNS1_27merge_sort_block_merge_implIS3_NS6_6detail15normal_iteratorINS6_10device_ptrIjEEEENSD_INSE_IS9_EEEEjNS1_19radix_merge_compareILb0ELb1EjNS0_19identity_decomposerEEEEE10hipError_tT0_T1_T2_jT3_P12ihipStream_tbPNSt15iterator_traitsISN_E10value_typeEPNST_ISO_E10value_typeEPSP_NS1_7vsmem_tEENKUlT_SN_SO_SP_E_clISG_PjSI_PS9_EESM_S12_SN_SO_SP_EUlS12_E_NS1_11comp_targetILNS1_3genE10ELNS1_11target_archE1201ELNS1_3gpuE5ELNS1_3repE0EEENS1_48merge_mergepath_partition_config_static_selectorELNS0_4arch9wavefront6targetE1EEEvSO_.kd
    .uniform_work_group_size: 1
    .uses_dynamic_stack: false
    .vgpr_count:     0
    .vgpr_spill_count: 0
    .wavefront_size: 64
  - .agpr_count:     0
    .args:
      - .offset:         0
        .size:           40
        .value_kind:     by_value
    .group_segment_fixed_size: 0
    .kernarg_segment_align: 8
    .kernarg_segment_size: 40
    .language:       OpenCL C
    .language_version:
      - 2
      - 0
    .max_flat_workgroup_size: 128
    .name:           _ZN7rocprim17ROCPRIM_400000_NS6detail17trampoline_kernelINS0_14default_configENS1_38merge_sort_block_merge_config_selectorIjN6thrust23THRUST_200600_302600_NS5tupleIffNS6_9null_typeES8_S8_S8_S8_S8_S8_S8_EEEEZZNS1_27merge_sort_block_merge_implIS3_NS6_6detail15normal_iteratorINS6_10device_ptrIjEEEENSD_INSE_IS9_EEEEjNS1_19radix_merge_compareILb0ELb1EjNS0_19identity_decomposerEEEEE10hipError_tT0_T1_T2_jT3_P12ihipStream_tbPNSt15iterator_traitsISN_E10value_typeEPNST_ISO_E10value_typeEPSP_NS1_7vsmem_tEENKUlT_SN_SO_SP_E_clISG_PjSI_PS9_EESM_S12_SN_SO_SP_EUlS12_E_NS1_11comp_targetILNS1_3genE5ELNS1_11target_archE942ELNS1_3gpuE9ELNS1_3repE0EEENS1_48merge_mergepath_partition_config_static_selectorELNS0_4arch9wavefront6targetE1EEEvSO_
    .private_segment_fixed_size: 0
    .sgpr_count:     4
    .sgpr_spill_count: 0
    .symbol:         _ZN7rocprim17ROCPRIM_400000_NS6detail17trampoline_kernelINS0_14default_configENS1_38merge_sort_block_merge_config_selectorIjN6thrust23THRUST_200600_302600_NS5tupleIffNS6_9null_typeES8_S8_S8_S8_S8_S8_S8_EEEEZZNS1_27merge_sort_block_merge_implIS3_NS6_6detail15normal_iteratorINS6_10device_ptrIjEEEENSD_INSE_IS9_EEEEjNS1_19radix_merge_compareILb0ELb1EjNS0_19identity_decomposerEEEEE10hipError_tT0_T1_T2_jT3_P12ihipStream_tbPNSt15iterator_traitsISN_E10value_typeEPNST_ISO_E10value_typeEPSP_NS1_7vsmem_tEENKUlT_SN_SO_SP_E_clISG_PjSI_PS9_EESM_S12_SN_SO_SP_EUlS12_E_NS1_11comp_targetILNS1_3genE5ELNS1_11target_archE942ELNS1_3gpuE9ELNS1_3repE0EEENS1_48merge_mergepath_partition_config_static_selectorELNS0_4arch9wavefront6targetE1EEEvSO_.kd
    .uniform_work_group_size: 1
    .uses_dynamic_stack: false
    .vgpr_count:     0
    .vgpr_spill_count: 0
    .wavefront_size: 64
  - .agpr_count:     0
    .args:
      - .offset:         0
        .size:           40
        .value_kind:     by_value
    .group_segment_fixed_size: 0
    .kernarg_segment_align: 8
    .kernarg_segment_size: 40
    .language:       OpenCL C
    .language_version:
      - 2
      - 0
    .max_flat_workgroup_size: 128
    .name:           _ZN7rocprim17ROCPRIM_400000_NS6detail17trampoline_kernelINS0_14default_configENS1_38merge_sort_block_merge_config_selectorIjN6thrust23THRUST_200600_302600_NS5tupleIffNS6_9null_typeES8_S8_S8_S8_S8_S8_S8_EEEEZZNS1_27merge_sort_block_merge_implIS3_NS6_6detail15normal_iteratorINS6_10device_ptrIjEEEENSD_INSE_IS9_EEEEjNS1_19radix_merge_compareILb0ELb1EjNS0_19identity_decomposerEEEEE10hipError_tT0_T1_T2_jT3_P12ihipStream_tbPNSt15iterator_traitsISN_E10value_typeEPNST_ISO_E10value_typeEPSP_NS1_7vsmem_tEENKUlT_SN_SO_SP_E_clISG_PjSI_PS9_EESM_S12_SN_SO_SP_EUlS12_E_NS1_11comp_targetILNS1_3genE4ELNS1_11target_archE910ELNS1_3gpuE8ELNS1_3repE0EEENS1_48merge_mergepath_partition_config_static_selectorELNS0_4arch9wavefront6targetE1EEEvSO_
    .private_segment_fixed_size: 0
    .sgpr_count:     14
    .sgpr_spill_count: 0
    .symbol:         _ZN7rocprim17ROCPRIM_400000_NS6detail17trampoline_kernelINS0_14default_configENS1_38merge_sort_block_merge_config_selectorIjN6thrust23THRUST_200600_302600_NS5tupleIffNS6_9null_typeES8_S8_S8_S8_S8_S8_S8_EEEEZZNS1_27merge_sort_block_merge_implIS3_NS6_6detail15normal_iteratorINS6_10device_ptrIjEEEENSD_INSE_IS9_EEEEjNS1_19radix_merge_compareILb0ELb1EjNS0_19identity_decomposerEEEEE10hipError_tT0_T1_T2_jT3_P12ihipStream_tbPNSt15iterator_traitsISN_E10value_typeEPNST_ISO_E10value_typeEPSP_NS1_7vsmem_tEENKUlT_SN_SO_SP_E_clISG_PjSI_PS9_EESM_S12_SN_SO_SP_EUlS12_E_NS1_11comp_targetILNS1_3genE4ELNS1_11target_archE910ELNS1_3gpuE8ELNS1_3repE0EEENS1_48merge_mergepath_partition_config_static_selectorELNS0_4arch9wavefront6targetE1EEEvSO_.kd
    .uniform_work_group_size: 1
    .uses_dynamic_stack: false
    .vgpr_count:     17
    .vgpr_spill_count: 0
    .wavefront_size: 64
  - .agpr_count:     0
    .args:
      - .offset:         0
        .size:           40
        .value_kind:     by_value
    .group_segment_fixed_size: 0
    .kernarg_segment_align: 8
    .kernarg_segment_size: 40
    .language:       OpenCL C
    .language_version:
      - 2
      - 0
    .max_flat_workgroup_size: 128
    .name:           _ZN7rocprim17ROCPRIM_400000_NS6detail17trampoline_kernelINS0_14default_configENS1_38merge_sort_block_merge_config_selectorIjN6thrust23THRUST_200600_302600_NS5tupleIffNS6_9null_typeES8_S8_S8_S8_S8_S8_S8_EEEEZZNS1_27merge_sort_block_merge_implIS3_NS6_6detail15normal_iteratorINS6_10device_ptrIjEEEENSD_INSE_IS9_EEEEjNS1_19radix_merge_compareILb0ELb1EjNS0_19identity_decomposerEEEEE10hipError_tT0_T1_T2_jT3_P12ihipStream_tbPNSt15iterator_traitsISN_E10value_typeEPNST_ISO_E10value_typeEPSP_NS1_7vsmem_tEENKUlT_SN_SO_SP_E_clISG_PjSI_PS9_EESM_S12_SN_SO_SP_EUlS12_E_NS1_11comp_targetILNS1_3genE3ELNS1_11target_archE908ELNS1_3gpuE7ELNS1_3repE0EEENS1_48merge_mergepath_partition_config_static_selectorELNS0_4arch9wavefront6targetE1EEEvSO_
    .private_segment_fixed_size: 0
    .sgpr_count:     4
    .sgpr_spill_count: 0
    .symbol:         _ZN7rocprim17ROCPRIM_400000_NS6detail17trampoline_kernelINS0_14default_configENS1_38merge_sort_block_merge_config_selectorIjN6thrust23THRUST_200600_302600_NS5tupleIffNS6_9null_typeES8_S8_S8_S8_S8_S8_S8_EEEEZZNS1_27merge_sort_block_merge_implIS3_NS6_6detail15normal_iteratorINS6_10device_ptrIjEEEENSD_INSE_IS9_EEEEjNS1_19radix_merge_compareILb0ELb1EjNS0_19identity_decomposerEEEEE10hipError_tT0_T1_T2_jT3_P12ihipStream_tbPNSt15iterator_traitsISN_E10value_typeEPNST_ISO_E10value_typeEPSP_NS1_7vsmem_tEENKUlT_SN_SO_SP_E_clISG_PjSI_PS9_EESM_S12_SN_SO_SP_EUlS12_E_NS1_11comp_targetILNS1_3genE3ELNS1_11target_archE908ELNS1_3gpuE7ELNS1_3repE0EEENS1_48merge_mergepath_partition_config_static_selectorELNS0_4arch9wavefront6targetE1EEEvSO_.kd
    .uniform_work_group_size: 1
    .uses_dynamic_stack: false
    .vgpr_count:     0
    .vgpr_spill_count: 0
    .wavefront_size: 64
  - .agpr_count:     0
    .args:
      - .offset:         0
        .size:           40
        .value_kind:     by_value
    .group_segment_fixed_size: 0
    .kernarg_segment_align: 8
    .kernarg_segment_size: 40
    .language:       OpenCL C
    .language_version:
      - 2
      - 0
    .max_flat_workgroup_size: 128
    .name:           _ZN7rocprim17ROCPRIM_400000_NS6detail17trampoline_kernelINS0_14default_configENS1_38merge_sort_block_merge_config_selectorIjN6thrust23THRUST_200600_302600_NS5tupleIffNS6_9null_typeES8_S8_S8_S8_S8_S8_S8_EEEEZZNS1_27merge_sort_block_merge_implIS3_NS6_6detail15normal_iteratorINS6_10device_ptrIjEEEENSD_INSE_IS9_EEEEjNS1_19radix_merge_compareILb0ELb1EjNS0_19identity_decomposerEEEEE10hipError_tT0_T1_T2_jT3_P12ihipStream_tbPNSt15iterator_traitsISN_E10value_typeEPNST_ISO_E10value_typeEPSP_NS1_7vsmem_tEENKUlT_SN_SO_SP_E_clISG_PjSI_PS9_EESM_S12_SN_SO_SP_EUlS12_E_NS1_11comp_targetILNS1_3genE2ELNS1_11target_archE906ELNS1_3gpuE6ELNS1_3repE0EEENS1_48merge_mergepath_partition_config_static_selectorELNS0_4arch9wavefront6targetE1EEEvSO_
    .private_segment_fixed_size: 0
    .sgpr_count:     4
    .sgpr_spill_count: 0
    .symbol:         _ZN7rocprim17ROCPRIM_400000_NS6detail17trampoline_kernelINS0_14default_configENS1_38merge_sort_block_merge_config_selectorIjN6thrust23THRUST_200600_302600_NS5tupleIffNS6_9null_typeES8_S8_S8_S8_S8_S8_S8_EEEEZZNS1_27merge_sort_block_merge_implIS3_NS6_6detail15normal_iteratorINS6_10device_ptrIjEEEENSD_INSE_IS9_EEEEjNS1_19radix_merge_compareILb0ELb1EjNS0_19identity_decomposerEEEEE10hipError_tT0_T1_T2_jT3_P12ihipStream_tbPNSt15iterator_traitsISN_E10value_typeEPNST_ISO_E10value_typeEPSP_NS1_7vsmem_tEENKUlT_SN_SO_SP_E_clISG_PjSI_PS9_EESM_S12_SN_SO_SP_EUlS12_E_NS1_11comp_targetILNS1_3genE2ELNS1_11target_archE906ELNS1_3gpuE6ELNS1_3repE0EEENS1_48merge_mergepath_partition_config_static_selectorELNS0_4arch9wavefront6targetE1EEEvSO_.kd
    .uniform_work_group_size: 1
    .uses_dynamic_stack: false
    .vgpr_count:     0
    .vgpr_spill_count: 0
    .wavefront_size: 64
  - .agpr_count:     0
    .args:
      - .offset:         0
        .size:           40
        .value_kind:     by_value
    .group_segment_fixed_size: 0
    .kernarg_segment_align: 8
    .kernarg_segment_size: 40
    .language:       OpenCL C
    .language_version:
      - 2
      - 0
    .max_flat_workgroup_size: 128
    .name:           _ZN7rocprim17ROCPRIM_400000_NS6detail17trampoline_kernelINS0_14default_configENS1_38merge_sort_block_merge_config_selectorIjN6thrust23THRUST_200600_302600_NS5tupleIffNS6_9null_typeES8_S8_S8_S8_S8_S8_S8_EEEEZZNS1_27merge_sort_block_merge_implIS3_NS6_6detail15normal_iteratorINS6_10device_ptrIjEEEENSD_INSE_IS9_EEEEjNS1_19radix_merge_compareILb0ELb1EjNS0_19identity_decomposerEEEEE10hipError_tT0_T1_T2_jT3_P12ihipStream_tbPNSt15iterator_traitsISN_E10value_typeEPNST_ISO_E10value_typeEPSP_NS1_7vsmem_tEENKUlT_SN_SO_SP_E_clISG_PjSI_PS9_EESM_S12_SN_SO_SP_EUlS12_E_NS1_11comp_targetILNS1_3genE9ELNS1_11target_archE1100ELNS1_3gpuE3ELNS1_3repE0EEENS1_48merge_mergepath_partition_config_static_selectorELNS0_4arch9wavefront6targetE1EEEvSO_
    .private_segment_fixed_size: 0
    .sgpr_count:     4
    .sgpr_spill_count: 0
    .symbol:         _ZN7rocprim17ROCPRIM_400000_NS6detail17trampoline_kernelINS0_14default_configENS1_38merge_sort_block_merge_config_selectorIjN6thrust23THRUST_200600_302600_NS5tupleIffNS6_9null_typeES8_S8_S8_S8_S8_S8_S8_EEEEZZNS1_27merge_sort_block_merge_implIS3_NS6_6detail15normal_iteratorINS6_10device_ptrIjEEEENSD_INSE_IS9_EEEEjNS1_19radix_merge_compareILb0ELb1EjNS0_19identity_decomposerEEEEE10hipError_tT0_T1_T2_jT3_P12ihipStream_tbPNSt15iterator_traitsISN_E10value_typeEPNST_ISO_E10value_typeEPSP_NS1_7vsmem_tEENKUlT_SN_SO_SP_E_clISG_PjSI_PS9_EESM_S12_SN_SO_SP_EUlS12_E_NS1_11comp_targetILNS1_3genE9ELNS1_11target_archE1100ELNS1_3gpuE3ELNS1_3repE0EEENS1_48merge_mergepath_partition_config_static_selectorELNS0_4arch9wavefront6targetE1EEEvSO_.kd
    .uniform_work_group_size: 1
    .uses_dynamic_stack: false
    .vgpr_count:     0
    .vgpr_spill_count: 0
    .wavefront_size: 64
  - .agpr_count:     0
    .args:
      - .offset:         0
        .size:           40
        .value_kind:     by_value
    .group_segment_fixed_size: 0
    .kernarg_segment_align: 8
    .kernarg_segment_size: 40
    .language:       OpenCL C
    .language_version:
      - 2
      - 0
    .max_flat_workgroup_size: 128
    .name:           _ZN7rocprim17ROCPRIM_400000_NS6detail17trampoline_kernelINS0_14default_configENS1_38merge_sort_block_merge_config_selectorIjN6thrust23THRUST_200600_302600_NS5tupleIffNS6_9null_typeES8_S8_S8_S8_S8_S8_S8_EEEEZZNS1_27merge_sort_block_merge_implIS3_NS6_6detail15normal_iteratorINS6_10device_ptrIjEEEENSD_INSE_IS9_EEEEjNS1_19radix_merge_compareILb0ELb1EjNS0_19identity_decomposerEEEEE10hipError_tT0_T1_T2_jT3_P12ihipStream_tbPNSt15iterator_traitsISN_E10value_typeEPNST_ISO_E10value_typeEPSP_NS1_7vsmem_tEENKUlT_SN_SO_SP_E_clISG_PjSI_PS9_EESM_S12_SN_SO_SP_EUlS12_E_NS1_11comp_targetILNS1_3genE8ELNS1_11target_archE1030ELNS1_3gpuE2ELNS1_3repE0EEENS1_48merge_mergepath_partition_config_static_selectorELNS0_4arch9wavefront6targetE1EEEvSO_
    .private_segment_fixed_size: 0
    .sgpr_count:     4
    .sgpr_spill_count: 0
    .symbol:         _ZN7rocprim17ROCPRIM_400000_NS6detail17trampoline_kernelINS0_14default_configENS1_38merge_sort_block_merge_config_selectorIjN6thrust23THRUST_200600_302600_NS5tupleIffNS6_9null_typeES8_S8_S8_S8_S8_S8_S8_EEEEZZNS1_27merge_sort_block_merge_implIS3_NS6_6detail15normal_iteratorINS6_10device_ptrIjEEEENSD_INSE_IS9_EEEEjNS1_19radix_merge_compareILb0ELb1EjNS0_19identity_decomposerEEEEE10hipError_tT0_T1_T2_jT3_P12ihipStream_tbPNSt15iterator_traitsISN_E10value_typeEPNST_ISO_E10value_typeEPSP_NS1_7vsmem_tEENKUlT_SN_SO_SP_E_clISG_PjSI_PS9_EESM_S12_SN_SO_SP_EUlS12_E_NS1_11comp_targetILNS1_3genE8ELNS1_11target_archE1030ELNS1_3gpuE2ELNS1_3repE0EEENS1_48merge_mergepath_partition_config_static_selectorELNS0_4arch9wavefront6targetE1EEEvSO_.kd
    .uniform_work_group_size: 1
    .uses_dynamic_stack: false
    .vgpr_count:     0
    .vgpr_spill_count: 0
    .wavefront_size: 64
  - .agpr_count:     0
    .args:
      - .offset:         0
        .size:           64
        .value_kind:     by_value
    .group_segment_fixed_size: 0
    .kernarg_segment_align: 8
    .kernarg_segment_size: 64
    .language:       OpenCL C
    .language_version:
      - 2
      - 0
    .max_flat_workgroup_size: 512
    .name:           _ZN7rocprim17ROCPRIM_400000_NS6detail17trampoline_kernelINS0_14default_configENS1_38merge_sort_block_merge_config_selectorIjN6thrust23THRUST_200600_302600_NS5tupleIffNS6_9null_typeES8_S8_S8_S8_S8_S8_S8_EEEEZZNS1_27merge_sort_block_merge_implIS3_NS6_6detail15normal_iteratorINS6_10device_ptrIjEEEENSD_INSE_IS9_EEEEjNS1_19radix_merge_compareILb0ELb1EjNS0_19identity_decomposerEEEEE10hipError_tT0_T1_T2_jT3_P12ihipStream_tbPNSt15iterator_traitsISN_E10value_typeEPNST_ISO_E10value_typeEPSP_NS1_7vsmem_tEENKUlT_SN_SO_SP_E_clISG_PjSI_PS9_EESM_S12_SN_SO_SP_EUlS12_E0_NS1_11comp_targetILNS1_3genE0ELNS1_11target_archE4294967295ELNS1_3gpuE0ELNS1_3repE0EEENS1_38merge_mergepath_config_static_selectorELNS0_4arch9wavefront6targetE1EEEvSO_
    .private_segment_fixed_size: 0
    .sgpr_count:     4
    .sgpr_spill_count: 0
    .symbol:         _ZN7rocprim17ROCPRIM_400000_NS6detail17trampoline_kernelINS0_14default_configENS1_38merge_sort_block_merge_config_selectorIjN6thrust23THRUST_200600_302600_NS5tupleIffNS6_9null_typeES8_S8_S8_S8_S8_S8_S8_EEEEZZNS1_27merge_sort_block_merge_implIS3_NS6_6detail15normal_iteratorINS6_10device_ptrIjEEEENSD_INSE_IS9_EEEEjNS1_19radix_merge_compareILb0ELb1EjNS0_19identity_decomposerEEEEE10hipError_tT0_T1_T2_jT3_P12ihipStream_tbPNSt15iterator_traitsISN_E10value_typeEPNST_ISO_E10value_typeEPSP_NS1_7vsmem_tEENKUlT_SN_SO_SP_E_clISG_PjSI_PS9_EESM_S12_SN_SO_SP_EUlS12_E0_NS1_11comp_targetILNS1_3genE0ELNS1_11target_archE4294967295ELNS1_3gpuE0ELNS1_3repE0EEENS1_38merge_mergepath_config_static_selectorELNS0_4arch9wavefront6targetE1EEEvSO_.kd
    .uniform_work_group_size: 1
    .uses_dynamic_stack: false
    .vgpr_count:     0
    .vgpr_spill_count: 0
    .wavefront_size: 64
  - .agpr_count:     0
    .args:
      - .offset:         0
        .size:           64
        .value_kind:     by_value
    .group_segment_fixed_size: 0
    .kernarg_segment_align: 8
    .kernarg_segment_size: 64
    .language:       OpenCL C
    .language_version:
      - 2
      - 0
    .max_flat_workgroup_size: 512
    .name:           _ZN7rocprim17ROCPRIM_400000_NS6detail17trampoline_kernelINS0_14default_configENS1_38merge_sort_block_merge_config_selectorIjN6thrust23THRUST_200600_302600_NS5tupleIffNS6_9null_typeES8_S8_S8_S8_S8_S8_S8_EEEEZZNS1_27merge_sort_block_merge_implIS3_NS6_6detail15normal_iteratorINS6_10device_ptrIjEEEENSD_INSE_IS9_EEEEjNS1_19radix_merge_compareILb0ELb1EjNS0_19identity_decomposerEEEEE10hipError_tT0_T1_T2_jT3_P12ihipStream_tbPNSt15iterator_traitsISN_E10value_typeEPNST_ISO_E10value_typeEPSP_NS1_7vsmem_tEENKUlT_SN_SO_SP_E_clISG_PjSI_PS9_EESM_S12_SN_SO_SP_EUlS12_E0_NS1_11comp_targetILNS1_3genE10ELNS1_11target_archE1201ELNS1_3gpuE5ELNS1_3repE0EEENS1_38merge_mergepath_config_static_selectorELNS0_4arch9wavefront6targetE1EEEvSO_
    .private_segment_fixed_size: 0
    .sgpr_count:     4
    .sgpr_spill_count: 0
    .symbol:         _ZN7rocprim17ROCPRIM_400000_NS6detail17trampoline_kernelINS0_14default_configENS1_38merge_sort_block_merge_config_selectorIjN6thrust23THRUST_200600_302600_NS5tupleIffNS6_9null_typeES8_S8_S8_S8_S8_S8_S8_EEEEZZNS1_27merge_sort_block_merge_implIS3_NS6_6detail15normal_iteratorINS6_10device_ptrIjEEEENSD_INSE_IS9_EEEEjNS1_19radix_merge_compareILb0ELb1EjNS0_19identity_decomposerEEEEE10hipError_tT0_T1_T2_jT3_P12ihipStream_tbPNSt15iterator_traitsISN_E10value_typeEPNST_ISO_E10value_typeEPSP_NS1_7vsmem_tEENKUlT_SN_SO_SP_E_clISG_PjSI_PS9_EESM_S12_SN_SO_SP_EUlS12_E0_NS1_11comp_targetILNS1_3genE10ELNS1_11target_archE1201ELNS1_3gpuE5ELNS1_3repE0EEENS1_38merge_mergepath_config_static_selectorELNS0_4arch9wavefront6targetE1EEEvSO_.kd
    .uniform_work_group_size: 1
    .uses_dynamic_stack: false
    .vgpr_count:     0
    .vgpr_spill_count: 0
    .wavefront_size: 64
  - .agpr_count:     0
    .args:
      - .offset:         0
        .size:           64
        .value_kind:     by_value
    .group_segment_fixed_size: 0
    .kernarg_segment_align: 8
    .kernarg_segment_size: 64
    .language:       OpenCL C
    .language_version:
      - 2
      - 0
    .max_flat_workgroup_size: 256
    .name:           _ZN7rocprim17ROCPRIM_400000_NS6detail17trampoline_kernelINS0_14default_configENS1_38merge_sort_block_merge_config_selectorIjN6thrust23THRUST_200600_302600_NS5tupleIffNS6_9null_typeES8_S8_S8_S8_S8_S8_S8_EEEEZZNS1_27merge_sort_block_merge_implIS3_NS6_6detail15normal_iteratorINS6_10device_ptrIjEEEENSD_INSE_IS9_EEEEjNS1_19radix_merge_compareILb0ELb1EjNS0_19identity_decomposerEEEEE10hipError_tT0_T1_T2_jT3_P12ihipStream_tbPNSt15iterator_traitsISN_E10value_typeEPNST_ISO_E10value_typeEPSP_NS1_7vsmem_tEENKUlT_SN_SO_SP_E_clISG_PjSI_PS9_EESM_S12_SN_SO_SP_EUlS12_E0_NS1_11comp_targetILNS1_3genE5ELNS1_11target_archE942ELNS1_3gpuE9ELNS1_3repE0EEENS1_38merge_mergepath_config_static_selectorELNS0_4arch9wavefront6targetE1EEEvSO_
    .private_segment_fixed_size: 0
    .sgpr_count:     4
    .sgpr_spill_count: 0
    .symbol:         _ZN7rocprim17ROCPRIM_400000_NS6detail17trampoline_kernelINS0_14default_configENS1_38merge_sort_block_merge_config_selectorIjN6thrust23THRUST_200600_302600_NS5tupleIffNS6_9null_typeES8_S8_S8_S8_S8_S8_S8_EEEEZZNS1_27merge_sort_block_merge_implIS3_NS6_6detail15normal_iteratorINS6_10device_ptrIjEEEENSD_INSE_IS9_EEEEjNS1_19radix_merge_compareILb0ELb1EjNS0_19identity_decomposerEEEEE10hipError_tT0_T1_T2_jT3_P12ihipStream_tbPNSt15iterator_traitsISN_E10value_typeEPNST_ISO_E10value_typeEPSP_NS1_7vsmem_tEENKUlT_SN_SO_SP_E_clISG_PjSI_PS9_EESM_S12_SN_SO_SP_EUlS12_E0_NS1_11comp_targetILNS1_3genE5ELNS1_11target_archE942ELNS1_3gpuE9ELNS1_3repE0EEENS1_38merge_mergepath_config_static_selectorELNS0_4arch9wavefront6targetE1EEEvSO_.kd
    .uniform_work_group_size: 1
    .uses_dynamic_stack: false
    .vgpr_count:     0
    .vgpr_spill_count: 0
    .wavefront_size: 64
  - .agpr_count:     0
    .args:
      - .offset:         0
        .size:           64
        .value_kind:     by_value
      - .offset:         64
        .size:           4
        .value_kind:     hidden_block_count_x
      - .offset:         68
        .size:           4
        .value_kind:     hidden_block_count_y
      - .offset:         72
        .size:           4
        .value_kind:     hidden_block_count_z
      - .offset:         76
        .size:           2
        .value_kind:     hidden_group_size_x
      - .offset:         78
        .size:           2
        .value_kind:     hidden_group_size_y
      - .offset:         80
        .size:           2
        .value_kind:     hidden_group_size_z
      - .offset:         82
        .size:           2
        .value_kind:     hidden_remainder_x
      - .offset:         84
        .size:           2
        .value_kind:     hidden_remainder_y
      - .offset:         86
        .size:           2
        .value_kind:     hidden_remainder_z
      - .offset:         104
        .size:           8
        .value_kind:     hidden_global_offset_x
      - .offset:         112
        .size:           8
        .value_kind:     hidden_global_offset_y
      - .offset:         120
        .size:           8
        .value_kind:     hidden_global_offset_z
      - .offset:         128
        .size:           2
        .value_kind:     hidden_grid_dims
    .group_segment_fixed_size: 8448
    .kernarg_segment_align: 8
    .kernarg_segment_size: 320
    .language:       OpenCL C
    .language_version:
      - 2
      - 0
    .max_flat_workgroup_size: 256
    .name:           _ZN7rocprim17ROCPRIM_400000_NS6detail17trampoline_kernelINS0_14default_configENS1_38merge_sort_block_merge_config_selectorIjN6thrust23THRUST_200600_302600_NS5tupleIffNS6_9null_typeES8_S8_S8_S8_S8_S8_S8_EEEEZZNS1_27merge_sort_block_merge_implIS3_NS6_6detail15normal_iteratorINS6_10device_ptrIjEEEENSD_INSE_IS9_EEEEjNS1_19radix_merge_compareILb0ELb1EjNS0_19identity_decomposerEEEEE10hipError_tT0_T1_T2_jT3_P12ihipStream_tbPNSt15iterator_traitsISN_E10value_typeEPNST_ISO_E10value_typeEPSP_NS1_7vsmem_tEENKUlT_SN_SO_SP_E_clISG_PjSI_PS9_EESM_S12_SN_SO_SP_EUlS12_E0_NS1_11comp_targetILNS1_3genE4ELNS1_11target_archE910ELNS1_3gpuE8ELNS1_3repE0EEENS1_38merge_mergepath_config_static_selectorELNS0_4arch9wavefront6targetE1EEEvSO_
    .private_segment_fixed_size: 0
    .sgpr_count:     36
    .sgpr_spill_count: 0
    .symbol:         _ZN7rocprim17ROCPRIM_400000_NS6detail17trampoline_kernelINS0_14default_configENS1_38merge_sort_block_merge_config_selectorIjN6thrust23THRUST_200600_302600_NS5tupleIffNS6_9null_typeES8_S8_S8_S8_S8_S8_S8_EEEEZZNS1_27merge_sort_block_merge_implIS3_NS6_6detail15normal_iteratorINS6_10device_ptrIjEEEENSD_INSE_IS9_EEEEjNS1_19radix_merge_compareILb0ELb1EjNS0_19identity_decomposerEEEEE10hipError_tT0_T1_T2_jT3_P12ihipStream_tbPNSt15iterator_traitsISN_E10value_typeEPNST_ISO_E10value_typeEPSP_NS1_7vsmem_tEENKUlT_SN_SO_SP_E_clISG_PjSI_PS9_EESM_S12_SN_SO_SP_EUlS12_E0_NS1_11comp_targetILNS1_3genE4ELNS1_11target_archE910ELNS1_3gpuE8ELNS1_3repE0EEENS1_38merge_mergepath_config_static_selectorELNS0_4arch9wavefront6targetE1EEEvSO_.kd
    .uniform_work_group_size: 1
    .uses_dynamic_stack: false
    .vgpr_count:     35
    .vgpr_spill_count: 0
    .wavefront_size: 64
  - .agpr_count:     0
    .args:
      - .offset:         0
        .size:           64
        .value_kind:     by_value
    .group_segment_fixed_size: 0
    .kernarg_segment_align: 8
    .kernarg_segment_size: 64
    .language:       OpenCL C
    .language_version:
      - 2
      - 0
    .max_flat_workgroup_size: 512
    .name:           _ZN7rocprim17ROCPRIM_400000_NS6detail17trampoline_kernelINS0_14default_configENS1_38merge_sort_block_merge_config_selectorIjN6thrust23THRUST_200600_302600_NS5tupleIffNS6_9null_typeES8_S8_S8_S8_S8_S8_S8_EEEEZZNS1_27merge_sort_block_merge_implIS3_NS6_6detail15normal_iteratorINS6_10device_ptrIjEEEENSD_INSE_IS9_EEEEjNS1_19radix_merge_compareILb0ELb1EjNS0_19identity_decomposerEEEEE10hipError_tT0_T1_T2_jT3_P12ihipStream_tbPNSt15iterator_traitsISN_E10value_typeEPNST_ISO_E10value_typeEPSP_NS1_7vsmem_tEENKUlT_SN_SO_SP_E_clISG_PjSI_PS9_EESM_S12_SN_SO_SP_EUlS12_E0_NS1_11comp_targetILNS1_3genE3ELNS1_11target_archE908ELNS1_3gpuE7ELNS1_3repE0EEENS1_38merge_mergepath_config_static_selectorELNS0_4arch9wavefront6targetE1EEEvSO_
    .private_segment_fixed_size: 0
    .sgpr_count:     4
    .sgpr_spill_count: 0
    .symbol:         _ZN7rocprim17ROCPRIM_400000_NS6detail17trampoline_kernelINS0_14default_configENS1_38merge_sort_block_merge_config_selectorIjN6thrust23THRUST_200600_302600_NS5tupleIffNS6_9null_typeES8_S8_S8_S8_S8_S8_S8_EEEEZZNS1_27merge_sort_block_merge_implIS3_NS6_6detail15normal_iteratorINS6_10device_ptrIjEEEENSD_INSE_IS9_EEEEjNS1_19radix_merge_compareILb0ELb1EjNS0_19identity_decomposerEEEEE10hipError_tT0_T1_T2_jT3_P12ihipStream_tbPNSt15iterator_traitsISN_E10value_typeEPNST_ISO_E10value_typeEPSP_NS1_7vsmem_tEENKUlT_SN_SO_SP_E_clISG_PjSI_PS9_EESM_S12_SN_SO_SP_EUlS12_E0_NS1_11comp_targetILNS1_3genE3ELNS1_11target_archE908ELNS1_3gpuE7ELNS1_3repE0EEENS1_38merge_mergepath_config_static_selectorELNS0_4arch9wavefront6targetE1EEEvSO_.kd
    .uniform_work_group_size: 1
    .uses_dynamic_stack: false
    .vgpr_count:     0
    .vgpr_spill_count: 0
    .wavefront_size: 64
  - .agpr_count:     0
    .args:
      - .offset:         0
        .size:           64
        .value_kind:     by_value
    .group_segment_fixed_size: 0
    .kernarg_segment_align: 8
    .kernarg_segment_size: 64
    .language:       OpenCL C
    .language_version:
      - 2
      - 0
    .max_flat_workgroup_size: 256
    .name:           _ZN7rocprim17ROCPRIM_400000_NS6detail17trampoline_kernelINS0_14default_configENS1_38merge_sort_block_merge_config_selectorIjN6thrust23THRUST_200600_302600_NS5tupleIffNS6_9null_typeES8_S8_S8_S8_S8_S8_S8_EEEEZZNS1_27merge_sort_block_merge_implIS3_NS6_6detail15normal_iteratorINS6_10device_ptrIjEEEENSD_INSE_IS9_EEEEjNS1_19radix_merge_compareILb0ELb1EjNS0_19identity_decomposerEEEEE10hipError_tT0_T1_T2_jT3_P12ihipStream_tbPNSt15iterator_traitsISN_E10value_typeEPNST_ISO_E10value_typeEPSP_NS1_7vsmem_tEENKUlT_SN_SO_SP_E_clISG_PjSI_PS9_EESM_S12_SN_SO_SP_EUlS12_E0_NS1_11comp_targetILNS1_3genE2ELNS1_11target_archE906ELNS1_3gpuE6ELNS1_3repE0EEENS1_38merge_mergepath_config_static_selectorELNS0_4arch9wavefront6targetE1EEEvSO_
    .private_segment_fixed_size: 0
    .sgpr_count:     4
    .sgpr_spill_count: 0
    .symbol:         _ZN7rocprim17ROCPRIM_400000_NS6detail17trampoline_kernelINS0_14default_configENS1_38merge_sort_block_merge_config_selectorIjN6thrust23THRUST_200600_302600_NS5tupleIffNS6_9null_typeES8_S8_S8_S8_S8_S8_S8_EEEEZZNS1_27merge_sort_block_merge_implIS3_NS6_6detail15normal_iteratorINS6_10device_ptrIjEEEENSD_INSE_IS9_EEEEjNS1_19radix_merge_compareILb0ELb1EjNS0_19identity_decomposerEEEEE10hipError_tT0_T1_T2_jT3_P12ihipStream_tbPNSt15iterator_traitsISN_E10value_typeEPNST_ISO_E10value_typeEPSP_NS1_7vsmem_tEENKUlT_SN_SO_SP_E_clISG_PjSI_PS9_EESM_S12_SN_SO_SP_EUlS12_E0_NS1_11comp_targetILNS1_3genE2ELNS1_11target_archE906ELNS1_3gpuE6ELNS1_3repE0EEENS1_38merge_mergepath_config_static_selectorELNS0_4arch9wavefront6targetE1EEEvSO_.kd
    .uniform_work_group_size: 1
    .uses_dynamic_stack: false
    .vgpr_count:     0
    .vgpr_spill_count: 0
    .wavefront_size: 64
  - .agpr_count:     0
    .args:
      - .offset:         0
        .size:           64
        .value_kind:     by_value
    .group_segment_fixed_size: 0
    .kernarg_segment_align: 8
    .kernarg_segment_size: 64
    .language:       OpenCL C
    .language_version:
      - 2
      - 0
    .max_flat_workgroup_size: 512
    .name:           _ZN7rocprim17ROCPRIM_400000_NS6detail17trampoline_kernelINS0_14default_configENS1_38merge_sort_block_merge_config_selectorIjN6thrust23THRUST_200600_302600_NS5tupleIffNS6_9null_typeES8_S8_S8_S8_S8_S8_S8_EEEEZZNS1_27merge_sort_block_merge_implIS3_NS6_6detail15normal_iteratorINS6_10device_ptrIjEEEENSD_INSE_IS9_EEEEjNS1_19radix_merge_compareILb0ELb1EjNS0_19identity_decomposerEEEEE10hipError_tT0_T1_T2_jT3_P12ihipStream_tbPNSt15iterator_traitsISN_E10value_typeEPNST_ISO_E10value_typeEPSP_NS1_7vsmem_tEENKUlT_SN_SO_SP_E_clISG_PjSI_PS9_EESM_S12_SN_SO_SP_EUlS12_E0_NS1_11comp_targetILNS1_3genE9ELNS1_11target_archE1100ELNS1_3gpuE3ELNS1_3repE0EEENS1_38merge_mergepath_config_static_selectorELNS0_4arch9wavefront6targetE1EEEvSO_
    .private_segment_fixed_size: 0
    .sgpr_count:     4
    .sgpr_spill_count: 0
    .symbol:         _ZN7rocprim17ROCPRIM_400000_NS6detail17trampoline_kernelINS0_14default_configENS1_38merge_sort_block_merge_config_selectorIjN6thrust23THRUST_200600_302600_NS5tupleIffNS6_9null_typeES8_S8_S8_S8_S8_S8_S8_EEEEZZNS1_27merge_sort_block_merge_implIS3_NS6_6detail15normal_iteratorINS6_10device_ptrIjEEEENSD_INSE_IS9_EEEEjNS1_19radix_merge_compareILb0ELb1EjNS0_19identity_decomposerEEEEE10hipError_tT0_T1_T2_jT3_P12ihipStream_tbPNSt15iterator_traitsISN_E10value_typeEPNST_ISO_E10value_typeEPSP_NS1_7vsmem_tEENKUlT_SN_SO_SP_E_clISG_PjSI_PS9_EESM_S12_SN_SO_SP_EUlS12_E0_NS1_11comp_targetILNS1_3genE9ELNS1_11target_archE1100ELNS1_3gpuE3ELNS1_3repE0EEENS1_38merge_mergepath_config_static_selectorELNS0_4arch9wavefront6targetE1EEEvSO_.kd
    .uniform_work_group_size: 1
    .uses_dynamic_stack: false
    .vgpr_count:     0
    .vgpr_spill_count: 0
    .wavefront_size: 64
  - .agpr_count:     0
    .args:
      - .offset:         0
        .size:           64
        .value_kind:     by_value
    .group_segment_fixed_size: 0
    .kernarg_segment_align: 8
    .kernarg_segment_size: 64
    .language:       OpenCL C
    .language_version:
      - 2
      - 0
    .max_flat_workgroup_size: 1024
    .name:           _ZN7rocprim17ROCPRIM_400000_NS6detail17trampoline_kernelINS0_14default_configENS1_38merge_sort_block_merge_config_selectorIjN6thrust23THRUST_200600_302600_NS5tupleIffNS6_9null_typeES8_S8_S8_S8_S8_S8_S8_EEEEZZNS1_27merge_sort_block_merge_implIS3_NS6_6detail15normal_iteratorINS6_10device_ptrIjEEEENSD_INSE_IS9_EEEEjNS1_19radix_merge_compareILb0ELb1EjNS0_19identity_decomposerEEEEE10hipError_tT0_T1_T2_jT3_P12ihipStream_tbPNSt15iterator_traitsISN_E10value_typeEPNST_ISO_E10value_typeEPSP_NS1_7vsmem_tEENKUlT_SN_SO_SP_E_clISG_PjSI_PS9_EESM_S12_SN_SO_SP_EUlS12_E0_NS1_11comp_targetILNS1_3genE8ELNS1_11target_archE1030ELNS1_3gpuE2ELNS1_3repE0EEENS1_38merge_mergepath_config_static_selectorELNS0_4arch9wavefront6targetE1EEEvSO_
    .private_segment_fixed_size: 0
    .sgpr_count:     4
    .sgpr_spill_count: 0
    .symbol:         _ZN7rocprim17ROCPRIM_400000_NS6detail17trampoline_kernelINS0_14default_configENS1_38merge_sort_block_merge_config_selectorIjN6thrust23THRUST_200600_302600_NS5tupleIffNS6_9null_typeES8_S8_S8_S8_S8_S8_S8_EEEEZZNS1_27merge_sort_block_merge_implIS3_NS6_6detail15normal_iteratorINS6_10device_ptrIjEEEENSD_INSE_IS9_EEEEjNS1_19radix_merge_compareILb0ELb1EjNS0_19identity_decomposerEEEEE10hipError_tT0_T1_T2_jT3_P12ihipStream_tbPNSt15iterator_traitsISN_E10value_typeEPNST_ISO_E10value_typeEPSP_NS1_7vsmem_tEENKUlT_SN_SO_SP_E_clISG_PjSI_PS9_EESM_S12_SN_SO_SP_EUlS12_E0_NS1_11comp_targetILNS1_3genE8ELNS1_11target_archE1030ELNS1_3gpuE2ELNS1_3repE0EEENS1_38merge_mergepath_config_static_selectorELNS0_4arch9wavefront6targetE1EEEvSO_.kd
    .uniform_work_group_size: 1
    .uses_dynamic_stack: false
    .vgpr_count:     0
    .vgpr_spill_count: 0
    .wavefront_size: 64
  - .agpr_count:     0
    .args:
      - .offset:         0
        .size:           48
        .value_kind:     by_value
    .group_segment_fixed_size: 0
    .kernarg_segment_align: 8
    .kernarg_segment_size: 48
    .language:       OpenCL C
    .language_version:
      - 2
      - 0
    .max_flat_workgroup_size: 256
    .name:           _ZN7rocprim17ROCPRIM_400000_NS6detail17trampoline_kernelINS0_14default_configENS1_38merge_sort_block_merge_config_selectorIjN6thrust23THRUST_200600_302600_NS5tupleIffNS6_9null_typeES8_S8_S8_S8_S8_S8_S8_EEEEZZNS1_27merge_sort_block_merge_implIS3_NS6_6detail15normal_iteratorINS6_10device_ptrIjEEEENSD_INSE_IS9_EEEEjNS1_19radix_merge_compareILb0ELb1EjNS0_19identity_decomposerEEEEE10hipError_tT0_T1_T2_jT3_P12ihipStream_tbPNSt15iterator_traitsISN_E10value_typeEPNST_ISO_E10value_typeEPSP_NS1_7vsmem_tEENKUlT_SN_SO_SP_E_clISG_PjSI_PS9_EESM_S12_SN_SO_SP_EUlS12_E1_NS1_11comp_targetILNS1_3genE0ELNS1_11target_archE4294967295ELNS1_3gpuE0ELNS1_3repE0EEENS1_36merge_oddeven_config_static_selectorELNS0_4arch9wavefront6targetE1EEEvSO_
    .private_segment_fixed_size: 0
    .sgpr_count:     4
    .sgpr_spill_count: 0
    .symbol:         _ZN7rocprim17ROCPRIM_400000_NS6detail17trampoline_kernelINS0_14default_configENS1_38merge_sort_block_merge_config_selectorIjN6thrust23THRUST_200600_302600_NS5tupleIffNS6_9null_typeES8_S8_S8_S8_S8_S8_S8_EEEEZZNS1_27merge_sort_block_merge_implIS3_NS6_6detail15normal_iteratorINS6_10device_ptrIjEEEENSD_INSE_IS9_EEEEjNS1_19radix_merge_compareILb0ELb1EjNS0_19identity_decomposerEEEEE10hipError_tT0_T1_T2_jT3_P12ihipStream_tbPNSt15iterator_traitsISN_E10value_typeEPNST_ISO_E10value_typeEPSP_NS1_7vsmem_tEENKUlT_SN_SO_SP_E_clISG_PjSI_PS9_EESM_S12_SN_SO_SP_EUlS12_E1_NS1_11comp_targetILNS1_3genE0ELNS1_11target_archE4294967295ELNS1_3gpuE0ELNS1_3repE0EEENS1_36merge_oddeven_config_static_selectorELNS0_4arch9wavefront6targetE1EEEvSO_.kd
    .uniform_work_group_size: 1
    .uses_dynamic_stack: false
    .vgpr_count:     0
    .vgpr_spill_count: 0
    .wavefront_size: 64
  - .agpr_count:     0
    .args:
      - .offset:         0
        .size:           48
        .value_kind:     by_value
    .group_segment_fixed_size: 0
    .kernarg_segment_align: 8
    .kernarg_segment_size: 48
    .language:       OpenCL C
    .language_version:
      - 2
      - 0
    .max_flat_workgroup_size: 256
    .name:           _ZN7rocprim17ROCPRIM_400000_NS6detail17trampoline_kernelINS0_14default_configENS1_38merge_sort_block_merge_config_selectorIjN6thrust23THRUST_200600_302600_NS5tupleIffNS6_9null_typeES8_S8_S8_S8_S8_S8_S8_EEEEZZNS1_27merge_sort_block_merge_implIS3_NS6_6detail15normal_iteratorINS6_10device_ptrIjEEEENSD_INSE_IS9_EEEEjNS1_19radix_merge_compareILb0ELb1EjNS0_19identity_decomposerEEEEE10hipError_tT0_T1_T2_jT3_P12ihipStream_tbPNSt15iterator_traitsISN_E10value_typeEPNST_ISO_E10value_typeEPSP_NS1_7vsmem_tEENKUlT_SN_SO_SP_E_clISG_PjSI_PS9_EESM_S12_SN_SO_SP_EUlS12_E1_NS1_11comp_targetILNS1_3genE10ELNS1_11target_archE1201ELNS1_3gpuE5ELNS1_3repE0EEENS1_36merge_oddeven_config_static_selectorELNS0_4arch9wavefront6targetE1EEEvSO_
    .private_segment_fixed_size: 0
    .sgpr_count:     4
    .sgpr_spill_count: 0
    .symbol:         _ZN7rocprim17ROCPRIM_400000_NS6detail17trampoline_kernelINS0_14default_configENS1_38merge_sort_block_merge_config_selectorIjN6thrust23THRUST_200600_302600_NS5tupleIffNS6_9null_typeES8_S8_S8_S8_S8_S8_S8_EEEEZZNS1_27merge_sort_block_merge_implIS3_NS6_6detail15normal_iteratorINS6_10device_ptrIjEEEENSD_INSE_IS9_EEEEjNS1_19radix_merge_compareILb0ELb1EjNS0_19identity_decomposerEEEEE10hipError_tT0_T1_T2_jT3_P12ihipStream_tbPNSt15iterator_traitsISN_E10value_typeEPNST_ISO_E10value_typeEPSP_NS1_7vsmem_tEENKUlT_SN_SO_SP_E_clISG_PjSI_PS9_EESM_S12_SN_SO_SP_EUlS12_E1_NS1_11comp_targetILNS1_3genE10ELNS1_11target_archE1201ELNS1_3gpuE5ELNS1_3repE0EEENS1_36merge_oddeven_config_static_selectorELNS0_4arch9wavefront6targetE1EEEvSO_.kd
    .uniform_work_group_size: 1
    .uses_dynamic_stack: false
    .vgpr_count:     0
    .vgpr_spill_count: 0
    .wavefront_size: 64
  - .agpr_count:     0
    .args:
      - .offset:         0
        .size:           48
        .value_kind:     by_value
    .group_segment_fixed_size: 0
    .kernarg_segment_align: 8
    .kernarg_segment_size: 48
    .language:       OpenCL C
    .language_version:
      - 2
      - 0
    .max_flat_workgroup_size: 256
    .name:           _ZN7rocprim17ROCPRIM_400000_NS6detail17trampoline_kernelINS0_14default_configENS1_38merge_sort_block_merge_config_selectorIjN6thrust23THRUST_200600_302600_NS5tupleIffNS6_9null_typeES8_S8_S8_S8_S8_S8_S8_EEEEZZNS1_27merge_sort_block_merge_implIS3_NS6_6detail15normal_iteratorINS6_10device_ptrIjEEEENSD_INSE_IS9_EEEEjNS1_19radix_merge_compareILb0ELb1EjNS0_19identity_decomposerEEEEE10hipError_tT0_T1_T2_jT3_P12ihipStream_tbPNSt15iterator_traitsISN_E10value_typeEPNST_ISO_E10value_typeEPSP_NS1_7vsmem_tEENKUlT_SN_SO_SP_E_clISG_PjSI_PS9_EESM_S12_SN_SO_SP_EUlS12_E1_NS1_11comp_targetILNS1_3genE5ELNS1_11target_archE942ELNS1_3gpuE9ELNS1_3repE0EEENS1_36merge_oddeven_config_static_selectorELNS0_4arch9wavefront6targetE1EEEvSO_
    .private_segment_fixed_size: 0
    .sgpr_count:     4
    .sgpr_spill_count: 0
    .symbol:         _ZN7rocprim17ROCPRIM_400000_NS6detail17trampoline_kernelINS0_14default_configENS1_38merge_sort_block_merge_config_selectorIjN6thrust23THRUST_200600_302600_NS5tupleIffNS6_9null_typeES8_S8_S8_S8_S8_S8_S8_EEEEZZNS1_27merge_sort_block_merge_implIS3_NS6_6detail15normal_iteratorINS6_10device_ptrIjEEEENSD_INSE_IS9_EEEEjNS1_19radix_merge_compareILb0ELb1EjNS0_19identity_decomposerEEEEE10hipError_tT0_T1_T2_jT3_P12ihipStream_tbPNSt15iterator_traitsISN_E10value_typeEPNST_ISO_E10value_typeEPSP_NS1_7vsmem_tEENKUlT_SN_SO_SP_E_clISG_PjSI_PS9_EESM_S12_SN_SO_SP_EUlS12_E1_NS1_11comp_targetILNS1_3genE5ELNS1_11target_archE942ELNS1_3gpuE9ELNS1_3repE0EEENS1_36merge_oddeven_config_static_selectorELNS0_4arch9wavefront6targetE1EEEvSO_.kd
    .uniform_work_group_size: 1
    .uses_dynamic_stack: false
    .vgpr_count:     0
    .vgpr_spill_count: 0
    .wavefront_size: 64
  - .agpr_count:     0
    .args:
      - .offset:         0
        .size:           48
        .value_kind:     by_value
    .group_segment_fixed_size: 0
    .kernarg_segment_align: 8
    .kernarg_segment_size: 48
    .language:       OpenCL C
    .language_version:
      - 2
      - 0
    .max_flat_workgroup_size: 256
    .name:           _ZN7rocprim17ROCPRIM_400000_NS6detail17trampoline_kernelINS0_14default_configENS1_38merge_sort_block_merge_config_selectorIjN6thrust23THRUST_200600_302600_NS5tupleIffNS6_9null_typeES8_S8_S8_S8_S8_S8_S8_EEEEZZNS1_27merge_sort_block_merge_implIS3_NS6_6detail15normal_iteratorINS6_10device_ptrIjEEEENSD_INSE_IS9_EEEEjNS1_19radix_merge_compareILb0ELb1EjNS0_19identity_decomposerEEEEE10hipError_tT0_T1_T2_jT3_P12ihipStream_tbPNSt15iterator_traitsISN_E10value_typeEPNST_ISO_E10value_typeEPSP_NS1_7vsmem_tEENKUlT_SN_SO_SP_E_clISG_PjSI_PS9_EESM_S12_SN_SO_SP_EUlS12_E1_NS1_11comp_targetILNS1_3genE4ELNS1_11target_archE910ELNS1_3gpuE8ELNS1_3repE0EEENS1_36merge_oddeven_config_static_selectorELNS0_4arch9wavefront6targetE1EEEvSO_
    .private_segment_fixed_size: 0
    .sgpr_count:     28
    .sgpr_spill_count: 0
    .symbol:         _ZN7rocprim17ROCPRIM_400000_NS6detail17trampoline_kernelINS0_14default_configENS1_38merge_sort_block_merge_config_selectorIjN6thrust23THRUST_200600_302600_NS5tupleIffNS6_9null_typeES8_S8_S8_S8_S8_S8_S8_EEEEZZNS1_27merge_sort_block_merge_implIS3_NS6_6detail15normal_iteratorINS6_10device_ptrIjEEEENSD_INSE_IS9_EEEEjNS1_19radix_merge_compareILb0ELb1EjNS0_19identity_decomposerEEEEE10hipError_tT0_T1_T2_jT3_P12ihipStream_tbPNSt15iterator_traitsISN_E10value_typeEPNST_ISO_E10value_typeEPSP_NS1_7vsmem_tEENKUlT_SN_SO_SP_E_clISG_PjSI_PS9_EESM_S12_SN_SO_SP_EUlS12_E1_NS1_11comp_targetILNS1_3genE4ELNS1_11target_archE910ELNS1_3gpuE8ELNS1_3repE0EEENS1_36merge_oddeven_config_static_selectorELNS0_4arch9wavefront6targetE1EEEvSO_.kd
    .uniform_work_group_size: 1
    .uses_dynamic_stack: false
    .vgpr_count:     13
    .vgpr_spill_count: 0
    .wavefront_size: 64
  - .agpr_count:     0
    .args:
      - .offset:         0
        .size:           48
        .value_kind:     by_value
    .group_segment_fixed_size: 0
    .kernarg_segment_align: 8
    .kernarg_segment_size: 48
    .language:       OpenCL C
    .language_version:
      - 2
      - 0
    .max_flat_workgroup_size: 256
    .name:           _ZN7rocprim17ROCPRIM_400000_NS6detail17trampoline_kernelINS0_14default_configENS1_38merge_sort_block_merge_config_selectorIjN6thrust23THRUST_200600_302600_NS5tupleIffNS6_9null_typeES8_S8_S8_S8_S8_S8_S8_EEEEZZNS1_27merge_sort_block_merge_implIS3_NS6_6detail15normal_iteratorINS6_10device_ptrIjEEEENSD_INSE_IS9_EEEEjNS1_19radix_merge_compareILb0ELb1EjNS0_19identity_decomposerEEEEE10hipError_tT0_T1_T2_jT3_P12ihipStream_tbPNSt15iterator_traitsISN_E10value_typeEPNST_ISO_E10value_typeEPSP_NS1_7vsmem_tEENKUlT_SN_SO_SP_E_clISG_PjSI_PS9_EESM_S12_SN_SO_SP_EUlS12_E1_NS1_11comp_targetILNS1_3genE3ELNS1_11target_archE908ELNS1_3gpuE7ELNS1_3repE0EEENS1_36merge_oddeven_config_static_selectorELNS0_4arch9wavefront6targetE1EEEvSO_
    .private_segment_fixed_size: 0
    .sgpr_count:     4
    .sgpr_spill_count: 0
    .symbol:         _ZN7rocprim17ROCPRIM_400000_NS6detail17trampoline_kernelINS0_14default_configENS1_38merge_sort_block_merge_config_selectorIjN6thrust23THRUST_200600_302600_NS5tupleIffNS6_9null_typeES8_S8_S8_S8_S8_S8_S8_EEEEZZNS1_27merge_sort_block_merge_implIS3_NS6_6detail15normal_iteratorINS6_10device_ptrIjEEEENSD_INSE_IS9_EEEEjNS1_19radix_merge_compareILb0ELb1EjNS0_19identity_decomposerEEEEE10hipError_tT0_T1_T2_jT3_P12ihipStream_tbPNSt15iterator_traitsISN_E10value_typeEPNST_ISO_E10value_typeEPSP_NS1_7vsmem_tEENKUlT_SN_SO_SP_E_clISG_PjSI_PS9_EESM_S12_SN_SO_SP_EUlS12_E1_NS1_11comp_targetILNS1_3genE3ELNS1_11target_archE908ELNS1_3gpuE7ELNS1_3repE0EEENS1_36merge_oddeven_config_static_selectorELNS0_4arch9wavefront6targetE1EEEvSO_.kd
    .uniform_work_group_size: 1
    .uses_dynamic_stack: false
    .vgpr_count:     0
    .vgpr_spill_count: 0
    .wavefront_size: 64
  - .agpr_count:     0
    .args:
      - .offset:         0
        .size:           48
        .value_kind:     by_value
    .group_segment_fixed_size: 0
    .kernarg_segment_align: 8
    .kernarg_segment_size: 48
    .language:       OpenCL C
    .language_version:
      - 2
      - 0
    .max_flat_workgroup_size: 256
    .name:           _ZN7rocprim17ROCPRIM_400000_NS6detail17trampoline_kernelINS0_14default_configENS1_38merge_sort_block_merge_config_selectorIjN6thrust23THRUST_200600_302600_NS5tupleIffNS6_9null_typeES8_S8_S8_S8_S8_S8_S8_EEEEZZNS1_27merge_sort_block_merge_implIS3_NS6_6detail15normal_iteratorINS6_10device_ptrIjEEEENSD_INSE_IS9_EEEEjNS1_19radix_merge_compareILb0ELb1EjNS0_19identity_decomposerEEEEE10hipError_tT0_T1_T2_jT3_P12ihipStream_tbPNSt15iterator_traitsISN_E10value_typeEPNST_ISO_E10value_typeEPSP_NS1_7vsmem_tEENKUlT_SN_SO_SP_E_clISG_PjSI_PS9_EESM_S12_SN_SO_SP_EUlS12_E1_NS1_11comp_targetILNS1_3genE2ELNS1_11target_archE906ELNS1_3gpuE6ELNS1_3repE0EEENS1_36merge_oddeven_config_static_selectorELNS0_4arch9wavefront6targetE1EEEvSO_
    .private_segment_fixed_size: 0
    .sgpr_count:     4
    .sgpr_spill_count: 0
    .symbol:         _ZN7rocprim17ROCPRIM_400000_NS6detail17trampoline_kernelINS0_14default_configENS1_38merge_sort_block_merge_config_selectorIjN6thrust23THRUST_200600_302600_NS5tupleIffNS6_9null_typeES8_S8_S8_S8_S8_S8_S8_EEEEZZNS1_27merge_sort_block_merge_implIS3_NS6_6detail15normal_iteratorINS6_10device_ptrIjEEEENSD_INSE_IS9_EEEEjNS1_19radix_merge_compareILb0ELb1EjNS0_19identity_decomposerEEEEE10hipError_tT0_T1_T2_jT3_P12ihipStream_tbPNSt15iterator_traitsISN_E10value_typeEPNST_ISO_E10value_typeEPSP_NS1_7vsmem_tEENKUlT_SN_SO_SP_E_clISG_PjSI_PS9_EESM_S12_SN_SO_SP_EUlS12_E1_NS1_11comp_targetILNS1_3genE2ELNS1_11target_archE906ELNS1_3gpuE6ELNS1_3repE0EEENS1_36merge_oddeven_config_static_selectorELNS0_4arch9wavefront6targetE1EEEvSO_.kd
    .uniform_work_group_size: 1
    .uses_dynamic_stack: false
    .vgpr_count:     0
    .vgpr_spill_count: 0
    .wavefront_size: 64
  - .agpr_count:     0
    .args:
      - .offset:         0
        .size:           48
        .value_kind:     by_value
    .group_segment_fixed_size: 0
    .kernarg_segment_align: 8
    .kernarg_segment_size: 48
    .language:       OpenCL C
    .language_version:
      - 2
      - 0
    .max_flat_workgroup_size: 256
    .name:           _ZN7rocprim17ROCPRIM_400000_NS6detail17trampoline_kernelINS0_14default_configENS1_38merge_sort_block_merge_config_selectorIjN6thrust23THRUST_200600_302600_NS5tupleIffNS6_9null_typeES8_S8_S8_S8_S8_S8_S8_EEEEZZNS1_27merge_sort_block_merge_implIS3_NS6_6detail15normal_iteratorINS6_10device_ptrIjEEEENSD_INSE_IS9_EEEEjNS1_19radix_merge_compareILb0ELb1EjNS0_19identity_decomposerEEEEE10hipError_tT0_T1_T2_jT3_P12ihipStream_tbPNSt15iterator_traitsISN_E10value_typeEPNST_ISO_E10value_typeEPSP_NS1_7vsmem_tEENKUlT_SN_SO_SP_E_clISG_PjSI_PS9_EESM_S12_SN_SO_SP_EUlS12_E1_NS1_11comp_targetILNS1_3genE9ELNS1_11target_archE1100ELNS1_3gpuE3ELNS1_3repE0EEENS1_36merge_oddeven_config_static_selectorELNS0_4arch9wavefront6targetE1EEEvSO_
    .private_segment_fixed_size: 0
    .sgpr_count:     4
    .sgpr_spill_count: 0
    .symbol:         _ZN7rocprim17ROCPRIM_400000_NS6detail17trampoline_kernelINS0_14default_configENS1_38merge_sort_block_merge_config_selectorIjN6thrust23THRUST_200600_302600_NS5tupleIffNS6_9null_typeES8_S8_S8_S8_S8_S8_S8_EEEEZZNS1_27merge_sort_block_merge_implIS3_NS6_6detail15normal_iteratorINS6_10device_ptrIjEEEENSD_INSE_IS9_EEEEjNS1_19radix_merge_compareILb0ELb1EjNS0_19identity_decomposerEEEEE10hipError_tT0_T1_T2_jT3_P12ihipStream_tbPNSt15iterator_traitsISN_E10value_typeEPNST_ISO_E10value_typeEPSP_NS1_7vsmem_tEENKUlT_SN_SO_SP_E_clISG_PjSI_PS9_EESM_S12_SN_SO_SP_EUlS12_E1_NS1_11comp_targetILNS1_3genE9ELNS1_11target_archE1100ELNS1_3gpuE3ELNS1_3repE0EEENS1_36merge_oddeven_config_static_selectorELNS0_4arch9wavefront6targetE1EEEvSO_.kd
    .uniform_work_group_size: 1
    .uses_dynamic_stack: false
    .vgpr_count:     0
    .vgpr_spill_count: 0
    .wavefront_size: 64
  - .agpr_count:     0
    .args:
      - .offset:         0
        .size:           48
        .value_kind:     by_value
    .group_segment_fixed_size: 0
    .kernarg_segment_align: 8
    .kernarg_segment_size: 48
    .language:       OpenCL C
    .language_version:
      - 2
      - 0
    .max_flat_workgroup_size: 256
    .name:           _ZN7rocprim17ROCPRIM_400000_NS6detail17trampoline_kernelINS0_14default_configENS1_38merge_sort_block_merge_config_selectorIjN6thrust23THRUST_200600_302600_NS5tupleIffNS6_9null_typeES8_S8_S8_S8_S8_S8_S8_EEEEZZNS1_27merge_sort_block_merge_implIS3_NS6_6detail15normal_iteratorINS6_10device_ptrIjEEEENSD_INSE_IS9_EEEEjNS1_19radix_merge_compareILb0ELb1EjNS0_19identity_decomposerEEEEE10hipError_tT0_T1_T2_jT3_P12ihipStream_tbPNSt15iterator_traitsISN_E10value_typeEPNST_ISO_E10value_typeEPSP_NS1_7vsmem_tEENKUlT_SN_SO_SP_E_clISG_PjSI_PS9_EESM_S12_SN_SO_SP_EUlS12_E1_NS1_11comp_targetILNS1_3genE8ELNS1_11target_archE1030ELNS1_3gpuE2ELNS1_3repE0EEENS1_36merge_oddeven_config_static_selectorELNS0_4arch9wavefront6targetE1EEEvSO_
    .private_segment_fixed_size: 0
    .sgpr_count:     4
    .sgpr_spill_count: 0
    .symbol:         _ZN7rocprim17ROCPRIM_400000_NS6detail17trampoline_kernelINS0_14default_configENS1_38merge_sort_block_merge_config_selectorIjN6thrust23THRUST_200600_302600_NS5tupleIffNS6_9null_typeES8_S8_S8_S8_S8_S8_S8_EEEEZZNS1_27merge_sort_block_merge_implIS3_NS6_6detail15normal_iteratorINS6_10device_ptrIjEEEENSD_INSE_IS9_EEEEjNS1_19radix_merge_compareILb0ELb1EjNS0_19identity_decomposerEEEEE10hipError_tT0_T1_T2_jT3_P12ihipStream_tbPNSt15iterator_traitsISN_E10value_typeEPNST_ISO_E10value_typeEPSP_NS1_7vsmem_tEENKUlT_SN_SO_SP_E_clISG_PjSI_PS9_EESM_S12_SN_SO_SP_EUlS12_E1_NS1_11comp_targetILNS1_3genE8ELNS1_11target_archE1030ELNS1_3gpuE2ELNS1_3repE0EEENS1_36merge_oddeven_config_static_selectorELNS0_4arch9wavefront6targetE1EEEvSO_.kd
    .uniform_work_group_size: 1
    .uses_dynamic_stack: false
    .vgpr_count:     0
    .vgpr_spill_count: 0
    .wavefront_size: 64
  - .agpr_count:     0
    .args:
      - .offset:         0
        .size:           40
        .value_kind:     by_value
    .group_segment_fixed_size: 0
    .kernarg_segment_align: 8
    .kernarg_segment_size: 40
    .language:       OpenCL C
    .language_version:
      - 2
      - 0
    .max_flat_workgroup_size: 512
    .name:           _ZN7rocprim17ROCPRIM_400000_NS6detail17trampoline_kernelINS0_14default_configENS1_35radix_sort_onesweep_config_selectorIjN6thrust23THRUST_200600_302600_NS5tupleIffNS6_9null_typeES8_S8_S8_S8_S8_S8_S8_EEEEZNS1_34radix_sort_onesweep_global_offsetsIS3_Lb0ENS6_6detail15normal_iteratorINS6_10device_ptrIjEEEENSD_INSE_IS9_EEEEjNS0_19identity_decomposerEEE10hipError_tT1_T2_PT3_SN_jT4_jjP12ihipStream_tbEUlT_E_NS1_11comp_targetILNS1_3genE0ELNS1_11target_archE4294967295ELNS1_3gpuE0ELNS1_3repE0EEENS1_52radix_sort_onesweep_histogram_config_static_selectorELNS0_4arch9wavefront6targetE1EEEvSL_
    .private_segment_fixed_size: 0
    .sgpr_count:     4
    .sgpr_spill_count: 0
    .symbol:         _ZN7rocprim17ROCPRIM_400000_NS6detail17trampoline_kernelINS0_14default_configENS1_35radix_sort_onesweep_config_selectorIjN6thrust23THRUST_200600_302600_NS5tupleIffNS6_9null_typeES8_S8_S8_S8_S8_S8_S8_EEEEZNS1_34radix_sort_onesweep_global_offsetsIS3_Lb0ENS6_6detail15normal_iteratorINS6_10device_ptrIjEEEENSD_INSE_IS9_EEEEjNS0_19identity_decomposerEEE10hipError_tT1_T2_PT3_SN_jT4_jjP12ihipStream_tbEUlT_E_NS1_11comp_targetILNS1_3genE0ELNS1_11target_archE4294967295ELNS1_3gpuE0ELNS1_3repE0EEENS1_52radix_sort_onesweep_histogram_config_static_selectorELNS0_4arch9wavefront6targetE1EEEvSL_.kd
    .uniform_work_group_size: 1
    .uses_dynamic_stack: false
    .vgpr_count:     0
    .vgpr_spill_count: 0
    .wavefront_size: 64
  - .agpr_count:     0
    .args:
      - .offset:         0
        .size:           40
        .value_kind:     by_value
    .group_segment_fixed_size: 0
    .kernarg_segment_align: 8
    .kernarg_segment_size: 40
    .language:       OpenCL C
    .language_version:
      - 2
      - 0
    .max_flat_workgroup_size: 1024
    .name:           _ZN7rocprim17ROCPRIM_400000_NS6detail17trampoline_kernelINS0_14default_configENS1_35radix_sort_onesweep_config_selectorIjN6thrust23THRUST_200600_302600_NS5tupleIffNS6_9null_typeES8_S8_S8_S8_S8_S8_S8_EEEEZNS1_34radix_sort_onesweep_global_offsetsIS3_Lb0ENS6_6detail15normal_iteratorINS6_10device_ptrIjEEEENSD_INSE_IS9_EEEEjNS0_19identity_decomposerEEE10hipError_tT1_T2_PT3_SN_jT4_jjP12ihipStream_tbEUlT_E_NS1_11comp_targetILNS1_3genE6ELNS1_11target_archE950ELNS1_3gpuE13ELNS1_3repE0EEENS1_52radix_sort_onesweep_histogram_config_static_selectorELNS0_4arch9wavefront6targetE1EEEvSL_
    .private_segment_fixed_size: 0
    .sgpr_count:     4
    .sgpr_spill_count: 0
    .symbol:         _ZN7rocprim17ROCPRIM_400000_NS6detail17trampoline_kernelINS0_14default_configENS1_35radix_sort_onesweep_config_selectorIjN6thrust23THRUST_200600_302600_NS5tupleIffNS6_9null_typeES8_S8_S8_S8_S8_S8_S8_EEEEZNS1_34radix_sort_onesweep_global_offsetsIS3_Lb0ENS6_6detail15normal_iteratorINS6_10device_ptrIjEEEENSD_INSE_IS9_EEEEjNS0_19identity_decomposerEEE10hipError_tT1_T2_PT3_SN_jT4_jjP12ihipStream_tbEUlT_E_NS1_11comp_targetILNS1_3genE6ELNS1_11target_archE950ELNS1_3gpuE13ELNS1_3repE0EEENS1_52radix_sort_onesweep_histogram_config_static_selectorELNS0_4arch9wavefront6targetE1EEEvSL_.kd
    .uniform_work_group_size: 1
    .uses_dynamic_stack: false
    .vgpr_count:     0
    .vgpr_spill_count: 0
    .wavefront_size: 64
  - .agpr_count:     0
    .args:
      - .offset:         0
        .size:           40
        .value_kind:     by_value
    .group_segment_fixed_size: 0
    .kernarg_segment_align: 8
    .kernarg_segment_size: 40
    .language:       OpenCL C
    .language_version:
      - 2
      - 0
    .max_flat_workgroup_size: 1024
    .name:           _ZN7rocprim17ROCPRIM_400000_NS6detail17trampoline_kernelINS0_14default_configENS1_35radix_sort_onesweep_config_selectorIjN6thrust23THRUST_200600_302600_NS5tupleIffNS6_9null_typeES8_S8_S8_S8_S8_S8_S8_EEEEZNS1_34radix_sort_onesweep_global_offsetsIS3_Lb0ENS6_6detail15normal_iteratorINS6_10device_ptrIjEEEENSD_INSE_IS9_EEEEjNS0_19identity_decomposerEEE10hipError_tT1_T2_PT3_SN_jT4_jjP12ihipStream_tbEUlT_E_NS1_11comp_targetILNS1_3genE5ELNS1_11target_archE942ELNS1_3gpuE9ELNS1_3repE0EEENS1_52radix_sort_onesweep_histogram_config_static_selectorELNS0_4arch9wavefront6targetE1EEEvSL_
    .private_segment_fixed_size: 0
    .sgpr_count:     4
    .sgpr_spill_count: 0
    .symbol:         _ZN7rocprim17ROCPRIM_400000_NS6detail17trampoline_kernelINS0_14default_configENS1_35radix_sort_onesweep_config_selectorIjN6thrust23THRUST_200600_302600_NS5tupleIffNS6_9null_typeES8_S8_S8_S8_S8_S8_S8_EEEEZNS1_34radix_sort_onesweep_global_offsetsIS3_Lb0ENS6_6detail15normal_iteratorINS6_10device_ptrIjEEEENSD_INSE_IS9_EEEEjNS0_19identity_decomposerEEE10hipError_tT1_T2_PT3_SN_jT4_jjP12ihipStream_tbEUlT_E_NS1_11comp_targetILNS1_3genE5ELNS1_11target_archE942ELNS1_3gpuE9ELNS1_3repE0EEENS1_52radix_sort_onesweep_histogram_config_static_selectorELNS0_4arch9wavefront6targetE1EEEvSL_.kd
    .uniform_work_group_size: 1
    .uses_dynamic_stack: false
    .vgpr_count:     0
    .vgpr_spill_count: 0
    .wavefront_size: 64
  - .agpr_count:     0
    .args:
      - .offset:         0
        .size:           40
        .value_kind:     by_value
    .group_segment_fixed_size: 0
    .kernarg_segment_align: 8
    .kernarg_segment_size: 40
    .language:       OpenCL C
    .language_version:
      - 2
      - 0
    .max_flat_workgroup_size: 512
    .name:           _ZN7rocprim17ROCPRIM_400000_NS6detail17trampoline_kernelINS0_14default_configENS1_35radix_sort_onesweep_config_selectorIjN6thrust23THRUST_200600_302600_NS5tupleIffNS6_9null_typeES8_S8_S8_S8_S8_S8_S8_EEEEZNS1_34radix_sort_onesweep_global_offsetsIS3_Lb0ENS6_6detail15normal_iteratorINS6_10device_ptrIjEEEENSD_INSE_IS9_EEEEjNS0_19identity_decomposerEEE10hipError_tT1_T2_PT3_SN_jT4_jjP12ihipStream_tbEUlT_E_NS1_11comp_targetILNS1_3genE2ELNS1_11target_archE906ELNS1_3gpuE6ELNS1_3repE0EEENS1_52radix_sort_onesweep_histogram_config_static_selectorELNS0_4arch9wavefront6targetE1EEEvSL_
    .private_segment_fixed_size: 0
    .sgpr_count:     4
    .sgpr_spill_count: 0
    .symbol:         _ZN7rocprim17ROCPRIM_400000_NS6detail17trampoline_kernelINS0_14default_configENS1_35radix_sort_onesweep_config_selectorIjN6thrust23THRUST_200600_302600_NS5tupleIffNS6_9null_typeES8_S8_S8_S8_S8_S8_S8_EEEEZNS1_34radix_sort_onesweep_global_offsetsIS3_Lb0ENS6_6detail15normal_iteratorINS6_10device_ptrIjEEEENSD_INSE_IS9_EEEEjNS0_19identity_decomposerEEE10hipError_tT1_T2_PT3_SN_jT4_jjP12ihipStream_tbEUlT_E_NS1_11comp_targetILNS1_3genE2ELNS1_11target_archE906ELNS1_3gpuE6ELNS1_3repE0EEENS1_52radix_sort_onesweep_histogram_config_static_selectorELNS0_4arch9wavefront6targetE1EEEvSL_.kd
    .uniform_work_group_size: 1
    .uses_dynamic_stack: false
    .vgpr_count:     0
    .vgpr_spill_count: 0
    .wavefront_size: 64
  - .agpr_count:     0
    .args:
      - .offset:         0
        .size:           40
        .value_kind:     by_value
    .group_segment_fixed_size: 16384
    .kernarg_segment_align: 8
    .kernarg_segment_size: 40
    .language:       OpenCL C
    .language_version:
      - 2
      - 0
    .max_flat_workgroup_size: 512
    .name:           _ZN7rocprim17ROCPRIM_400000_NS6detail17trampoline_kernelINS0_14default_configENS1_35radix_sort_onesweep_config_selectorIjN6thrust23THRUST_200600_302600_NS5tupleIffNS6_9null_typeES8_S8_S8_S8_S8_S8_S8_EEEEZNS1_34radix_sort_onesweep_global_offsetsIS3_Lb0ENS6_6detail15normal_iteratorINS6_10device_ptrIjEEEENSD_INSE_IS9_EEEEjNS0_19identity_decomposerEEE10hipError_tT1_T2_PT3_SN_jT4_jjP12ihipStream_tbEUlT_E_NS1_11comp_targetILNS1_3genE4ELNS1_11target_archE910ELNS1_3gpuE8ELNS1_3repE0EEENS1_52radix_sort_onesweep_histogram_config_static_selectorELNS0_4arch9wavefront6targetE1EEEvSL_
    .private_segment_fixed_size: 0
    .sgpr_count:     23
    .sgpr_spill_count: 0
    .symbol:         _ZN7rocprim17ROCPRIM_400000_NS6detail17trampoline_kernelINS0_14default_configENS1_35radix_sort_onesweep_config_selectorIjN6thrust23THRUST_200600_302600_NS5tupleIffNS6_9null_typeES8_S8_S8_S8_S8_S8_S8_EEEEZNS1_34radix_sort_onesweep_global_offsetsIS3_Lb0ENS6_6detail15normal_iteratorINS6_10device_ptrIjEEEENSD_INSE_IS9_EEEEjNS0_19identity_decomposerEEE10hipError_tT1_T2_PT3_SN_jT4_jjP12ihipStream_tbEUlT_E_NS1_11comp_targetILNS1_3genE4ELNS1_11target_archE910ELNS1_3gpuE8ELNS1_3repE0EEENS1_52radix_sort_onesweep_histogram_config_static_selectorELNS0_4arch9wavefront6targetE1EEEvSL_.kd
    .uniform_work_group_size: 1
    .uses_dynamic_stack: false
    .vgpr_count:     35
    .vgpr_spill_count: 0
    .wavefront_size: 64
  - .agpr_count:     0
    .args:
      - .offset:         0
        .size:           40
        .value_kind:     by_value
    .group_segment_fixed_size: 0
    .kernarg_segment_align: 8
    .kernarg_segment_size: 40
    .language:       OpenCL C
    .language_version:
      - 2
      - 0
    .max_flat_workgroup_size: 512
    .name:           _ZN7rocprim17ROCPRIM_400000_NS6detail17trampoline_kernelINS0_14default_configENS1_35radix_sort_onesweep_config_selectorIjN6thrust23THRUST_200600_302600_NS5tupleIffNS6_9null_typeES8_S8_S8_S8_S8_S8_S8_EEEEZNS1_34radix_sort_onesweep_global_offsetsIS3_Lb0ENS6_6detail15normal_iteratorINS6_10device_ptrIjEEEENSD_INSE_IS9_EEEEjNS0_19identity_decomposerEEE10hipError_tT1_T2_PT3_SN_jT4_jjP12ihipStream_tbEUlT_E_NS1_11comp_targetILNS1_3genE3ELNS1_11target_archE908ELNS1_3gpuE7ELNS1_3repE0EEENS1_52radix_sort_onesweep_histogram_config_static_selectorELNS0_4arch9wavefront6targetE1EEEvSL_
    .private_segment_fixed_size: 0
    .sgpr_count:     4
    .sgpr_spill_count: 0
    .symbol:         _ZN7rocprim17ROCPRIM_400000_NS6detail17trampoline_kernelINS0_14default_configENS1_35radix_sort_onesweep_config_selectorIjN6thrust23THRUST_200600_302600_NS5tupleIffNS6_9null_typeES8_S8_S8_S8_S8_S8_S8_EEEEZNS1_34radix_sort_onesweep_global_offsetsIS3_Lb0ENS6_6detail15normal_iteratorINS6_10device_ptrIjEEEENSD_INSE_IS9_EEEEjNS0_19identity_decomposerEEE10hipError_tT1_T2_PT3_SN_jT4_jjP12ihipStream_tbEUlT_E_NS1_11comp_targetILNS1_3genE3ELNS1_11target_archE908ELNS1_3gpuE7ELNS1_3repE0EEENS1_52radix_sort_onesweep_histogram_config_static_selectorELNS0_4arch9wavefront6targetE1EEEvSL_.kd
    .uniform_work_group_size: 1
    .uses_dynamic_stack: false
    .vgpr_count:     0
    .vgpr_spill_count: 0
    .wavefront_size: 64
  - .agpr_count:     0
    .args:
      - .offset:         0
        .size:           40
        .value_kind:     by_value
    .group_segment_fixed_size: 0
    .kernarg_segment_align: 8
    .kernarg_segment_size: 40
    .language:       OpenCL C
    .language_version:
      - 2
      - 0
    .max_flat_workgroup_size: 1024
    .name:           _ZN7rocprim17ROCPRIM_400000_NS6detail17trampoline_kernelINS0_14default_configENS1_35radix_sort_onesweep_config_selectorIjN6thrust23THRUST_200600_302600_NS5tupleIffNS6_9null_typeES8_S8_S8_S8_S8_S8_S8_EEEEZNS1_34radix_sort_onesweep_global_offsetsIS3_Lb0ENS6_6detail15normal_iteratorINS6_10device_ptrIjEEEENSD_INSE_IS9_EEEEjNS0_19identity_decomposerEEE10hipError_tT1_T2_PT3_SN_jT4_jjP12ihipStream_tbEUlT_E_NS1_11comp_targetILNS1_3genE10ELNS1_11target_archE1201ELNS1_3gpuE5ELNS1_3repE0EEENS1_52radix_sort_onesweep_histogram_config_static_selectorELNS0_4arch9wavefront6targetE1EEEvSL_
    .private_segment_fixed_size: 0
    .sgpr_count:     4
    .sgpr_spill_count: 0
    .symbol:         _ZN7rocprim17ROCPRIM_400000_NS6detail17trampoline_kernelINS0_14default_configENS1_35radix_sort_onesweep_config_selectorIjN6thrust23THRUST_200600_302600_NS5tupleIffNS6_9null_typeES8_S8_S8_S8_S8_S8_S8_EEEEZNS1_34radix_sort_onesweep_global_offsetsIS3_Lb0ENS6_6detail15normal_iteratorINS6_10device_ptrIjEEEENSD_INSE_IS9_EEEEjNS0_19identity_decomposerEEE10hipError_tT1_T2_PT3_SN_jT4_jjP12ihipStream_tbEUlT_E_NS1_11comp_targetILNS1_3genE10ELNS1_11target_archE1201ELNS1_3gpuE5ELNS1_3repE0EEENS1_52radix_sort_onesweep_histogram_config_static_selectorELNS0_4arch9wavefront6targetE1EEEvSL_.kd
    .uniform_work_group_size: 1
    .uses_dynamic_stack: false
    .vgpr_count:     0
    .vgpr_spill_count: 0
    .wavefront_size: 64
  - .agpr_count:     0
    .args:
      - .offset:         0
        .size:           40
        .value_kind:     by_value
    .group_segment_fixed_size: 0
    .kernarg_segment_align: 8
    .kernarg_segment_size: 40
    .language:       OpenCL C
    .language_version:
      - 2
      - 0
    .max_flat_workgroup_size: 1024
    .name:           _ZN7rocprim17ROCPRIM_400000_NS6detail17trampoline_kernelINS0_14default_configENS1_35radix_sort_onesweep_config_selectorIjN6thrust23THRUST_200600_302600_NS5tupleIffNS6_9null_typeES8_S8_S8_S8_S8_S8_S8_EEEEZNS1_34radix_sort_onesweep_global_offsetsIS3_Lb0ENS6_6detail15normal_iteratorINS6_10device_ptrIjEEEENSD_INSE_IS9_EEEEjNS0_19identity_decomposerEEE10hipError_tT1_T2_PT3_SN_jT4_jjP12ihipStream_tbEUlT_E_NS1_11comp_targetILNS1_3genE9ELNS1_11target_archE1100ELNS1_3gpuE3ELNS1_3repE0EEENS1_52radix_sort_onesweep_histogram_config_static_selectorELNS0_4arch9wavefront6targetE1EEEvSL_
    .private_segment_fixed_size: 0
    .sgpr_count:     4
    .sgpr_spill_count: 0
    .symbol:         _ZN7rocprim17ROCPRIM_400000_NS6detail17trampoline_kernelINS0_14default_configENS1_35radix_sort_onesweep_config_selectorIjN6thrust23THRUST_200600_302600_NS5tupleIffNS6_9null_typeES8_S8_S8_S8_S8_S8_S8_EEEEZNS1_34radix_sort_onesweep_global_offsetsIS3_Lb0ENS6_6detail15normal_iteratorINS6_10device_ptrIjEEEENSD_INSE_IS9_EEEEjNS0_19identity_decomposerEEE10hipError_tT1_T2_PT3_SN_jT4_jjP12ihipStream_tbEUlT_E_NS1_11comp_targetILNS1_3genE9ELNS1_11target_archE1100ELNS1_3gpuE3ELNS1_3repE0EEENS1_52radix_sort_onesweep_histogram_config_static_selectorELNS0_4arch9wavefront6targetE1EEEvSL_.kd
    .uniform_work_group_size: 1
    .uses_dynamic_stack: false
    .vgpr_count:     0
    .vgpr_spill_count: 0
    .wavefront_size: 64
  - .agpr_count:     0
    .args:
      - .offset:         0
        .size:           40
        .value_kind:     by_value
    .group_segment_fixed_size: 0
    .kernarg_segment_align: 8
    .kernarg_segment_size: 40
    .language:       OpenCL C
    .language_version:
      - 2
      - 0
    .max_flat_workgroup_size: 1024
    .name:           _ZN7rocprim17ROCPRIM_400000_NS6detail17trampoline_kernelINS0_14default_configENS1_35radix_sort_onesweep_config_selectorIjN6thrust23THRUST_200600_302600_NS5tupleIffNS6_9null_typeES8_S8_S8_S8_S8_S8_S8_EEEEZNS1_34radix_sort_onesweep_global_offsetsIS3_Lb0ENS6_6detail15normal_iteratorINS6_10device_ptrIjEEEENSD_INSE_IS9_EEEEjNS0_19identity_decomposerEEE10hipError_tT1_T2_PT3_SN_jT4_jjP12ihipStream_tbEUlT_E_NS1_11comp_targetILNS1_3genE8ELNS1_11target_archE1030ELNS1_3gpuE2ELNS1_3repE0EEENS1_52radix_sort_onesweep_histogram_config_static_selectorELNS0_4arch9wavefront6targetE1EEEvSL_
    .private_segment_fixed_size: 0
    .sgpr_count:     4
    .sgpr_spill_count: 0
    .symbol:         _ZN7rocprim17ROCPRIM_400000_NS6detail17trampoline_kernelINS0_14default_configENS1_35radix_sort_onesweep_config_selectorIjN6thrust23THRUST_200600_302600_NS5tupleIffNS6_9null_typeES8_S8_S8_S8_S8_S8_S8_EEEEZNS1_34radix_sort_onesweep_global_offsetsIS3_Lb0ENS6_6detail15normal_iteratorINS6_10device_ptrIjEEEENSD_INSE_IS9_EEEEjNS0_19identity_decomposerEEE10hipError_tT1_T2_PT3_SN_jT4_jjP12ihipStream_tbEUlT_E_NS1_11comp_targetILNS1_3genE8ELNS1_11target_archE1030ELNS1_3gpuE2ELNS1_3repE0EEENS1_52radix_sort_onesweep_histogram_config_static_selectorELNS0_4arch9wavefront6targetE1EEEvSL_.kd
    .uniform_work_group_size: 1
    .uses_dynamic_stack: false
    .vgpr_count:     0
    .vgpr_spill_count: 0
    .wavefront_size: 64
  - .agpr_count:     0
    .args:
      - .address_space:  global
        .offset:         0
        .size:           8
        .value_kind:     global_buffer
    .group_segment_fixed_size: 0
    .kernarg_segment_align: 8
    .kernarg_segment_size: 8
    .language:       OpenCL C
    .language_version:
      - 2
      - 0
    .max_flat_workgroup_size: 512
    .name:           _ZN7rocprim17ROCPRIM_400000_NS6detail17trampoline_kernelINS0_14default_configENS1_35radix_sort_onesweep_config_selectorIjN6thrust23THRUST_200600_302600_NS5tupleIffNS6_9null_typeES8_S8_S8_S8_S8_S8_S8_EEEEZNS1_34radix_sort_onesweep_global_offsetsIS3_Lb0ENS6_6detail15normal_iteratorINS6_10device_ptrIjEEEENSD_INSE_IS9_EEEEjNS0_19identity_decomposerEEE10hipError_tT1_T2_PT3_SN_jT4_jjP12ihipStream_tbEUlT_E0_NS1_11comp_targetILNS1_3genE0ELNS1_11target_archE4294967295ELNS1_3gpuE0ELNS1_3repE0EEENS1_52radix_sort_onesweep_histogram_config_static_selectorELNS0_4arch9wavefront6targetE1EEEvSL_
    .private_segment_fixed_size: 0
    .sgpr_count:     4
    .sgpr_spill_count: 0
    .symbol:         _ZN7rocprim17ROCPRIM_400000_NS6detail17trampoline_kernelINS0_14default_configENS1_35radix_sort_onesweep_config_selectorIjN6thrust23THRUST_200600_302600_NS5tupleIffNS6_9null_typeES8_S8_S8_S8_S8_S8_S8_EEEEZNS1_34radix_sort_onesweep_global_offsetsIS3_Lb0ENS6_6detail15normal_iteratorINS6_10device_ptrIjEEEENSD_INSE_IS9_EEEEjNS0_19identity_decomposerEEE10hipError_tT1_T2_PT3_SN_jT4_jjP12ihipStream_tbEUlT_E0_NS1_11comp_targetILNS1_3genE0ELNS1_11target_archE4294967295ELNS1_3gpuE0ELNS1_3repE0EEENS1_52radix_sort_onesweep_histogram_config_static_selectorELNS0_4arch9wavefront6targetE1EEEvSL_.kd
    .uniform_work_group_size: 1
    .uses_dynamic_stack: false
    .vgpr_count:     0
    .vgpr_spill_count: 0
    .wavefront_size: 64
  - .agpr_count:     0
    .args:
      - .address_space:  global
        .offset:         0
        .size:           8
        .value_kind:     global_buffer
    .group_segment_fixed_size: 0
    .kernarg_segment_align: 8
    .kernarg_segment_size: 8
    .language:       OpenCL C
    .language_version:
      - 2
      - 0
    .max_flat_workgroup_size: 1024
    .name:           _ZN7rocprim17ROCPRIM_400000_NS6detail17trampoline_kernelINS0_14default_configENS1_35radix_sort_onesweep_config_selectorIjN6thrust23THRUST_200600_302600_NS5tupleIffNS6_9null_typeES8_S8_S8_S8_S8_S8_S8_EEEEZNS1_34radix_sort_onesweep_global_offsetsIS3_Lb0ENS6_6detail15normal_iteratorINS6_10device_ptrIjEEEENSD_INSE_IS9_EEEEjNS0_19identity_decomposerEEE10hipError_tT1_T2_PT3_SN_jT4_jjP12ihipStream_tbEUlT_E0_NS1_11comp_targetILNS1_3genE6ELNS1_11target_archE950ELNS1_3gpuE13ELNS1_3repE0EEENS1_52radix_sort_onesweep_histogram_config_static_selectorELNS0_4arch9wavefront6targetE1EEEvSL_
    .private_segment_fixed_size: 0
    .sgpr_count:     4
    .sgpr_spill_count: 0
    .symbol:         _ZN7rocprim17ROCPRIM_400000_NS6detail17trampoline_kernelINS0_14default_configENS1_35radix_sort_onesweep_config_selectorIjN6thrust23THRUST_200600_302600_NS5tupleIffNS6_9null_typeES8_S8_S8_S8_S8_S8_S8_EEEEZNS1_34radix_sort_onesweep_global_offsetsIS3_Lb0ENS6_6detail15normal_iteratorINS6_10device_ptrIjEEEENSD_INSE_IS9_EEEEjNS0_19identity_decomposerEEE10hipError_tT1_T2_PT3_SN_jT4_jjP12ihipStream_tbEUlT_E0_NS1_11comp_targetILNS1_3genE6ELNS1_11target_archE950ELNS1_3gpuE13ELNS1_3repE0EEENS1_52radix_sort_onesweep_histogram_config_static_selectorELNS0_4arch9wavefront6targetE1EEEvSL_.kd
    .uniform_work_group_size: 1
    .uses_dynamic_stack: false
    .vgpr_count:     0
    .vgpr_spill_count: 0
    .wavefront_size: 64
  - .agpr_count:     0
    .args:
      - .address_space:  global
        .offset:         0
        .size:           8
        .value_kind:     global_buffer
    .group_segment_fixed_size: 0
    .kernarg_segment_align: 8
    .kernarg_segment_size: 8
    .language:       OpenCL C
    .language_version:
      - 2
      - 0
    .max_flat_workgroup_size: 1024
    .name:           _ZN7rocprim17ROCPRIM_400000_NS6detail17trampoline_kernelINS0_14default_configENS1_35radix_sort_onesweep_config_selectorIjN6thrust23THRUST_200600_302600_NS5tupleIffNS6_9null_typeES8_S8_S8_S8_S8_S8_S8_EEEEZNS1_34radix_sort_onesweep_global_offsetsIS3_Lb0ENS6_6detail15normal_iteratorINS6_10device_ptrIjEEEENSD_INSE_IS9_EEEEjNS0_19identity_decomposerEEE10hipError_tT1_T2_PT3_SN_jT4_jjP12ihipStream_tbEUlT_E0_NS1_11comp_targetILNS1_3genE5ELNS1_11target_archE942ELNS1_3gpuE9ELNS1_3repE0EEENS1_52radix_sort_onesweep_histogram_config_static_selectorELNS0_4arch9wavefront6targetE1EEEvSL_
    .private_segment_fixed_size: 0
    .sgpr_count:     4
    .sgpr_spill_count: 0
    .symbol:         _ZN7rocprim17ROCPRIM_400000_NS6detail17trampoline_kernelINS0_14default_configENS1_35radix_sort_onesweep_config_selectorIjN6thrust23THRUST_200600_302600_NS5tupleIffNS6_9null_typeES8_S8_S8_S8_S8_S8_S8_EEEEZNS1_34radix_sort_onesweep_global_offsetsIS3_Lb0ENS6_6detail15normal_iteratorINS6_10device_ptrIjEEEENSD_INSE_IS9_EEEEjNS0_19identity_decomposerEEE10hipError_tT1_T2_PT3_SN_jT4_jjP12ihipStream_tbEUlT_E0_NS1_11comp_targetILNS1_3genE5ELNS1_11target_archE942ELNS1_3gpuE9ELNS1_3repE0EEENS1_52radix_sort_onesweep_histogram_config_static_selectorELNS0_4arch9wavefront6targetE1EEEvSL_.kd
    .uniform_work_group_size: 1
    .uses_dynamic_stack: false
    .vgpr_count:     0
    .vgpr_spill_count: 0
    .wavefront_size: 64
  - .agpr_count:     0
    .args:
      - .address_space:  global
        .offset:         0
        .size:           8
        .value_kind:     global_buffer
    .group_segment_fixed_size: 0
    .kernarg_segment_align: 8
    .kernarg_segment_size: 8
    .language:       OpenCL C
    .language_version:
      - 2
      - 0
    .max_flat_workgroup_size: 512
    .name:           _ZN7rocprim17ROCPRIM_400000_NS6detail17trampoline_kernelINS0_14default_configENS1_35radix_sort_onesweep_config_selectorIjN6thrust23THRUST_200600_302600_NS5tupleIffNS6_9null_typeES8_S8_S8_S8_S8_S8_S8_EEEEZNS1_34radix_sort_onesweep_global_offsetsIS3_Lb0ENS6_6detail15normal_iteratorINS6_10device_ptrIjEEEENSD_INSE_IS9_EEEEjNS0_19identity_decomposerEEE10hipError_tT1_T2_PT3_SN_jT4_jjP12ihipStream_tbEUlT_E0_NS1_11comp_targetILNS1_3genE2ELNS1_11target_archE906ELNS1_3gpuE6ELNS1_3repE0EEENS1_52radix_sort_onesweep_histogram_config_static_selectorELNS0_4arch9wavefront6targetE1EEEvSL_
    .private_segment_fixed_size: 0
    .sgpr_count:     4
    .sgpr_spill_count: 0
    .symbol:         _ZN7rocprim17ROCPRIM_400000_NS6detail17trampoline_kernelINS0_14default_configENS1_35radix_sort_onesweep_config_selectorIjN6thrust23THRUST_200600_302600_NS5tupleIffNS6_9null_typeES8_S8_S8_S8_S8_S8_S8_EEEEZNS1_34radix_sort_onesweep_global_offsetsIS3_Lb0ENS6_6detail15normal_iteratorINS6_10device_ptrIjEEEENSD_INSE_IS9_EEEEjNS0_19identity_decomposerEEE10hipError_tT1_T2_PT3_SN_jT4_jjP12ihipStream_tbEUlT_E0_NS1_11comp_targetILNS1_3genE2ELNS1_11target_archE906ELNS1_3gpuE6ELNS1_3repE0EEENS1_52radix_sort_onesweep_histogram_config_static_selectorELNS0_4arch9wavefront6targetE1EEEvSL_.kd
    .uniform_work_group_size: 1
    .uses_dynamic_stack: false
    .vgpr_count:     0
    .vgpr_spill_count: 0
    .wavefront_size: 64
  - .agpr_count:     0
    .args:
      - .address_space:  global
        .offset:         0
        .size:           8
        .value_kind:     global_buffer
    .group_segment_fixed_size: 32
    .kernarg_segment_align: 8
    .kernarg_segment_size: 8
    .language:       OpenCL C
    .language_version:
      - 2
      - 0
    .max_flat_workgroup_size: 512
    .name:           _ZN7rocprim17ROCPRIM_400000_NS6detail17trampoline_kernelINS0_14default_configENS1_35radix_sort_onesweep_config_selectorIjN6thrust23THRUST_200600_302600_NS5tupleIffNS6_9null_typeES8_S8_S8_S8_S8_S8_S8_EEEEZNS1_34radix_sort_onesweep_global_offsetsIS3_Lb0ENS6_6detail15normal_iteratorINS6_10device_ptrIjEEEENSD_INSE_IS9_EEEEjNS0_19identity_decomposerEEE10hipError_tT1_T2_PT3_SN_jT4_jjP12ihipStream_tbEUlT_E0_NS1_11comp_targetILNS1_3genE4ELNS1_11target_archE910ELNS1_3gpuE8ELNS1_3repE0EEENS1_52radix_sort_onesweep_histogram_config_static_selectorELNS0_4arch9wavefront6targetE1EEEvSL_
    .private_segment_fixed_size: 0
    .sgpr_count:     11
    .sgpr_spill_count: 0
    .symbol:         _ZN7rocprim17ROCPRIM_400000_NS6detail17trampoline_kernelINS0_14default_configENS1_35radix_sort_onesweep_config_selectorIjN6thrust23THRUST_200600_302600_NS5tupleIffNS6_9null_typeES8_S8_S8_S8_S8_S8_S8_EEEEZNS1_34radix_sort_onesweep_global_offsetsIS3_Lb0ENS6_6detail15normal_iteratorINS6_10device_ptrIjEEEENSD_INSE_IS9_EEEEjNS0_19identity_decomposerEEE10hipError_tT1_T2_PT3_SN_jT4_jjP12ihipStream_tbEUlT_E0_NS1_11comp_targetILNS1_3genE4ELNS1_11target_archE910ELNS1_3gpuE8ELNS1_3repE0EEENS1_52radix_sort_onesweep_histogram_config_static_selectorELNS0_4arch9wavefront6targetE1EEEvSL_.kd
    .uniform_work_group_size: 1
    .uses_dynamic_stack: false
    .vgpr_count:     8
    .vgpr_spill_count: 0
    .wavefront_size: 64
  - .agpr_count:     0
    .args:
      - .address_space:  global
        .offset:         0
        .size:           8
        .value_kind:     global_buffer
    .group_segment_fixed_size: 0
    .kernarg_segment_align: 8
    .kernarg_segment_size: 8
    .language:       OpenCL C
    .language_version:
      - 2
      - 0
    .max_flat_workgroup_size: 512
    .name:           _ZN7rocprim17ROCPRIM_400000_NS6detail17trampoline_kernelINS0_14default_configENS1_35radix_sort_onesweep_config_selectorIjN6thrust23THRUST_200600_302600_NS5tupleIffNS6_9null_typeES8_S8_S8_S8_S8_S8_S8_EEEEZNS1_34radix_sort_onesweep_global_offsetsIS3_Lb0ENS6_6detail15normal_iteratorINS6_10device_ptrIjEEEENSD_INSE_IS9_EEEEjNS0_19identity_decomposerEEE10hipError_tT1_T2_PT3_SN_jT4_jjP12ihipStream_tbEUlT_E0_NS1_11comp_targetILNS1_3genE3ELNS1_11target_archE908ELNS1_3gpuE7ELNS1_3repE0EEENS1_52radix_sort_onesweep_histogram_config_static_selectorELNS0_4arch9wavefront6targetE1EEEvSL_
    .private_segment_fixed_size: 0
    .sgpr_count:     4
    .sgpr_spill_count: 0
    .symbol:         _ZN7rocprim17ROCPRIM_400000_NS6detail17trampoline_kernelINS0_14default_configENS1_35radix_sort_onesweep_config_selectorIjN6thrust23THRUST_200600_302600_NS5tupleIffNS6_9null_typeES8_S8_S8_S8_S8_S8_S8_EEEEZNS1_34radix_sort_onesweep_global_offsetsIS3_Lb0ENS6_6detail15normal_iteratorINS6_10device_ptrIjEEEENSD_INSE_IS9_EEEEjNS0_19identity_decomposerEEE10hipError_tT1_T2_PT3_SN_jT4_jjP12ihipStream_tbEUlT_E0_NS1_11comp_targetILNS1_3genE3ELNS1_11target_archE908ELNS1_3gpuE7ELNS1_3repE0EEENS1_52radix_sort_onesweep_histogram_config_static_selectorELNS0_4arch9wavefront6targetE1EEEvSL_.kd
    .uniform_work_group_size: 1
    .uses_dynamic_stack: false
    .vgpr_count:     0
    .vgpr_spill_count: 0
    .wavefront_size: 64
  - .agpr_count:     0
    .args:
      - .address_space:  global
        .offset:         0
        .size:           8
        .value_kind:     global_buffer
    .group_segment_fixed_size: 0
    .kernarg_segment_align: 8
    .kernarg_segment_size: 8
    .language:       OpenCL C
    .language_version:
      - 2
      - 0
    .max_flat_workgroup_size: 1024
    .name:           _ZN7rocprim17ROCPRIM_400000_NS6detail17trampoline_kernelINS0_14default_configENS1_35radix_sort_onesweep_config_selectorIjN6thrust23THRUST_200600_302600_NS5tupleIffNS6_9null_typeES8_S8_S8_S8_S8_S8_S8_EEEEZNS1_34radix_sort_onesweep_global_offsetsIS3_Lb0ENS6_6detail15normal_iteratorINS6_10device_ptrIjEEEENSD_INSE_IS9_EEEEjNS0_19identity_decomposerEEE10hipError_tT1_T2_PT3_SN_jT4_jjP12ihipStream_tbEUlT_E0_NS1_11comp_targetILNS1_3genE10ELNS1_11target_archE1201ELNS1_3gpuE5ELNS1_3repE0EEENS1_52radix_sort_onesweep_histogram_config_static_selectorELNS0_4arch9wavefront6targetE1EEEvSL_
    .private_segment_fixed_size: 0
    .sgpr_count:     4
    .sgpr_spill_count: 0
    .symbol:         _ZN7rocprim17ROCPRIM_400000_NS6detail17trampoline_kernelINS0_14default_configENS1_35radix_sort_onesweep_config_selectorIjN6thrust23THRUST_200600_302600_NS5tupleIffNS6_9null_typeES8_S8_S8_S8_S8_S8_S8_EEEEZNS1_34radix_sort_onesweep_global_offsetsIS3_Lb0ENS6_6detail15normal_iteratorINS6_10device_ptrIjEEEENSD_INSE_IS9_EEEEjNS0_19identity_decomposerEEE10hipError_tT1_T2_PT3_SN_jT4_jjP12ihipStream_tbEUlT_E0_NS1_11comp_targetILNS1_3genE10ELNS1_11target_archE1201ELNS1_3gpuE5ELNS1_3repE0EEENS1_52radix_sort_onesweep_histogram_config_static_selectorELNS0_4arch9wavefront6targetE1EEEvSL_.kd
    .uniform_work_group_size: 1
    .uses_dynamic_stack: false
    .vgpr_count:     0
    .vgpr_spill_count: 0
    .wavefront_size: 64
  - .agpr_count:     0
    .args:
      - .address_space:  global
        .offset:         0
        .size:           8
        .value_kind:     global_buffer
    .group_segment_fixed_size: 0
    .kernarg_segment_align: 8
    .kernarg_segment_size: 8
    .language:       OpenCL C
    .language_version:
      - 2
      - 0
    .max_flat_workgroup_size: 1024
    .name:           _ZN7rocprim17ROCPRIM_400000_NS6detail17trampoline_kernelINS0_14default_configENS1_35radix_sort_onesweep_config_selectorIjN6thrust23THRUST_200600_302600_NS5tupleIffNS6_9null_typeES8_S8_S8_S8_S8_S8_S8_EEEEZNS1_34radix_sort_onesweep_global_offsetsIS3_Lb0ENS6_6detail15normal_iteratorINS6_10device_ptrIjEEEENSD_INSE_IS9_EEEEjNS0_19identity_decomposerEEE10hipError_tT1_T2_PT3_SN_jT4_jjP12ihipStream_tbEUlT_E0_NS1_11comp_targetILNS1_3genE9ELNS1_11target_archE1100ELNS1_3gpuE3ELNS1_3repE0EEENS1_52radix_sort_onesweep_histogram_config_static_selectorELNS0_4arch9wavefront6targetE1EEEvSL_
    .private_segment_fixed_size: 0
    .sgpr_count:     4
    .sgpr_spill_count: 0
    .symbol:         _ZN7rocprim17ROCPRIM_400000_NS6detail17trampoline_kernelINS0_14default_configENS1_35radix_sort_onesweep_config_selectorIjN6thrust23THRUST_200600_302600_NS5tupleIffNS6_9null_typeES8_S8_S8_S8_S8_S8_S8_EEEEZNS1_34radix_sort_onesweep_global_offsetsIS3_Lb0ENS6_6detail15normal_iteratorINS6_10device_ptrIjEEEENSD_INSE_IS9_EEEEjNS0_19identity_decomposerEEE10hipError_tT1_T2_PT3_SN_jT4_jjP12ihipStream_tbEUlT_E0_NS1_11comp_targetILNS1_3genE9ELNS1_11target_archE1100ELNS1_3gpuE3ELNS1_3repE0EEENS1_52radix_sort_onesweep_histogram_config_static_selectorELNS0_4arch9wavefront6targetE1EEEvSL_.kd
    .uniform_work_group_size: 1
    .uses_dynamic_stack: false
    .vgpr_count:     0
    .vgpr_spill_count: 0
    .wavefront_size: 64
  - .agpr_count:     0
    .args:
      - .address_space:  global
        .offset:         0
        .size:           8
        .value_kind:     global_buffer
    .group_segment_fixed_size: 0
    .kernarg_segment_align: 8
    .kernarg_segment_size: 8
    .language:       OpenCL C
    .language_version:
      - 2
      - 0
    .max_flat_workgroup_size: 1024
    .name:           _ZN7rocprim17ROCPRIM_400000_NS6detail17trampoline_kernelINS0_14default_configENS1_35radix_sort_onesweep_config_selectorIjN6thrust23THRUST_200600_302600_NS5tupleIffNS6_9null_typeES8_S8_S8_S8_S8_S8_S8_EEEEZNS1_34radix_sort_onesweep_global_offsetsIS3_Lb0ENS6_6detail15normal_iteratorINS6_10device_ptrIjEEEENSD_INSE_IS9_EEEEjNS0_19identity_decomposerEEE10hipError_tT1_T2_PT3_SN_jT4_jjP12ihipStream_tbEUlT_E0_NS1_11comp_targetILNS1_3genE8ELNS1_11target_archE1030ELNS1_3gpuE2ELNS1_3repE0EEENS1_52radix_sort_onesweep_histogram_config_static_selectorELNS0_4arch9wavefront6targetE1EEEvSL_
    .private_segment_fixed_size: 0
    .sgpr_count:     4
    .sgpr_spill_count: 0
    .symbol:         _ZN7rocprim17ROCPRIM_400000_NS6detail17trampoline_kernelINS0_14default_configENS1_35radix_sort_onesweep_config_selectorIjN6thrust23THRUST_200600_302600_NS5tupleIffNS6_9null_typeES8_S8_S8_S8_S8_S8_S8_EEEEZNS1_34radix_sort_onesweep_global_offsetsIS3_Lb0ENS6_6detail15normal_iteratorINS6_10device_ptrIjEEEENSD_INSE_IS9_EEEEjNS0_19identity_decomposerEEE10hipError_tT1_T2_PT3_SN_jT4_jjP12ihipStream_tbEUlT_E0_NS1_11comp_targetILNS1_3genE8ELNS1_11target_archE1030ELNS1_3gpuE2ELNS1_3repE0EEENS1_52radix_sort_onesweep_histogram_config_static_selectorELNS0_4arch9wavefront6targetE1EEEvSL_.kd
    .uniform_work_group_size: 1
    .uses_dynamic_stack: false
    .vgpr_count:     0
    .vgpr_spill_count: 0
    .wavefront_size: 64
  - .agpr_count:     0
    .args:
      - .offset:         0
        .size:           40
        .value_kind:     by_value
    .group_segment_fixed_size: 0
    .kernarg_segment_align: 8
    .kernarg_segment_size: 40
    .language:       OpenCL C
    .language_version:
      - 2
      - 0
    .max_flat_workgroup_size: 128
    .name:           _ZN7rocprim17ROCPRIM_400000_NS6detail17trampoline_kernelINS0_14default_configENS1_25transform_config_selectorIjLb0EEEZNS1_14transform_implILb0ES3_S5_N6thrust23THRUST_200600_302600_NS6detail15normal_iteratorINS8_10device_ptrIjEEEEPjNS0_8identityIjEEEE10hipError_tT2_T3_mT4_P12ihipStream_tbEUlT_E_NS1_11comp_targetILNS1_3genE0ELNS1_11target_archE4294967295ELNS1_3gpuE0ELNS1_3repE0EEENS1_30default_config_static_selectorELNS0_4arch9wavefront6targetE1EEEvT1_
    .private_segment_fixed_size: 0
    .sgpr_count:     4
    .sgpr_spill_count: 0
    .symbol:         _ZN7rocprim17ROCPRIM_400000_NS6detail17trampoline_kernelINS0_14default_configENS1_25transform_config_selectorIjLb0EEEZNS1_14transform_implILb0ES3_S5_N6thrust23THRUST_200600_302600_NS6detail15normal_iteratorINS8_10device_ptrIjEEEEPjNS0_8identityIjEEEE10hipError_tT2_T3_mT4_P12ihipStream_tbEUlT_E_NS1_11comp_targetILNS1_3genE0ELNS1_11target_archE4294967295ELNS1_3gpuE0ELNS1_3repE0EEENS1_30default_config_static_selectorELNS0_4arch9wavefront6targetE1EEEvT1_.kd
    .uniform_work_group_size: 1
    .uses_dynamic_stack: false
    .vgpr_count:     0
    .vgpr_spill_count: 0
    .wavefront_size: 64
  - .agpr_count:     0
    .args:
      - .offset:         0
        .size:           40
        .value_kind:     by_value
    .group_segment_fixed_size: 0
    .kernarg_segment_align: 8
    .kernarg_segment_size: 40
    .language:       OpenCL C
    .language_version:
      - 2
      - 0
    .max_flat_workgroup_size: 512
    .name:           _ZN7rocprim17ROCPRIM_400000_NS6detail17trampoline_kernelINS0_14default_configENS1_25transform_config_selectorIjLb0EEEZNS1_14transform_implILb0ES3_S5_N6thrust23THRUST_200600_302600_NS6detail15normal_iteratorINS8_10device_ptrIjEEEEPjNS0_8identityIjEEEE10hipError_tT2_T3_mT4_P12ihipStream_tbEUlT_E_NS1_11comp_targetILNS1_3genE5ELNS1_11target_archE942ELNS1_3gpuE9ELNS1_3repE0EEENS1_30default_config_static_selectorELNS0_4arch9wavefront6targetE1EEEvT1_
    .private_segment_fixed_size: 0
    .sgpr_count:     4
    .sgpr_spill_count: 0
    .symbol:         _ZN7rocprim17ROCPRIM_400000_NS6detail17trampoline_kernelINS0_14default_configENS1_25transform_config_selectorIjLb0EEEZNS1_14transform_implILb0ES3_S5_N6thrust23THRUST_200600_302600_NS6detail15normal_iteratorINS8_10device_ptrIjEEEEPjNS0_8identityIjEEEE10hipError_tT2_T3_mT4_P12ihipStream_tbEUlT_E_NS1_11comp_targetILNS1_3genE5ELNS1_11target_archE942ELNS1_3gpuE9ELNS1_3repE0EEENS1_30default_config_static_selectorELNS0_4arch9wavefront6targetE1EEEvT1_.kd
    .uniform_work_group_size: 1
    .uses_dynamic_stack: false
    .vgpr_count:     0
    .vgpr_spill_count: 0
    .wavefront_size: 64
  - .agpr_count:     0
    .args:
      - .offset:         0
        .size:           40
        .value_kind:     by_value
      - .offset:         40
        .size:           4
        .value_kind:     hidden_block_count_x
      - .offset:         44
        .size:           4
        .value_kind:     hidden_block_count_y
      - .offset:         48
        .size:           4
        .value_kind:     hidden_block_count_z
      - .offset:         52
        .size:           2
        .value_kind:     hidden_group_size_x
      - .offset:         54
        .size:           2
        .value_kind:     hidden_group_size_y
      - .offset:         56
        .size:           2
        .value_kind:     hidden_group_size_z
      - .offset:         58
        .size:           2
        .value_kind:     hidden_remainder_x
      - .offset:         60
        .size:           2
        .value_kind:     hidden_remainder_y
      - .offset:         62
        .size:           2
        .value_kind:     hidden_remainder_z
      - .offset:         80
        .size:           8
        .value_kind:     hidden_global_offset_x
      - .offset:         88
        .size:           8
        .value_kind:     hidden_global_offset_y
      - .offset:         96
        .size:           8
        .value_kind:     hidden_global_offset_z
      - .offset:         104
        .size:           2
        .value_kind:     hidden_grid_dims
    .group_segment_fixed_size: 0
    .kernarg_segment_align: 8
    .kernarg_segment_size: 296
    .language:       OpenCL C
    .language_version:
      - 2
      - 0
    .max_flat_workgroup_size: 1024
    .name:           _ZN7rocprim17ROCPRIM_400000_NS6detail17trampoline_kernelINS0_14default_configENS1_25transform_config_selectorIjLb0EEEZNS1_14transform_implILb0ES3_S5_N6thrust23THRUST_200600_302600_NS6detail15normal_iteratorINS8_10device_ptrIjEEEEPjNS0_8identityIjEEEE10hipError_tT2_T3_mT4_P12ihipStream_tbEUlT_E_NS1_11comp_targetILNS1_3genE4ELNS1_11target_archE910ELNS1_3gpuE8ELNS1_3repE0EEENS1_30default_config_static_selectorELNS0_4arch9wavefront6targetE1EEEvT1_
    .private_segment_fixed_size: 0
    .sgpr_count:     20
    .sgpr_spill_count: 0
    .symbol:         _ZN7rocprim17ROCPRIM_400000_NS6detail17trampoline_kernelINS0_14default_configENS1_25transform_config_selectorIjLb0EEEZNS1_14transform_implILb0ES3_S5_N6thrust23THRUST_200600_302600_NS6detail15normal_iteratorINS8_10device_ptrIjEEEEPjNS0_8identityIjEEEE10hipError_tT2_T3_mT4_P12ihipStream_tbEUlT_E_NS1_11comp_targetILNS1_3genE4ELNS1_11target_archE910ELNS1_3gpuE8ELNS1_3repE0EEENS1_30default_config_static_selectorELNS0_4arch9wavefront6targetE1EEEvT1_.kd
    .uniform_work_group_size: 1
    .uses_dynamic_stack: false
    .vgpr_count:     7
    .vgpr_spill_count: 0
    .wavefront_size: 64
  - .agpr_count:     0
    .args:
      - .offset:         0
        .size:           40
        .value_kind:     by_value
    .group_segment_fixed_size: 0
    .kernarg_segment_align: 8
    .kernarg_segment_size: 40
    .language:       OpenCL C
    .language_version:
      - 2
      - 0
    .max_flat_workgroup_size: 128
    .name:           _ZN7rocprim17ROCPRIM_400000_NS6detail17trampoline_kernelINS0_14default_configENS1_25transform_config_selectorIjLb0EEEZNS1_14transform_implILb0ES3_S5_N6thrust23THRUST_200600_302600_NS6detail15normal_iteratorINS8_10device_ptrIjEEEEPjNS0_8identityIjEEEE10hipError_tT2_T3_mT4_P12ihipStream_tbEUlT_E_NS1_11comp_targetILNS1_3genE3ELNS1_11target_archE908ELNS1_3gpuE7ELNS1_3repE0EEENS1_30default_config_static_selectorELNS0_4arch9wavefront6targetE1EEEvT1_
    .private_segment_fixed_size: 0
    .sgpr_count:     4
    .sgpr_spill_count: 0
    .symbol:         _ZN7rocprim17ROCPRIM_400000_NS6detail17trampoline_kernelINS0_14default_configENS1_25transform_config_selectorIjLb0EEEZNS1_14transform_implILb0ES3_S5_N6thrust23THRUST_200600_302600_NS6detail15normal_iteratorINS8_10device_ptrIjEEEEPjNS0_8identityIjEEEE10hipError_tT2_T3_mT4_P12ihipStream_tbEUlT_E_NS1_11comp_targetILNS1_3genE3ELNS1_11target_archE908ELNS1_3gpuE7ELNS1_3repE0EEENS1_30default_config_static_selectorELNS0_4arch9wavefront6targetE1EEEvT1_.kd
    .uniform_work_group_size: 1
    .uses_dynamic_stack: false
    .vgpr_count:     0
    .vgpr_spill_count: 0
    .wavefront_size: 64
  - .agpr_count:     0
    .args:
      - .offset:         0
        .size:           40
        .value_kind:     by_value
    .group_segment_fixed_size: 0
    .kernarg_segment_align: 8
    .kernarg_segment_size: 40
    .language:       OpenCL C
    .language_version:
      - 2
      - 0
    .max_flat_workgroup_size: 1024
    .name:           _ZN7rocprim17ROCPRIM_400000_NS6detail17trampoline_kernelINS0_14default_configENS1_25transform_config_selectorIjLb0EEEZNS1_14transform_implILb0ES3_S5_N6thrust23THRUST_200600_302600_NS6detail15normal_iteratorINS8_10device_ptrIjEEEEPjNS0_8identityIjEEEE10hipError_tT2_T3_mT4_P12ihipStream_tbEUlT_E_NS1_11comp_targetILNS1_3genE2ELNS1_11target_archE906ELNS1_3gpuE6ELNS1_3repE0EEENS1_30default_config_static_selectorELNS0_4arch9wavefront6targetE1EEEvT1_
    .private_segment_fixed_size: 0
    .sgpr_count:     4
    .sgpr_spill_count: 0
    .symbol:         _ZN7rocprim17ROCPRIM_400000_NS6detail17trampoline_kernelINS0_14default_configENS1_25transform_config_selectorIjLb0EEEZNS1_14transform_implILb0ES3_S5_N6thrust23THRUST_200600_302600_NS6detail15normal_iteratorINS8_10device_ptrIjEEEEPjNS0_8identityIjEEEE10hipError_tT2_T3_mT4_P12ihipStream_tbEUlT_E_NS1_11comp_targetILNS1_3genE2ELNS1_11target_archE906ELNS1_3gpuE6ELNS1_3repE0EEENS1_30default_config_static_selectorELNS0_4arch9wavefront6targetE1EEEvT1_.kd
    .uniform_work_group_size: 1
    .uses_dynamic_stack: false
    .vgpr_count:     0
    .vgpr_spill_count: 0
    .wavefront_size: 64
  - .agpr_count:     0
    .args:
      - .offset:         0
        .size:           40
        .value_kind:     by_value
    .group_segment_fixed_size: 0
    .kernarg_segment_align: 8
    .kernarg_segment_size: 40
    .language:       OpenCL C
    .language_version:
      - 2
      - 0
    .max_flat_workgroup_size: 1024
    .name:           _ZN7rocprim17ROCPRIM_400000_NS6detail17trampoline_kernelINS0_14default_configENS1_25transform_config_selectorIjLb0EEEZNS1_14transform_implILb0ES3_S5_N6thrust23THRUST_200600_302600_NS6detail15normal_iteratorINS8_10device_ptrIjEEEEPjNS0_8identityIjEEEE10hipError_tT2_T3_mT4_P12ihipStream_tbEUlT_E_NS1_11comp_targetILNS1_3genE10ELNS1_11target_archE1201ELNS1_3gpuE5ELNS1_3repE0EEENS1_30default_config_static_selectorELNS0_4arch9wavefront6targetE1EEEvT1_
    .private_segment_fixed_size: 0
    .sgpr_count:     4
    .sgpr_spill_count: 0
    .symbol:         _ZN7rocprim17ROCPRIM_400000_NS6detail17trampoline_kernelINS0_14default_configENS1_25transform_config_selectorIjLb0EEEZNS1_14transform_implILb0ES3_S5_N6thrust23THRUST_200600_302600_NS6detail15normal_iteratorINS8_10device_ptrIjEEEEPjNS0_8identityIjEEEE10hipError_tT2_T3_mT4_P12ihipStream_tbEUlT_E_NS1_11comp_targetILNS1_3genE10ELNS1_11target_archE1201ELNS1_3gpuE5ELNS1_3repE0EEENS1_30default_config_static_selectorELNS0_4arch9wavefront6targetE1EEEvT1_.kd
    .uniform_work_group_size: 1
    .uses_dynamic_stack: false
    .vgpr_count:     0
    .vgpr_spill_count: 0
    .wavefront_size: 64
  - .agpr_count:     0
    .args:
      - .offset:         0
        .size:           40
        .value_kind:     by_value
    .group_segment_fixed_size: 0
    .kernarg_segment_align: 8
    .kernarg_segment_size: 40
    .language:       OpenCL C
    .language_version:
      - 2
      - 0
    .max_flat_workgroup_size: 512
    .name:           _ZN7rocprim17ROCPRIM_400000_NS6detail17trampoline_kernelINS0_14default_configENS1_25transform_config_selectorIjLb0EEEZNS1_14transform_implILb0ES3_S5_N6thrust23THRUST_200600_302600_NS6detail15normal_iteratorINS8_10device_ptrIjEEEEPjNS0_8identityIjEEEE10hipError_tT2_T3_mT4_P12ihipStream_tbEUlT_E_NS1_11comp_targetILNS1_3genE10ELNS1_11target_archE1200ELNS1_3gpuE4ELNS1_3repE0EEENS1_30default_config_static_selectorELNS0_4arch9wavefront6targetE1EEEvT1_
    .private_segment_fixed_size: 0
    .sgpr_count:     4
    .sgpr_spill_count: 0
    .symbol:         _ZN7rocprim17ROCPRIM_400000_NS6detail17trampoline_kernelINS0_14default_configENS1_25transform_config_selectorIjLb0EEEZNS1_14transform_implILb0ES3_S5_N6thrust23THRUST_200600_302600_NS6detail15normal_iteratorINS8_10device_ptrIjEEEEPjNS0_8identityIjEEEE10hipError_tT2_T3_mT4_P12ihipStream_tbEUlT_E_NS1_11comp_targetILNS1_3genE10ELNS1_11target_archE1200ELNS1_3gpuE4ELNS1_3repE0EEENS1_30default_config_static_selectorELNS0_4arch9wavefront6targetE1EEEvT1_.kd
    .uniform_work_group_size: 1
    .uses_dynamic_stack: false
    .vgpr_count:     0
    .vgpr_spill_count: 0
    .wavefront_size: 64
  - .agpr_count:     0
    .args:
      - .offset:         0
        .size:           40
        .value_kind:     by_value
    .group_segment_fixed_size: 0
    .kernarg_segment_align: 8
    .kernarg_segment_size: 40
    .language:       OpenCL C
    .language_version:
      - 2
      - 0
    .max_flat_workgroup_size: 64
    .name:           _ZN7rocprim17ROCPRIM_400000_NS6detail17trampoline_kernelINS0_14default_configENS1_25transform_config_selectorIjLb0EEEZNS1_14transform_implILb0ES3_S5_N6thrust23THRUST_200600_302600_NS6detail15normal_iteratorINS8_10device_ptrIjEEEEPjNS0_8identityIjEEEE10hipError_tT2_T3_mT4_P12ihipStream_tbEUlT_E_NS1_11comp_targetILNS1_3genE9ELNS1_11target_archE1100ELNS1_3gpuE3ELNS1_3repE0EEENS1_30default_config_static_selectorELNS0_4arch9wavefront6targetE1EEEvT1_
    .private_segment_fixed_size: 0
    .sgpr_count:     4
    .sgpr_spill_count: 0
    .symbol:         _ZN7rocprim17ROCPRIM_400000_NS6detail17trampoline_kernelINS0_14default_configENS1_25transform_config_selectorIjLb0EEEZNS1_14transform_implILb0ES3_S5_N6thrust23THRUST_200600_302600_NS6detail15normal_iteratorINS8_10device_ptrIjEEEEPjNS0_8identityIjEEEE10hipError_tT2_T3_mT4_P12ihipStream_tbEUlT_E_NS1_11comp_targetILNS1_3genE9ELNS1_11target_archE1100ELNS1_3gpuE3ELNS1_3repE0EEENS1_30default_config_static_selectorELNS0_4arch9wavefront6targetE1EEEvT1_.kd
    .uniform_work_group_size: 1
    .uses_dynamic_stack: false
    .vgpr_count:     0
    .vgpr_spill_count: 0
    .wavefront_size: 64
  - .agpr_count:     0
    .args:
      - .offset:         0
        .size:           40
        .value_kind:     by_value
    .group_segment_fixed_size: 0
    .kernarg_segment_align: 8
    .kernarg_segment_size: 40
    .language:       OpenCL C
    .language_version:
      - 2
      - 0
    .max_flat_workgroup_size: 256
    .name:           _ZN7rocprim17ROCPRIM_400000_NS6detail17trampoline_kernelINS0_14default_configENS1_25transform_config_selectorIjLb0EEEZNS1_14transform_implILb0ES3_S5_N6thrust23THRUST_200600_302600_NS6detail15normal_iteratorINS8_10device_ptrIjEEEEPjNS0_8identityIjEEEE10hipError_tT2_T3_mT4_P12ihipStream_tbEUlT_E_NS1_11comp_targetILNS1_3genE8ELNS1_11target_archE1030ELNS1_3gpuE2ELNS1_3repE0EEENS1_30default_config_static_selectorELNS0_4arch9wavefront6targetE1EEEvT1_
    .private_segment_fixed_size: 0
    .sgpr_count:     4
    .sgpr_spill_count: 0
    .symbol:         _ZN7rocprim17ROCPRIM_400000_NS6detail17trampoline_kernelINS0_14default_configENS1_25transform_config_selectorIjLb0EEEZNS1_14transform_implILb0ES3_S5_N6thrust23THRUST_200600_302600_NS6detail15normal_iteratorINS8_10device_ptrIjEEEEPjNS0_8identityIjEEEE10hipError_tT2_T3_mT4_P12ihipStream_tbEUlT_E_NS1_11comp_targetILNS1_3genE8ELNS1_11target_archE1030ELNS1_3gpuE2ELNS1_3repE0EEENS1_30default_config_static_selectorELNS0_4arch9wavefront6targetE1EEEvT1_.kd
    .uniform_work_group_size: 1
    .uses_dynamic_stack: false
    .vgpr_count:     0
    .vgpr_spill_count: 0
    .wavefront_size: 64
  - .agpr_count:     0
    .args:
      - .offset:         0
        .size:           40
        .value_kind:     by_value
    .group_segment_fixed_size: 0
    .kernarg_segment_align: 8
    .kernarg_segment_size: 40
    .language:       OpenCL C
    .language_version:
      - 2
      - 0
    .max_flat_workgroup_size: 128
    .name:           _ZN7rocprim17ROCPRIM_400000_NS6detail17trampoline_kernelINS0_14default_configENS1_25transform_config_selectorIN6thrust23THRUST_200600_302600_NS5tupleIffNS6_9null_typeES8_S8_S8_S8_S8_S8_S8_EELb0EEEZNS1_14transform_implILb0ES3_SA_NS6_6detail15normal_iteratorINS6_10device_ptrIS9_EEEEPS9_NS0_8identityIS9_EEEE10hipError_tT2_T3_mT4_P12ihipStream_tbEUlT_E_NS1_11comp_targetILNS1_3genE0ELNS1_11target_archE4294967295ELNS1_3gpuE0ELNS1_3repE0EEENS1_30default_config_static_selectorELNS0_4arch9wavefront6targetE1EEEvT1_
    .private_segment_fixed_size: 0
    .sgpr_count:     4
    .sgpr_spill_count: 0
    .symbol:         _ZN7rocprim17ROCPRIM_400000_NS6detail17trampoline_kernelINS0_14default_configENS1_25transform_config_selectorIN6thrust23THRUST_200600_302600_NS5tupleIffNS6_9null_typeES8_S8_S8_S8_S8_S8_S8_EELb0EEEZNS1_14transform_implILb0ES3_SA_NS6_6detail15normal_iteratorINS6_10device_ptrIS9_EEEEPS9_NS0_8identityIS9_EEEE10hipError_tT2_T3_mT4_P12ihipStream_tbEUlT_E_NS1_11comp_targetILNS1_3genE0ELNS1_11target_archE4294967295ELNS1_3gpuE0ELNS1_3repE0EEENS1_30default_config_static_selectorELNS0_4arch9wavefront6targetE1EEEvT1_.kd
    .uniform_work_group_size: 1
    .uses_dynamic_stack: false
    .vgpr_count:     0
    .vgpr_spill_count: 0
    .wavefront_size: 64
  - .agpr_count:     0
    .args:
      - .offset:         0
        .size:           40
        .value_kind:     by_value
    .group_segment_fixed_size: 0
    .kernarg_segment_align: 8
    .kernarg_segment_size: 40
    .language:       OpenCL C
    .language_version:
      - 2
      - 0
    .max_flat_workgroup_size: 512
    .name:           _ZN7rocprim17ROCPRIM_400000_NS6detail17trampoline_kernelINS0_14default_configENS1_25transform_config_selectorIN6thrust23THRUST_200600_302600_NS5tupleIffNS6_9null_typeES8_S8_S8_S8_S8_S8_S8_EELb0EEEZNS1_14transform_implILb0ES3_SA_NS6_6detail15normal_iteratorINS6_10device_ptrIS9_EEEEPS9_NS0_8identityIS9_EEEE10hipError_tT2_T3_mT4_P12ihipStream_tbEUlT_E_NS1_11comp_targetILNS1_3genE5ELNS1_11target_archE942ELNS1_3gpuE9ELNS1_3repE0EEENS1_30default_config_static_selectorELNS0_4arch9wavefront6targetE1EEEvT1_
    .private_segment_fixed_size: 0
    .sgpr_count:     4
    .sgpr_spill_count: 0
    .symbol:         _ZN7rocprim17ROCPRIM_400000_NS6detail17trampoline_kernelINS0_14default_configENS1_25transform_config_selectorIN6thrust23THRUST_200600_302600_NS5tupleIffNS6_9null_typeES8_S8_S8_S8_S8_S8_S8_EELb0EEEZNS1_14transform_implILb0ES3_SA_NS6_6detail15normal_iteratorINS6_10device_ptrIS9_EEEEPS9_NS0_8identityIS9_EEEE10hipError_tT2_T3_mT4_P12ihipStream_tbEUlT_E_NS1_11comp_targetILNS1_3genE5ELNS1_11target_archE942ELNS1_3gpuE9ELNS1_3repE0EEENS1_30default_config_static_selectorELNS0_4arch9wavefront6targetE1EEEvT1_.kd
    .uniform_work_group_size: 1
    .uses_dynamic_stack: false
    .vgpr_count:     0
    .vgpr_spill_count: 0
    .wavefront_size: 64
  - .agpr_count:     0
    .args:
      - .offset:         0
        .size:           40
        .value_kind:     by_value
      - .offset:         40
        .size:           4
        .value_kind:     hidden_block_count_x
      - .offset:         44
        .size:           4
        .value_kind:     hidden_block_count_y
      - .offset:         48
        .size:           4
        .value_kind:     hidden_block_count_z
      - .offset:         52
        .size:           2
        .value_kind:     hidden_group_size_x
      - .offset:         54
        .size:           2
        .value_kind:     hidden_group_size_y
      - .offset:         56
        .size:           2
        .value_kind:     hidden_group_size_z
      - .offset:         58
        .size:           2
        .value_kind:     hidden_remainder_x
      - .offset:         60
        .size:           2
        .value_kind:     hidden_remainder_y
      - .offset:         62
        .size:           2
        .value_kind:     hidden_remainder_z
      - .offset:         80
        .size:           8
        .value_kind:     hidden_global_offset_x
      - .offset:         88
        .size:           8
        .value_kind:     hidden_global_offset_y
      - .offset:         96
        .size:           8
        .value_kind:     hidden_global_offset_z
      - .offset:         104
        .size:           2
        .value_kind:     hidden_grid_dims
    .group_segment_fixed_size: 0
    .kernarg_segment_align: 8
    .kernarg_segment_size: 296
    .language:       OpenCL C
    .language_version:
      - 2
      - 0
    .max_flat_workgroup_size: 256
    .name:           _ZN7rocprim17ROCPRIM_400000_NS6detail17trampoline_kernelINS0_14default_configENS1_25transform_config_selectorIN6thrust23THRUST_200600_302600_NS5tupleIffNS6_9null_typeES8_S8_S8_S8_S8_S8_S8_EELb0EEEZNS1_14transform_implILb0ES3_SA_NS6_6detail15normal_iteratorINS6_10device_ptrIS9_EEEEPS9_NS0_8identityIS9_EEEE10hipError_tT2_T3_mT4_P12ihipStream_tbEUlT_E_NS1_11comp_targetILNS1_3genE4ELNS1_11target_archE910ELNS1_3gpuE8ELNS1_3repE0EEENS1_30default_config_static_selectorELNS0_4arch9wavefront6targetE1EEEvT1_
    .private_segment_fixed_size: 0
    .sgpr_count:     20
    .sgpr_spill_count: 0
    .symbol:         _ZN7rocprim17ROCPRIM_400000_NS6detail17trampoline_kernelINS0_14default_configENS1_25transform_config_selectorIN6thrust23THRUST_200600_302600_NS5tupleIffNS6_9null_typeES8_S8_S8_S8_S8_S8_S8_EELb0EEEZNS1_14transform_implILb0ES3_SA_NS6_6detail15normal_iteratorINS6_10device_ptrIS9_EEEEPS9_NS0_8identityIS9_EEEE10hipError_tT2_T3_mT4_P12ihipStream_tbEUlT_E_NS1_11comp_targetILNS1_3genE4ELNS1_11target_archE910ELNS1_3gpuE8ELNS1_3repE0EEENS1_30default_config_static_selectorELNS0_4arch9wavefront6targetE1EEEvT1_.kd
    .uniform_work_group_size: 1
    .uses_dynamic_stack: false
    .vgpr_count:     10
    .vgpr_spill_count: 0
    .wavefront_size: 64
  - .agpr_count:     0
    .args:
      - .offset:         0
        .size:           40
        .value_kind:     by_value
    .group_segment_fixed_size: 0
    .kernarg_segment_align: 8
    .kernarg_segment_size: 40
    .language:       OpenCL C
    .language_version:
      - 2
      - 0
    .max_flat_workgroup_size: 128
    .name:           _ZN7rocprim17ROCPRIM_400000_NS6detail17trampoline_kernelINS0_14default_configENS1_25transform_config_selectorIN6thrust23THRUST_200600_302600_NS5tupleIffNS6_9null_typeES8_S8_S8_S8_S8_S8_S8_EELb0EEEZNS1_14transform_implILb0ES3_SA_NS6_6detail15normal_iteratorINS6_10device_ptrIS9_EEEEPS9_NS0_8identityIS9_EEEE10hipError_tT2_T3_mT4_P12ihipStream_tbEUlT_E_NS1_11comp_targetILNS1_3genE3ELNS1_11target_archE908ELNS1_3gpuE7ELNS1_3repE0EEENS1_30default_config_static_selectorELNS0_4arch9wavefront6targetE1EEEvT1_
    .private_segment_fixed_size: 0
    .sgpr_count:     4
    .sgpr_spill_count: 0
    .symbol:         _ZN7rocprim17ROCPRIM_400000_NS6detail17trampoline_kernelINS0_14default_configENS1_25transform_config_selectorIN6thrust23THRUST_200600_302600_NS5tupleIffNS6_9null_typeES8_S8_S8_S8_S8_S8_S8_EELb0EEEZNS1_14transform_implILb0ES3_SA_NS6_6detail15normal_iteratorINS6_10device_ptrIS9_EEEEPS9_NS0_8identityIS9_EEEE10hipError_tT2_T3_mT4_P12ihipStream_tbEUlT_E_NS1_11comp_targetILNS1_3genE3ELNS1_11target_archE908ELNS1_3gpuE7ELNS1_3repE0EEENS1_30default_config_static_selectorELNS0_4arch9wavefront6targetE1EEEvT1_.kd
    .uniform_work_group_size: 1
    .uses_dynamic_stack: false
    .vgpr_count:     0
    .vgpr_spill_count: 0
    .wavefront_size: 64
  - .agpr_count:     0
    .args:
      - .offset:         0
        .size:           40
        .value_kind:     by_value
    .group_segment_fixed_size: 0
    .kernarg_segment_align: 8
    .kernarg_segment_size: 40
    .language:       OpenCL C
    .language_version:
      - 2
      - 0
    .max_flat_workgroup_size: 512
    .name:           _ZN7rocprim17ROCPRIM_400000_NS6detail17trampoline_kernelINS0_14default_configENS1_25transform_config_selectorIN6thrust23THRUST_200600_302600_NS5tupleIffNS6_9null_typeES8_S8_S8_S8_S8_S8_S8_EELb0EEEZNS1_14transform_implILb0ES3_SA_NS6_6detail15normal_iteratorINS6_10device_ptrIS9_EEEEPS9_NS0_8identityIS9_EEEE10hipError_tT2_T3_mT4_P12ihipStream_tbEUlT_E_NS1_11comp_targetILNS1_3genE2ELNS1_11target_archE906ELNS1_3gpuE6ELNS1_3repE0EEENS1_30default_config_static_selectorELNS0_4arch9wavefront6targetE1EEEvT1_
    .private_segment_fixed_size: 0
    .sgpr_count:     4
    .sgpr_spill_count: 0
    .symbol:         _ZN7rocprim17ROCPRIM_400000_NS6detail17trampoline_kernelINS0_14default_configENS1_25transform_config_selectorIN6thrust23THRUST_200600_302600_NS5tupleIffNS6_9null_typeES8_S8_S8_S8_S8_S8_S8_EELb0EEEZNS1_14transform_implILb0ES3_SA_NS6_6detail15normal_iteratorINS6_10device_ptrIS9_EEEEPS9_NS0_8identityIS9_EEEE10hipError_tT2_T3_mT4_P12ihipStream_tbEUlT_E_NS1_11comp_targetILNS1_3genE2ELNS1_11target_archE906ELNS1_3gpuE6ELNS1_3repE0EEENS1_30default_config_static_selectorELNS0_4arch9wavefront6targetE1EEEvT1_.kd
    .uniform_work_group_size: 1
    .uses_dynamic_stack: false
    .vgpr_count:     0
    .vgpr_spill_count: 0
    .wavefront_size: 64
  - .agpr_count:     0
    .args:
      - .offset:         0
        .size:           40
        .value_kind:     by_value
    .group_segment_fixed_size: 0
    .kernarg_segment_align: 8
    .kernarg_segment_size: 40
    .language:       OpenCL C
    .language_version:
      - 2
      - 0
    .max_flat_workgroup_size: 1024
    .name:           _ZN7rocprim17ROCPRIM_400000_NS6detail17trampoline_kernelINS0_14default_configENS1_25transform_config_selectorIN6thrust23THRUST_200600_302600_NS5tupleIffNS6_9null_typeES8_S8_S8_S8_S8_S8_S8_EELb0EEEZNS1_14transform_implILb0ES3_SA_NS6_6detail15normal_iteratorINS6_10device_ptrIS9_EEEEPS9_NS0_8identityIS9_EEEE10hipError_tT2_T3_mT4_P12ihipStream_tbEUlT_E_NS1_11comp_targetILNS1_3genE10ELNS1_11target_archE1201ELNS1_3gpuE5ELNS1_3repE0EEENS1_30default_config_static_selectorELNS0_4arch9wavefront6targetE1EEEvT1_
    .private_segment_fixed_size: 0
    .sgpr_count:     4
    .sgpr_spill_count: 0
    .symbol:         _ZN7rocprim17ROCPRIM_400000_NS6detail17trampoline_kernelINS0_14default_configENS1_25transform_config_selectorIN6thrust23THRUST_200600_302600_NS5tupleIffNS6_9null_typeES8_S8_S8_S8_S8_S8_S8_EELb0EEEZNS1_14transform_implILb0ES3_SA_NS6_6detail15normal_iteratorINS6_10device_ptrIS9_EEEEPS9_NS0_8identityIS9_EEEE10hipError_tT2_T3_mT4_P12ihipStream_tbEUlT_E_NS1_11comp_targetILNS1_3genE10ELNS1_11target_archE1201ELNS1_3gpuE5ELNS1_3repE0EEENS1_30default_config_static_selectorELNS0_4arch9wavefront6targetE1EEEvT1_.kd
    .uniform_work_group_size: 1
    .uses_dynamic_stack: false
    .vgpr_count:     0
    .vgpr_spill_count: 0
    .wavefront_size: 64
  - .agpr_count:     0
    .args:
      - .offset:         0
        .size:           40
        .value_kind:     by_value
    .group_segment_fixed_size: 0
    .kernarg_segment_align: 8
    .kernarg_segment_size: 40
    .language:       OpenCL C
    .language_version:
      - 2
      - 0
    .max_flat_workgroup_size: 512
    .name:           _ZN7rocprim17ROCPRIM_400000_NS6detail17trampoline_kernelINS0_14default_configENS1_25transform_config_selectorIN6thrust23THRUST_200600_302600_NS5tupleIffNS6_9null_typeES8_S8_S8_S8_S8_S8_S8_EELb0EEEZNS1_14transform_implILb0ES3_SA_NS6_6detail15normal_iteratorINS6_10device_ptrIS9_EEEEPS9_NS0_8identityIS9_EEEE10hipError_tT2_T3_mT4_P12ihipStream_tbEUlT_E_NS1_11comp_targetILNS1_3genE10ELNS1_11target_archE1200ELNS1_3gpuE4ELNS1_3repE0EEENS1_30default_config_static_selectorELNS0_4arch9wavefront6targetE1EEEvT1_
    .private_segment_fixed_size: 0
    .sgpr_count:     4
    .sgpr_spill_count: 0
    .symbol:         _ZN7rocprim17ROCPRIM_400000_NS6detail17trampoline_kernelINS0_14default_configENS1_25transform_config_selectorIN6thrust23THRUST_200600_302600_NS5tupleIffNS6_9null_typeES8_S8_S8_S8_S8_S8_S8_EELb0EEEZNS1_14transform_implILb0ES3_SA_NS6_6detail15normal_iteratorINS6_10device_ptrIS9_EEEEPS9_NS0_8identityIS9_EEEE10hipError_tT2_T3_mT4_P12ihipStream_tbEUlT_E_NS1_11comp_targetILNS1_3genE10ELNS1_11target_archE1200ELNS1_3gpuE4ELNS1_3repE0EEENS1_30default_config_static_selectorELNS0_4arch9wavefront6targetE1EEEvT1_.kd
    .uniform_work_group_size: 1
    .uses_dynamic_stack: false
    .vgpr_count:     0
    .vgpr_spill_count: 0
    .wavefront_size: 64
  - .agpr_count:     0
    .args:
      - .offset:         0
        .size:           40
        .value_kind:     by_value
    .group_segment_fixed_size: 0
    .kernarg_segment_align: 8
    .kernarg_segment_size: 40
    .language:       OpenCL C
    .language_version:
      - 2
      - 0
    .max_flat_workgroup_size: 512
    .name:           _ZN7rocprim17ROCPRIM_400000_NS6detail17trampoline_kernelINS0_14default_configENS1_25transform_config_selectorIN6thrust23THRUST_200600_302600_NS5tupleIffNS6_9null_typeES8_S8_S8_S8_S8_S8_S8_EELb0EEEZNS1_14transform_implILb0ES3_SA_NS6_6detail15normal_iteratorINS6_10device_ptrIS9_EEEEPS9_NS0_8identityIS9_EEEE10hipError_tT2_T3_mT4_P12ihipStream_tbEUlT_E_NS1_11comp_targetILNS1_3genE9ELNS1_11target_archE1100ELNS1_3gpuE3ELNS1_3repE0EEENS1_30default_config_static_selectorELNS0_4arch9wavefront6targetE1EEEvT1_
    .private_segment_fixed_size: 0
    .sgpr_count:     4
    .sgpr_spill_count: 0
    .symbol:         _ZN7rocprim17ROCPRIM_400000_NS6detail17trampoline_kernelINS0_14default_configENS1_25transform_config_selectorIN6thrust23THRUST_200600_302600_NS5tupleIffNS6_9null_typeES8_S8_S8_S8_S8_S8_S8_EELb0EEEZNS1_14transform_implILb0ES3_SA_NS6_6detail15normal_iteratorINS6_10device_ptrIS9_EEEEPS9_NS0_8identityIS9_EEEE10hipError_tT2_T3_mT4_P12ihipStream_tbEUlT_E_NS1_11comp_targetILNS1_3genE9ELNS1_11target_archE1100ELNS1_3gpuE3ELNS1_3repE0EEENS1_30default_config_static_selectorELNS0_4arch9wavefront6targetE1EEEvT1_.kd
    .uniform_work_group_size: 1
    .uses_dynamic_stack: false
    .vgpr_count:     0
    .vgpr_spill_count: 0
    .wavefront_size: 64
  - .agpr_count:     0
    .args:
      - .offset:         0
        .size:           40
        .value_kind:     by_value
    .group_segment_fixed_size: 0
    .kernarg_segment_align: 8
    .kernarg_segment_size: 40
    .language:       OpenCL C
    .language_version:
      - 2
      - 0
    .max_flat_workgroup_size: 512
    .name:           _ZN7rocprim17ROCPRIM_400000_NS6detail17trampoline_kernelINS0_14default_configENS1_25transform_config_selectorIN6thrust23THRUST_200600_302600_NS5tupleIffNS6_9null_typeES8_S8_S8_S8_S8_S8_S8_EELb0EEEZNS1_14transform_implILb0ES3_SA_NS6_6detail15normal_iteratorINS6_10device_ptrIS9_EEEEPS9_NS0_8identityIS9_EEEE10hipError_tT2_T3_mT4_P12ihipStream_tbEUlT_E_NS1_11comp_targetILNS1_3genE8ELNS1_11target_archE1030ELNS1_3gpuE2ELNS1_3repE0EEENS1_30default_config_static_selectorELNS0_4arch9wavefront6targetE1EEEvT1_
    .private_segment_fixed_size: 0
    .sgpr_count:     4
    .sgpr_spill_count: 0
    .symbol:         _ZN7rocprim17ROCPRIM_400000_NS6detail17trampoline_kernelINS0_14default_configENS1_25transform_config_selectorIN6thrust23THRUST_200600_302600_NS5tupleIffNS6_9null_typeES8_S8_S8_S8_S8_S8_S8_EELb0EEEZNS1_14transform_implILb0ES3_SA_NS6_6detail15normal_iteratorINS6_10device_ptrIS9_EEEEPS9_NS0_8identityIS9_EEEE10hipError_tT2_T3_mT4_P12ihipStream_tbEUlT_E_NS1_11comp_targetILNS1_3genE8ELNS1_11target_archE1030ELNS1_3gpuE2ELNS1_3repE0EEENS1_30default_config_static_selectorELNS0_4arch9wavefront6targetE1EEEvT1_.kd
    .uniform_work_group_size: 1
    .uses_dynamic_stack: false
    .vgpr_count:     0
    .vgpr_spill_count: 0
    .wavefront_size: 64
  - .agpr_count:     0
    .args:
      - .offset:         0
        .size:           88
        .value_kind:     by_value
    .group_segment_fixed_size: 0
    .kernarg_segment_align: 8
    .kernarg_segment_size: 88
    .language:       OpenCL C
    .language_version:
      - 2
      - 0
    .max_flat_workgroup_size: 512
    .name:           _ZN7rocprim17ROCPRIM_400000_NS6detail17trampoline_kernelINS0_14default_configENS1_35radix_sort_onesweep_config_selectorIjN6thrust23THRUST_200600_302600_NS5tupleIffNS6_9null_typeES8_S8_S8_S8_S8_S8_S8_EEEEZZNS1_29radix_sort_onesweep_iterationIS3_Lb0ENS6_6detail15normal_iteratorINS6_10device_ptrIjEEEESG_NSD_INSE_IS9_EEEESI_jNS0_19identity_decomposerENS1_16block_id_wrapperIjLb1EEEEE10hipError_tT1_PNSt15iterator_traitsISN_E10value_typeET2_T3_PNSO_IST_E10value_typeET4_T5_PSY_SZ_PNS1_23onesweep_lookback_stateEbbT6_jjT7_P12ihipStream_tbENKUlT_T0_SN_SS_E_clISG_SG_SI_SI_EEDaS16_S17_SN_SS_EUlS16_E_NS1_11comp_targetILNS1_3genE0ELNS1_11target_archE4294967295ELNS1_3gpuE0ELNS1_3repE0EEENS1_47radix_sort_onesweep_sort_config_static_selectorELNS0_4arch9wavefront6targetE1EEEvSN_
    .private_segment_fixed_size: 0
    .sgpr_count:     4
    .sgpr_spill_count: 0
    .symbol:         _ZN7rocprim17ROCPRIM_400000_NS6detail17trampoline_kernelINS0_14default_configENS1_35radix_sort_onesweep_config_selectorIjN6thrust23THRUST_200600_302600_NS5tupleIffNS6_9null_typeES8_S8_S8_S8_S8_S8_S8_EEEEZZNS1_29radix_sort_onesweep_iterationIS3_Lb0ENS6_6detail15normal_iteratorINS6_10device_ptrIjEEEESG_NSD_INSE_IS9_EEEESI_jNS0_19identity_decomposerENS1_16block_id_wrapperIjLb1EEEEE10hipError_tT1_PNSt15iterator_traitsISN_E10value_typeET2_T3_PNSO_IST_E10value_typeET4_T5_PSY_SZ_PNS1_23onesweep_lookback_stateEbbT6_jjT7_P12ihipStream_tbENKUlT_T0_SN_SS_E_clISG_SG_SI_SI_EEDaS16_S17_SN_SS_EUlS16_E_NS1_11comp_targetILNS1_3genE0ELNS1_11target_archE4294967295ELNS1_3gpuE0ELNS1_3repE0EEENS1_47radix_sort_onesweep_sort_config_static_selectorELNS0_4arch9wavefront6targetE1EEEvSN_.kd
    .uniform_work_group_size: 1
    .uses_dynamic_stack: false
    .vgpr_count:     0
    .vgpr_spill_count: 0
    .wavefront_size: 64
  - .agpr_count:     0
    .args:
      - .offset:         0
        .size:           88
        .value_kind:     by_value
    .group_segment_fixed_size: 0
    .kernarg_segment_align: 8
    .kernarg_segment_size: 88
    .language:       OpenCL C
    .language_version:
      - 2
      - 0
    .max_flat_workgroup_size: 1024
    .name:           _ZN7rocprim17ROCPRIM_400000_NS6detail17trampoline_kernelINS0_14default_configENS1_35radix_sort_onesweep_config_selectorIjN6thrust23THRUST_200600_302600_NS5tupleIffNS6_9null_typeES8_S8_S8_S8_S8_S8_S8_EEEEZZNS1_29radix_sort_onesweep_iterationIS3_Lb0ENS6_6detail15normal_iteratorINS6_10device_ptrIjEEEESG_NSD_INSE_IS9_EEEESI_jNS0_19identity_decomposerENS1_16block_id_wrapperIjLb1EEEEE10hipError_tT1_PNSt15iterator_traitsISN_E10value_typeET2_T3_PNSO_IST_E10value_typeET4_T5_PSY_SZ_PNS1_23onesweep_lookback_stateEbbT6_jjT7_P12ihipStream_tbENKUlT_T0_SN_SS_E_clISG_SG_SI_SI_EEDaS16_S17_SN_SS_EUlS16_E_NS1_11comp_targetILNS1_3genE6ELNS1_11target_archE950ELNS1_3gpuE13ELNS1_3repE0EEENS1_47radix_sort_onesweep_sort_config_static_selectorELNS0_4arch9wavefront6targetE1EEEvSN_
    .private_segment_fixed_size: 0
    .sgpr_count:     4
    .sgpr_spill_count: 0
    .symbol:         _ZN7rocprim17ROCPRIM_400000_NS6detail17trampoline_kernelINS0_14default_configENS1_35radix_sort_onesweep_config_selectorIjN6thrust23THRUST_200600_302600_NS5tupleIffNS6_9null_typeES8_S8_S8_S8_S8_S8_S8_EEEEZZNS1_29radix_sort_onesweep_iterationIS3_Lb0ENS6_6detail15normal_iteratorINS6_10device_ptrIjEEEESG_NSD_INSE_IS9_EEEESI_jNS0_19identity_decomposerENS1_16block_id_wrapperIjLb1EEEEE10hipError_tT1_PNSt15iterator_traitsISN_E10value_typeET2_T3_PNSO_IST_E10value_typeET4_T5_PSY_SZ_PNS1_23onesweep_lookback_stateEbbT6_jjT7_P12ihipStream_tbENKUlT_T0_SN_SS_E_clISG_SG_SI_SI_EEDaS16_S17_SN_SS_EUlS16_E_NS1_11comp_targetILNS1_3genE6ELNS1_11target_archE950ELNS1_3gpuE13ELNS1_3repE0EEENS1_47radix_sort_onesweep_sort_config_static_selectorELNS0_4arch9wavefront6targetE1EEEvSN_.kd
    .uniform_work_group_size: 1
    .uses_dynamic_stack: false
    .vgpr_count:     0
    .vgpr_spill_count: 0
    .wavefront_size: 64
  - .agpr_count:     0
    .args:
      - .offset:         0
        .size:           88
        .value_kind:     by_value
    .group_segment_fixed_size: 0
    .kernarg_segment_align: 8
    .kernarg_segment_size: 88
    .language:       OpenCL C
    .language_version:
      - 2
      - 0
    .max_flat_workgroup_size: 1024
    .name:           _ZN7rocprim17ROCPRIM_400000_NS6detail17trampoline_kernelINS0_14default_configENS1_35radix_sort_onesweep_config_selectorIjN6thrust23THRUST_200600_302600_NS5tupleIffNS6_9null_typeES8_S8_S8_S8_S8_S8_S8_EEEEZZNS1_29radix_sort_onesweep_iterationIS3_Lb0ENS6_6detail15normal_iteratorINS6_10device_ptrIjEEEESG_NSD_INSE_IS9_EEEESI_jNS0_19identity_decomposerENS1_16block_id_wrapperIjLb1EEEEE10hipError_tT1_PNSt15iterator_traitsISN_E10value_typeET2_T3_PNSO_IST_E10value_typeET4_T5_PSY_SZ_PNS1_23onesweep_lookback_stateEbbT6_jjT7_P12ihipStream_tbENKUlT_T0_SN_SS_E_clISG_SG_SI_SI_EEDaS16_S17_SN_SS_EUlS16_E_NS1_11comp_targetILNS1_3genE5ELNS1_11target_archE942ELNS1_3gpuE9ELNS1_3repE0EEENS1_47radix_sort_onesweep_sort_config_static_selectorELNS0_4arch9wavefront6targetE1EEEvSN_
    .private_segment_fixed_size: 0
    .sgpr_count:     4
    .sgpr_spill_count: 0
    .symbol:         _ZN7rocprim17ROCPRIM_400000_NS6detail17trampoline_kernelINS0_14default_configENS1_35radix_sort_onesweep_config_selectorIjN6thrust23THRUST_200600_302600_NS5tupleIffNS6_9null_typeES8_S8_S8_S8_S8_S8_S8_EEEEZZNS1_29radix_sort_onesweep_iterationIS3_Lb0ENS6_6detail15normal_iteratorINS6_10device_ptrIjEEEESG_NSD_INSE_IS9_EEEESI_jNS0_19identity_decomposerENS1_16block_id_wrapperIjLb1EEEEE10hipError_tT1_PNSt15iterator_traitsISN_E10value_typeET2_T3_PNSO_IST_E10value_typeET4_T5_PSY_SZ_PNS1_23onesweep_lookback_stateEbbT6_jjT7_P12ihipStream_tbENKUlT_T0_SN_SS_E_clISG_SG_SI_SI_EEDaS16_S17_SN_SS_EUlS16_E_NS1_11comp_targetILNS1_3genE5ELNS1_11target_archE942ELNS1_3gpuE9ELNS1_3repE0EEENS1_47radix_sort_onesweep_sort_config_static_selectorELNS0_4arch9wavefront6targetE1EEEvSN_.kd
    .uniform_work_group_size: 1
    .uses_dynamic_stack: false
    .vgpr_count:     0
    .vgpr_spill_count: 0
    .wavefront_size: 64
  - .agpr_count:     0
    .args:
      - .offset:         0
        .size:           88
        .value_kind:     by_value
    .group_segment_fixed_size: 0
    .kernarg_segment_align: 8
    .kernarg_segment_size: 88
    .language:       OpenCL C
    .language_version:
      - 2
      - 0
    .max_flat_workgroup_size: 512
    .name:           _ZN7rocprim17ROCPRIM_400000_NS6detail17trampoline_kernelINS0_14default_configENS1_35radix_sort_onesweep_config_selectorIjN6thrust23THRUST_200600_302600_NS5tupleIffNS6_9null_typeES8_S8_S8_S8_S8_S8_S8_EEEEZZNS1_29radix_sort_onesweep_iterationIS3_Lb0ENS6_6detail15normal_iteratorINS6_10device_ptrIjEEEESG_NSD_INSE_IS9_EEEESI_jNS0_19identity_decomposerENS1_16block_id_wrapperIjLb1EEEEE10hipError_tT1_PNSt15iterator_traitsISN_E10value_typeET2_T3_PNSO_IST_E10value_typeET4_T5_PSY_SZ_PNS1_23onesweep_lookback_stateEbbT6_jjT7_P12ihipStream_tbENKUlT_T0_SN_SS_E_clISG_SG_SI_SI_EEDaS16_S17_SN_SS_EUlS16_E_NS1_11comp_targetILNS1_3genE2ELNS1_11target_archE906ELNS1_3gpuE6ELNS1_3repE0EEENS1_47radix_sort_onesweep_sort_config_static_selectorELNS0_4arch9wavefront6targetE1EEEvSN_
    .private_segment_fixed_size: 0
    .sgpr_count:     4
    .sgpr_spill_count: 0
    .symbol:         _ZN7rocprim17ROCPRIM_400000_NS6detail17trampoline_kernelINS0_14default_configENS1_35radix_sort_onesweep_config_selectorIjN6thrust23THRUST_200600_302600_NS5tupleIffNS6_9null_typeES8_S8_S8_S8_S8_S8_S8_EEEEZZNS1_29radix_sort_onesweep_iterationIS3_Lb0ENS6_6detail15normal_iteratorINS6_10device_ptrIjEEEESG_NSD_INSE_IS9_EEEESI_jNS0_19identity_decomposerENS1_16block_id_wrapperIjLb1EEEEE10hipError_tT1_PNSt15iterator_traitsISN_E10value_typeET2_T3_PNSO_IST_E10value_typeET4_T5_PSY_SZ_PNS1_23onesweep_lookback_stateEbbT6_jjT7_P12ihipStream_tbENKUlT_T0_SN_SS_E_clISG_SG_SI_SI_EEDaS16_S17_SN_SS_EUlS16_E_NS1_11comp_targetILNS1_3genE2ELNS1_11target_archE906ELNS1_3gpuE6ELNS1_3repE0EEENS1_47radix_sort_onesweep_sort_config_static_selectorELNS0_4arch9wavefront6targetE1EEEvSN_.kd
    .uniform_work_group_size: 1
    .uses_dynamic_stack: false
    .vgpr_count:     0
    .vgpr_spill_count: 0
    .wavefront_size: 64
  - .agpr_count:     0
    .args:
      - .offset:         0
        .size:           88
        .value_kind:     by_value
      - .offset:         88
        .size:           4
        .value_kind:     hidden_block_count_x
      - .offset:         92
        .size:           4
        .value_kind:     hidden_block_count_y
      - .offset:         96
        .size:           4
        .value_kind:     hidden_block_count_z
      - .offset:         100
        .size:           2
        .value_kind:     hidden_group_size_x
      - .offset:         102
        .size:           2
        .value_kind:     hidden_group_size_y
      - .offset:         104
        .size:           2
        .value_kind:     hidden_group_size_z
      - .offset:         106
        .size:           2
        .value_kind:     hidden_remainder_x
      - .offset:         108
        .size:           2
        .value_kind:     hidden_remainder_y
      - .offset:         110
        .size:           2
        .value_kind:     hidden_remainder_z
      - .offset:         128
        .size:           8
        .value_kind:     hidden_global_offset_x
      - .offset:         136
        .size:           8
        .value_kind:     hidden_global_offset_y
      - .offset:         144
        .size:           8
        .value_kind:     hidden_global_offset_z
      - .offset:         152
        .size:           2
        .value_kind:     hidden_grid_dims
    .group_segment_fixed_size: 10280
    .kernarg_segment_align: 8
    .kernarg_segment_size: 344
    .language:       OpenCL C
    .language_version:
      - 2
      - 0
    .max_flat_workgroup_size: 512
    .name:           _ZN7rocprim17ROCPRIM_400000_NS6detail17trampoline_kernelINS0_14default_configENS1_35radix_sort_onesweep_config_selectorIjN6thrust23THRUST_200600_302600_NS5tupleIffNS6_9null_typeES8_S8_S8_S8_S8_S8_S8_EEEEZZNS1_29radix_sort_onesweep_iterationIS3_Lb0ENS6_6detail15normal_iteratorINS6_10device_ptrIjEEEESG_NSD_INSE_IS9_EEEESI_jNS0_19identity_decomposerENS1_16block_id_wrapperIjLb1EEEEE10hipError_tT1_PNSt15iterator_traitsISN_E10value_typeET2_T3_PNSO_IST_E10value_typeET4_T5_PSY_SZ_PNS1_23onesweep_lookback_stateEbbT6_jjT7_P12ihipStream_tbENKUlT_T0_SN_SS_E_clISG_SG_SI_SI_EEDaS16_S17_SN_SS_EUlS16_E_NS1_11comp_targetILNS1_3genE4ELNS1_11target_archE910ELNS1_3gpuE8ELNS1_3repE0EEENS1_47radix_sort_onesweep_sort_config_static_selectorELNS0_4arch9wavefront6targetE1EEEvSN_
    .private_segment_fixed_size: 0
    .sgpr_count:     76
    .sgpr_spill_count: 0
    .symbol:         _ZN7rocprim17ROCPRIM_400000_NS6detail17trampoline_kernelINS0_14default_configENS1_35radix_sort_onesweep_config_selectorIjN6thrust23THRUST_200600_302600_NS5tupleIffNS6_9null_typeES8_S8_S8_S8_S8_S8_S8_EEEEZZNS1_29radix_sort_onesweep_iterationIS3_Lb0ENS6_6detail15normal_iteratorINS6_10device_ptrIjEEEESG_NSD_INSE_IS9_EEEESI_jNS0_19identity_decomposerENS1_16block_id_wrapperIjLb1EEEEE10hipError_tT1_PNSt15iterator_traitsISN_E10value_typeET2_T3_PNSO_IST_E10value_typeET4_T5_PSY_SZ_PNS1_23onesweep_lookback_stateEbbT6_jjT7_P12ihipStream_tbENKUlT_T0_SN_SS_E_clISG_SG_SI_SI_EEDaS16_S17_SN_SS_EUlS16_E_NS1_11comp_targetILNS1_3genE4ELNS1_11target_archE910ELNS1_3gpuE8ELNS1_3repE0EEENS1_47radix_sort_onesweep_sort_config_static_selectorELNS0_4arch9wavefront6targetE1EEEvSN_.kd
    .uniform_work_group_size: 1
    .uses_dynamic_stack: false
    .vgpr_count:     88
    .vgpr_spill_count: 0
    .wavefront_size: 64
  - .agpr_count:     0
    .args:
      - .offset:         0
        .size:           88
        .value_kind:     by_value
    .group_segment_fixed_size: 0
    .kernarg_segment_align: 8
    .kernarg_segment_size: 88
    .language:       OpenCL C
    .language_version:
      - 2
      - 0
    .max_flat_workgroup_size: 512
    .name:           _ZN7rocprim17ROCPRIM_400000_NS6detail17trampoline_kernelINS0_14default_configENS1_35radix_sort_onesweep_config_selectorIjN6thrust23THRUST_200600_302600_NS5tupleIffNS6_9null_typeES8_S8_S8_S8_S8_S8_S8_EEEEZZNS1_29radix_sort_onesweep_iterationIS3_Lb0ENS6_6detail15normal_iteratorINS6_10device_ptrIjEEEESG_NSD_INSE_IS9_EEEESI_jNS0_19identity_decomposerENS1_16block_id_wrapperIjLb1EEEEE10hipError_tT1_PNSt15iterator_traitsISN_E10value_typeET2_T3_PNSO_IST_E10value_typeET4_T5_PSY_SZ_PNS1_23onesweep_lookback_stateEbbT6_jjT7_P12ihipStream_tbENKUlT_T0_SN_SS_E_clISG_SG_SI_SI_EEDaS16_S17_SN_SS_EUlS16_E_NS1_11comp_targetILNS1_3genE3ELNS1_11target_archE908ELNS1_3gpuE7ELNS1_3repE0EEENS1_47radix_sort_onesweep_sort_config_static_selectorELNS0_4arch9wavefront6targetE1EEEvSN_
    .private_segment_fixed_size: 0
    .sgpr_count:     4
    .sgpr_spill_count: 0
    .symbol:         _ZN7rocprim17ROCPRIM_400000_NS6detail17trampoline_kernelINS0_14default_configENS1_35radix_sort_onesweep_config_selectorIjN6thrust23THRUST_200600_302600_NS5tupleIffNS6_9null_typeES8_S8_S8_S8_S8_S8_S8_EEEEZZNS1_29radix_sort_onesweep_iterationIS3_Lb0ENS6_6detail15normal_iteratorINS6_10device_ptrIjEEEESG_NSD_INSE_IS9_EEEESI_jNS0_19identity_decomposerENS1_16block_id_wrapperIjLb1EEEEE10hipError_tT1_PNSt15iterator_traitsISN_E10value_typeET2_T3_PNSO_IST_E10value_typeET4_T5_PSY_SZ_PNS1_23onesweep_lookback_stateEbbT6_jjT7_P12ihipStream_tbENKUlT_T0_SN_SS_E_clISG_SG_SI_SI_EEDaS16_S17_SN_SS_EUlS16_E_NS1_11comp_targetILNS1_3genE3ELNS1_11target_archE908ELNS1_3gpuE7ELNS1_3repE0EEENS1_47radix_sort_onesweep_sort_config_static_selectorELNS0_4arch9wavefront6targetE1EEEvSN_.kd
    .uniform_work_group_size: 1
    .uses_dynamic_stack: false
    .vgpr_count:     0
    .vgpr_spill_count: 0
    .wavefront_size: 64
  - .agpr_count:     0
    .args:
      - .offset:         0
        .size:           88
        .value_kind:     by_value
    .group_segment_fixed_size: 0
    .kernarg_segment_align: 8
    .kernarg_segment_size: 88
    .language:       OpenCL C
    .language_version:
      - 2
      - 0
    .max_flat_workgroup_size: 1024
    .name:           _ZN7rocprim17ROCPRIM_400000_NS6detail17trampoline_kernelINS0_14default_configENS1_35radix_sort_onesweep_config_selectorIjN6thrust23THRUST_200600_302600_NS5tupleIffNS6_9null_typeES8_S8_S8_S8_S8_S8_S8_EEEEZZNS1_29radix_sort_onesweep_iterationIS3_Lb0ENS6_6detail15normal_iteratorINS6_10device_ptrIjEEEESG_NSD_INSE_IS9_EEEESI_jNS0_19identity_decomposerENS1_16block_id_wrapperIjLb1EEEEE10hipError_tT1_PNSt15iterator_traitsISN_E10value_typeET2_T3_PNSO_IST_E10value_typeET4_T5_PSY_SZ_PNS1_23onesweep_lookback_stateEbbT6_jjT7_P12ihipStream_tbENKUlT_T0_SN_SS_E_clISG_SG_SI_SI_EEDaS16_S17_SN_SS_EUlS16_E_NS1_11comp_targetILNS1_3genE10ELNS1_11target_archE1201ELNS1_3gpuE5ELNS1_3repE0EEENS1_47radix_sort_onesweep_sort_config_static_selectorELNS0_4arch9wavefront6targetE1EEEvSN_
    .private_segment_fixed_size: 0
    .sgpr_count:     4
    .sgpr_spill_count: 0
    .symbol:         _ZN7rocprim17ROCPRIM_400000_NS6detail17trampoline_kernelINS0_14default_configENS1_35radix_sort_onesweep_config_selectorIjN6thrust23THRUST_200600_302600_NS5tupleIffNS6_9null_typeES8_S8_S8_S8_S8_S8_S8_EEEEZZNS1_29radix_sort_onesweep_iterationIS3_Lb0ENS6_6detail15normal_iteratorINS6_10device_ptrIjEEEESG_NSD_INSE_IS9_EEEESI_jNS0_19identity_decomposerENS1_16block_id_wrapperIjLb1EEEEE10hipError_tT1_PNSt15iterator_traitsISN_E10value_typeET2_T3_PNSO_IST_E10value_typeET4_T5_PSY_SZ_PNS1_23onesweep_lookback_stateEbbT6_jjT7_P12ihipStream_tbENKUlT_T0_SN_SS_E_clISG_SG_SI_SI_EEDaS16_S17_SN_SS_EUlS16_E_NS1_11comp_targetILNS1_3genE10ELNS1_11target_archE1201ELNS1_3gpuE5ELNS1_3repE0EEENS1_47radix_sort_onesweep_sort_config_static_selectorELNS0_4arch9wavefront6targetE1EEEvSN_.kd
    .uniform_work_group_size: 1
    .uses_dynamic_stack: false
    .vgpr_count:     0
    .vgpr_spill_count: 0
    .wavefront_size: 64
  - .agpr_count:     0
    .args:
      - .offset:         0
        .size:           88
        .value_kind:     by_value
    .group_segment_fixed_size: 0
    .kernarg_segment_align: 8
    .kernarg_segment_size: 88
    .language:       OpenCL C
    .language_version:
      - 2
      - 0
    .max_flat_workgroup_size: 1024
    .name:           _ZN7rocprim17ROCPRIM_400000_NS6detail17trampoline_kernelINS0_14default_configENS1_35radix_sort_onesweep_config_selectorIjN6thrust23THRUST_200600_302600_NS5tupleIffNS6_9null_typeES8_S8_S8_S8_S8_S8_S8_EEEEZZNS1_29radix_sort_onesweep_iterationIS3_Lb0ENS6_6detail15normal_iteratorINS6_10device_ptrIjEEEESG_NSD_INSE_IS9_EEEESI_jNS0_19identity_decomposerENS1_16block_id_wrapperIjLb1EEEEE10hipError_tT1_PNSt15iterator_traitsISN_E10value_typeET2_T3_PNSO_IST_E10value_typeET4_T5_PSY_SZ_PNS1_23onesweep_lookback_stateEbbT6_jjT7_P12ihipStream_tbENKUlT_T0_SN_SS_E_clISG_SG_SI_SI_EEDaS16_S17_SN_SS_EUlS16_E_NS1_11comp_targetILNS1_3genE9ELNS1_11target_archE1100ELNS1_3gpuE3ELNS1_3repE0EEENS1_47radix_sort_onesweep_sort_config_static_selectorELNS0_4arch9wavefront6targetE1EEEvSN_
    .private_segment_fixed_size: 0
    .sgpr_count:     4
    .sgpr_spill_count: 0
    .symbol:         _ZN7rocprim17ROCPRIM_400000_NS6detail17trampoline_kernelINS0_14default_configENS1_35radix_sort_onesweep_config_selectorIjN6thrust23THRUST_200600_302600_NS5tupleIffNS6_9null_typeES8_S8_S8_S8_S8_S8_S8_EEEEZZNS1_29radix_sort_onesweep_iterationIS3_Lb0ENS6_6detail15normal_iteratorINS6_10device_ptrIjEEEESG_NSD_INSE_IS9_EEEESI_jNS0_19identity_decomposerENS1_16block_id_wrapperIjLb1EEEEE10hipError_tT1_PNSt15iterator_traitsISN_E10value_typeET2_T3_PNSO_IST_E10value_typeET4_T5_PSY_SZ_PNS1_23onesweep_lookback_stateEbbT6_jjT7_P12ihipStream_tbENKUlT_T0_SN_SS_E_clISG_SG_SI_SI_EEDaS16_S17_SN_SS_EUlS16_E_NS1_11comp_targetILNS1_3genE9ELNS1_11target_archE1100ELNS1_3gpuE3ELNS1_3repE0EEENS1_47radix_sort_onesweep_sort_config_static_selectorELNS0_4arch9wavefront6targetE1EEEvSN_.kd
    .uniform_work_group_size: 1
    .uses_dynamic_stack: false
    .vgpr_count:     0
    .vgpr_spill_count: 0
    .wavefront_size: 64
  - .agpr_count:     0
    .args:
      - .offset:         0
        .size:           88
        .value_kind:     by_value
    .group_segment_fixed_size: 0
    .kernarg_segment_align: 8
    .kernarg_segment_size: 88
    .language:       OpenCL C
    .language_version:
      - 2
      - 0
    .max_flat_workgroup_size: 1024
    .name:           _ZN7rocprim17ROCPRIM_400000_NS6detail17trampoline_kernelINS0_14default_configENS1_35radix_sort_onesweep_config_selectorIjN6thrust23THRUST_200600_302600_NS5tupleIffNS6_9null_typeES8_S8_S8_S8_S8_S8_S8_EEEEZZNS1_29radix_sort_onesweep_iterationIS3_Lb0ENS6_6detail15normal_iteratorINS6_10device_ptrIjEEEESG_NSD_INSE_IS9_EEEESI_jNS0_19identity_decomposerENS1_16block_id_wrapperIjLb1EEEEE10hipError_tT1_PNSt15iterator_traitsISN_E10value_typeET2_T3_PNSO_IST_E10value_typeET4_T5_PSY_SZ_PNS1_23onesweep_lookback_stateEbbT6_jjT7_P12ihipStream_tbENKUlT_T0_SN_SS_E_clISG_SG_SI_SI_EEDaS16_S17_SN_SS_EUlS16_E_NS1_11comp_targetILNS1_3genE8ELNS1_11target_archE1030ELNS1_3gpuE2ELNS1_3repE0EEENS1_47radix_sort_onesweep_sort_config_static_selectorELNS0_4arch9wavefront6targetE1EEEvSN_
    .private_segment_fixed_size: 0
    .sgpr_count:     4
    .sgpr_spill_count: 0
    .symbol:         _ZN7rocprim17ROCPRIM_400000_NS6detail17trampoline_kernelINS0_14default_configENS1_35radix_sort_onesweep_config_selectorIjN6thrust23THRUST_200600_302600_NS5tupleIffNS6_9null_typeES8_S8_S8_S8_S8_S8_S8_EEEEZZNS1_29radix_sort_onesweep_iterationIS3_Lb0ENS6_6detail15normal_iteratorINS6_10device_ptrIjEEEESG_NSD_INSE_IS9_EEEESI_jNS0_19identity_decomposerENS1_16block_id_wrapperIjLb1EEEEE10hipError_tT1_PNSt15iterator_traitsISN_E10value_typeET2_T3_PNSO_IST_E10value_typeET4_T5_PSY_SZ_PNS1_23onesweep_lookback_stateEbbT6_jjT7_P12ihipStream_tbENKUlT_T0_SN_SS_E_clISG_SG_SI_SI_EEDaS16_S17_SN_SS_EUlS16_E_NS1_11comp_targetILNS1_3genE8ELNS1_11target_archE1030ELNS1_3gpuE2ELNS1_3repE0EEENS1_47radix_sort_onesweep_sort_config_static_selectorELNS0_4arch9wavefront6targetE1EEEvSN_.kd
    .uniform_work_group_size: 1
    .uses_dynamic_stack: false
    .vgpr_count:     0
    .vgpr_spill_count: 0
    .wavefront_size: 64
  - .agpr_count:     0
    .args:
      - .offset:         0
        .size:           88
        .value_kind:     by_value
    .group_segment_fixed_size: 0
    .kernarg_segment_align: 8
    .kernarg_segment_size: 88
    .language:       OpenCL C
    .language_version:
      - 2
      - 0
    .max_flat_workgroup_size: 512
    .name:           _ZN7rocprim17ROCPRIM_400000_NS6detail17trampoline_kernelINS0_14default_configENS1_35radix_sort_onesweep_config_selectorIjN6thrust23THRUST_200600_302600_NS5tupleIffNS6_9null_typeES8_S8_S8_S8_S8_S8_S8_EEEEZZNS1_29radix_sort_onesweep_iterationIS3_Lb0ENS6_6detail15normal_iteratorINS6_10device_ptrIjEEEESG_NSD_INSE_IS9_EEEESI_jNS0_19identity_decomposerENS1_16block_id_wrapperIjLb1EEEEE10hipError_tT1_PNSt15iterator_traitsISN_E10value_typeET2_T3_PNSO_IST_E10value_typeET4_T5_PSY_SZ_PNS1_23onesweep_lookback_stateEbbT6_jjT7_P12ihipStream_tbENKUlT_T0_SN_SS_E_clISG_PjSI_PS9_EEDaS16_S17_SN_SS_EUlS16_E_NS1_11comp_targetILNS1_3genE0ELNS1_11target_archE4294967295ELNS1_3gpuE0ELNS1_3repE0EEENS1_47radix_sort_onesweep_sort_config_static_selectorELNS0_4arch9wavefront6targetE1EEEvSN_
    .private_segment_fixed_size: 0
    .sgpr_count:     4
    .sgpr_spill_count: 0
    .symbol:         _ZN7rocprim17ROCPRIM_400000_NS6detail17trampoline_kernelINS0_14default_configENS1_35radix_sort_onesweep_config_selectorIjN6thrust23THRUST_200600_302600_NS5tupleIffNS6_9null_typeES8_S8_S8_S8_S8_S8_S8_EEEEZZNS1_29radix_sort_onesweep_iterationIS3_Lb0ENS6_6detail15normal_iteratorINS6_10device_ptrIjEEEESG_NSD_INSE_IS9_EEEESI_jNS0_19identity_decomposerENS1_16block_id_wrapperIjLb1EEEEE10hipError_tT1_PNSt15iterator_traitsISN_E10value_typeET2_T3_PNSO_IST_E10value_typeET4_T5_PSY_SZ_PNS1_23onesweep_lookback_stateEbbT6_jjT7_P12ihipStream_tbENKUlT_T0_SN_SS_E_clISG_PjSI_PS9_EEDaS16_S17_SN_SS_EUlS16_E_NS1_11comp_targetILNS1_3genE0ELNS1_11target_archE4294967295ELNS1_3gpuE0ELNS1_3repE0EEENS1_47radix_sort_onesweep_sort_config_static_selectorELNS0_4arch9wavefront6targetE1EEEvSN_.kd
    .uniform_work_group_size: 1
    .uses_dynamic_stack: false
    .vgpr_count:     0
    .vgpr_spill_count: 0
    .wavefront_size: 64
  - .agpr_count:     0
    .args:
      - .offset:         0
        .size:           88
        .value_kind:     by_value
    .group_segment_fixed_size: 0
    .kernarg_segment_align: 8
    .kernarg_segment_size: 88
    .language:       OpenCL C
    .language_version:
      - 2
      - 0
    .max_flat_workgroup_size: 1024
    .name:           _ZN7rocprim17ROCPRIM_400000_NS6detail17trampoline_kernelINS0_14default_configENS1_35radix_sort_onesweep_config_selectorIjN6thrust23THRUST_200600_302600_NS5tupleIffNS6_9null_typeES8_S8_S8_S8_S8_S8_S8_EEEEZZNS1_29radix_sort_onesweep_iterationIS3_Lb0ENS6_6detail15normal_iteratorINS6_10device_ptrIjEEEESG_NSD_INSE_IS9_EEEESI_jNS0_19identity_decomposerENS1_16block_id_wrapperIjLb1EEEEE10hipError_tT1_PNSt15iterator_traitsISN_E10value_typeET2_T3_PNSO_IST_E10value_typeET4_T5_PSY_SZ_PNS1_23onesweep_lookback_stateEbbT6_jjT7_P12ihipStream_tbENKUlT_T0_SN_SS_E_clISG_PjSI_PS9_EEDaS16_S17_SN_SS_EUlS16_E_NS1_11comp_targetILNS1_3genE6ELNS1_11target_archE950ELNS1_3gpuE13ELNS1_3repE0EEENS1_47radix_sort_onesweep_sort_config_static_selectorELNS0_4arch9wavefront6targetE1EEEvSN_
    .private_segment_fixed_size: 0
    .sgpr_count:     4
    .sgpr_spill_count: 0
    .symbol:         _ZN7rocprim17ROCPRIM_400000_NS6detail17trampoline_kernelINS0_14default_configENS1_35radix_sort_onesweep_config_selectorIjN6thrust23THRUST_200600_302600_NS5tupleIffNS6_9null_typeES8_S8_S8_S8_S8_S8_S8_EEEEZZNS1_29radix_sort_onesweep_iterationIS3_Lb0ENS6_6detail15normal_iteratorINS6_10device_ptrIjEEEESG_NSD_INSE_IS9_EEEESI_jNS0_19identity_decomposerENS1_16block_id_wrapperIjLb1EEEEE10hipError_tT1_PNSt15iterator_traitsISN_E10value_typeET2_T3_PNSO_IST_E10value_typeET4_T5_PSY_SZ_PNS1_23onesweep_lookback_stateEbbT6_jjT7_P12ihipStream_tbENKUlT_T0_SN_SS_E_clISG_PjSI_PS9_EEDaS16_S17_SN_SS_EUlS16_E_NS1_11comp_targetILNS1_3genE6ELNS1_11target_archE950ELNS1_3gpuE13ELNS1_3repE0EEENS1_47radix_sort_onesweep_sort_config_static_selectorELNS0_4arch9wavefront6targetE1EEEvSN_.kd
    .uniform_work_group_size: 1
    .uses_dynamic_stack: false
    .vgpr_count:     0
    .vgpr_spill_count: 0
    .wavefront_size: 64
  - .agpr_count:     0
    .args:
      - .offset:         0
        .size:           88
        .value_kind:     by_value
    .group_segment_fixed_size: 0
    .kernarg_segment_align: 8
    .kernarg_segment_size: 88
    .language:       OpenCL C
    .language_version:
      - 2
      - 0
    .max_flat_workgroup_size: 1024
    .name:           _ZN7rocprim17ROCPRIM_400000_NS6detail17trampoline_kernelINS0_14default_configENS1_35radix_sort_onesweep_config_selectorIjN6thrust23THRUST_200600_302600_NS5tupleIffNS6_9null_typeES8_S8_S8_S8_S8_S8_S8_EEEEZZNS1_29radix_sort_onesweep_iterationIS3_Lb0ENS6_6detail15normal_iteratorINS6_10device_ptrIjEEEESG_NSD_INSE_IS9_EEEESI_jNS0_19identity_decomposerENS1_16block_id_wrapperIjLb1EEEEE10hipError_tT1_PNSt15iterator_traitsISN_E10value_typeET2_T3_PNSO_IST_E10value_typeET4_T5_PSY_SZ_PNS1_23onesweep_lookback_stateEbbT6_jjT7_P12ihipStream_tbENKUlT_T0_SN_SS_E_clISG_PjSI_PS9_EEDaS16_S17_SN_SS_EUlS16_E_NS1_11comp_targetILNS1_3genE5ELNS1_11target_archE942ELNS1_3gpuE9ELNS1_3repE0EEENS1_47radix_sort_onesweep_sort_config_static_selectorELNS0_4arch9wavefront6targetE1EEEvSN_
    .private_segment_fixed_size: 0
    .sgpr_count:     4
    .sgpr_spill_count: 0
    .symbol:         _ZN7rocprim17ROCPRIM_400000_NS6detail17trampoline_kernelINS0_14default_configENS1_35radix_sort_onesweep_config_selectorIjN6thrust23THRUST_200600_302600_NS5tupleIffNS6_9null_typeES8_S8_S8_S8_S8_S8_S8_EEEEZZNS1_29radix_sort_onesweep_iterationIS3_Lb0ENS6_6detail15normal_iteratorINS6_10device_ptrIjEEEESG_NSD_INSE_IS9_EEEESI_jNS0_19identity_decomposerENS1_16block_id_wrapperIjLb1EEEEE10hipError_tT1_PNSt15iterator_traitsISN_E10value_typeET2_T3_PNSO_IST_E10value_typeET4_T5_PSY_SZ_PNS1_23onesweep_lookback_stateEbbT6_jjT7_P12ihipStream_tbENKUlT_T0_SN_SS_E_clISG_PjSI_PS9_EEDaS16_S17_SN_SS_EUlS16_E_NS1_11comp_targetILNS1_3genE5ELNS1_11target_archE942ELNS1_3gpuE9ELNS1_3repE0EEENS1_47radix_sort_onesweep_sort_config_static_selectorELNS0_4arch9wavefront6targetE1EEEvSN_.kd
    .uniform_work_group_size: 1
    .uses_dynamic_stack: false
    .vgpr_count:     0
    .vgpr_spill_count: 0
    .wavefront_size: 64
  - .agpr_count:     0
    .args:
      - .offset:         0
        .size:           88
        .value_kind:     by_value
    .group_segment_fixed_size: 0
    .kernarg_segment_align: 8
    .kernarg_segment_size: 88
    .language:       OpenCL C
    .language_version:
      - 2
      - 0
    .max_flat_workgroup_size: 512
    .name:           _ZN7rocprim17ROCPRIM_400000_NS6detail17trampoline_kernelINS0_14default_configENS1_35radix_sort_onesweep_config_selectorIjN6thrust23THRUST_200600_302600_NS5tupleIffNS6_9null_typeES8_S8_S8_S8_S8_S8_S8_EEEEZZNS1_29radix_sort_onesweep_iterationIS3_Lb0ENS6_6detail15normal_iteratorINS6_10device_ptrIjEEEESG_NSD_INSE_IS9_EEEESI_jNS0_19identity_decomposerENS1_16block_id_wrapperIjLb1EEEEE10hipError_tT1_PNSt15iterator_traitsISN_E10value_typeET2_T3_PNSO_IST_E10value_typeET4_T5_PSY_SZ_PNS1_23onesweep_lookback_stateEbbT6_jjT7_P12ihipStream_tbENKUlT_T0_SN_SS_E_clISG_PjSI_PS9_EEDaS16_S17_SN_SS_EUlS16_E_NS1_11comp_targetILNS1_3genE2ELNS1_11target_archE906ELNS1_3gpuE6ELNS1_3repE0EEENS1_47radix_sort_onesweep_sort_config_static_selectorELNS0_4arch9wavefront6targetE1EEEvSN_
    .private_segment_fixed_size: 0
    .sgpr_count:     4
    .sgpr_spill_count: 0
    .symbol:         _ZN7rocprim17ROCPRIM_400000_NS6detail17trampoline_kernelINS0_14default_configENS1_35radix_sort_onesweep_config_selectorIjN6thrust23THRUST_200600_302600_NS5tupleIffNS6_9null_typeES8_S8_S8_S8_S8_S8_S8_EEEEZZNS1_29radix_sort_onesweep_iterationIS3_Lb0ENS6_6detail15normal_iteratorINS6_10device_ptrIjEEEESG_NSD_INSE_IS9_EEEESI_jNS0_19identity_decomposerENS1_16block_id_wrapperIjLb1EEEEE10hipError_tT1_PNSt15iterator_traitsISN_E10value_typeET2_T3_PNSO_IST_E10value_typeET4_T5_PSY_SZ_PNS1_23onesweep_lookback_stateEbbT6_jjT7_P12ihipStream_tbENKUlT_T0_SN_SS_E_clISG_PjSI_PS9_EEDaS16_S17_SN_SS_EUlS16_E_NS1_11comp_targetILNS1_3genE2ELNS1_11target_archE906ELNS1_3gpuE6ELNS1_3repE0EEENS1_47radix_sort_onesweep_sort_config_static_selectorELNS0_4arch9wavefront6targetE1EEEvSN_.kd
    .uniform_work_group_size: 1
    .uses_dynamic_stack: false
    .vgpr_count:     0
    .vgpr_spill_count: 0
    .wavefront_size: 64
  - .agpr_count:     0
    .args:
      - .offset:         0
        .size:           88
        .value_kind:     by_value
      - .offset:         88
        .size:           4
        .value_kind:     hidden_block_count_x
      - .offset:         92
        .size:           4
        .value_kind:     hidden_block_count_y
      - .offset:         96
        .size:           4
        .value_kind:     hidden_block_count_z
      - .offset:         100
        .size:           2
        .value_kind:     hidden_group_size_x
      - .offset:         102
        .size:           2
        .value_kind:     hidden_group_size_y
      - .offset:         104
        .size:           2
        .value_kind:     hidden_group_size_z
      - .offset:         106
        .size:           2
        .value_kind:     hidden_remainder_x
      - .offset:         108
        .size:           2
        .value_kind:     hidden_remainder_y
      - .offset:         110
        .size:           2
        .value_kind:     hidden_remainder_z
      - .offset:         128
        .size:           8
        .value_kind:     hidden_global_offset_x
      - .offset:         136
        .size:           8
        .value_kind:     hidden_global_offset_y
      - .offset:         144
        .size:           8
        .value_kind:     hidden_global_offset_z
      - .offset:         152
        .size:           2
        .value_kind:     hidden_grid_dims
    .group_segment_fixed_size: 10280
    .kernarg_segment_align: 8
    .kernarg_segment_size: 344
    .language:       OpenCL C
    .language_version:
      - 2
      - 0
    .max_flat_workgroup_size: 512
    .name:           _ZN7rocprim17ROCPRIM_400000_NS6detail17trampoline_kernelINS0_14default_configENS1_35radix_sort_onesweep_config_selectorIjN6thrust23THRUST_200600_302600_NS5tupleIffNS6_9null_typeES8_S8_S8_S8_S8_S8_S8_EEEEZZNS1_29radix_sort_onesweep_iterationIS3_Lb0ENS6_6detail15normal_iteratorINS6_10device_ptrIjEEEESG_NSD_INSE_IS9_EEEESI_jNS0_19identity_decomposerENS1_16block_id_wrapperIjLb1EEEEE10hipError_tT1_PNSt15iterator_traitsISN_E10value_typeET2_T3_PNSO_IST_E10value_typeET4_T5_PSY_SZ_PNS1_23onesweep_lookback_stateEbbT6_jjT7_P12ihipStream_tbENKUlT_T0_SN_SS_E_clISG_PjSI_PS9_EEDaS16_S17_SN_SS_EUlS16_E_NS1_11comp_targetILNS1_3genE4ELNS1_11target_archE910ELNS1_3gpuE8ELNS1_3repE0EEENS1_47radix_sort_onesweep_sort_config_static_selectorELNS0_4arch9wavefront6targetE1EEEvSN_
    .private_segment_fixed_size: 0
    .sgpr_count:     76
    .sgpr_spill_count: 0
    .symbol:         _ZN7rocprim17ROCPRIM_400000_NS6detail17trampoline_kernelINS0_14default_configENS1_35radix_sort_onesweep_config_selectorIjN6thrust23THRUST_200600_302600_NS5tupleIffNS6_9null_typeES8_S8_S8_S8_S8_S8_S8_EEEEZZNS1_29radix_sort_onesweep_iterationIS3_Lb0ENS6_6detail15normal_iteratorINS6_10device_ptrIjEEEESG_NSD_INSE_IS9_EEEESI_jNS0_19identity_decomposerENS1_16block_id_wrapperIjLb1EEEEE10hipError_tT1_PNSt15iterator_traitsISN_E10value_typeET2_T3_PNSO_IST_E10value_typeET4_T5_PSY_SZ_PNS1_23onesweep_lookback_stateEbbT6_jjT7_P12ihipStream_tbENKUlT_T0_SN_SS_E_clISG_PjSI_PS9_EEDaS16_S17_SN_SS_EUlS16_E_NS1_11comp_targetILNS1_3genE4ELNS1_11target_archE910ELNS1_3gpuE8ELNS1_3repE0EEENS1_47radix_sort_onesweep_sort_config_static_selectorELNS0_4arch9wavefront6targetE1EEEvSN_.kd
    .uniform_work_group_size: 1
    .uses_dynamic_stack: false
    .vgpr_count:     88
    .vgpr_spill_count: 0
    .wavefront_size: 64
  - .agpr_count:     0
    .args:
      - .offset:         0
        .size:           88
        .value_kind:     by_value
    .group_segment_fixed_size: 0
    .kernarg_segment_align: 8
    .kernarg_segment_size: 88
    .language:       OpenCL C
    .language_version:
      - 2
      - 0
    .max_flat_workgroup_size: 512
    .name:           _ZN7rocprim17ROCPRIM_400000_NS6detail17trampoline_kernelINS0_14default_configENS1_35radix_sort_onesweep_config_selectorIjN6thrust23THRUST_200600_302600_NS5tupleIffNS6_9null_typeES8_S8_S8_S8_S8_S8_S8_EEEEZZNS1_29radix_sort_onesweep_iterationIS3_Lb0ENS6_6detail15normal_iteratorINS6_10device_ptrIjEEEESG_NSD_INSE_IS9_EEEESI_jNS0_19identity_decomposerENS1_16block_id_wrapperIjLb1EEEEE10hipError_tT1_PNSt15iterator_traitsISN_E10value_typeET2_T3_PNSO_IST_E10value_typeET4_T5_PSY_SZ_PNS1_23onesweep_lookback_stateEbbT6_jjT7_P12ihipStream_tbENKUlT_T0_SN_SS_E_clISG_PjSI_PS9_EEDaS16_S17_SN_SS_EUlS16_E_NS1_11comp_targetILNS1_3genE3ELNS1_11target_archE908ELNS1_3gpuE7ELNS1_3repE0EEENS1_47radix_sort_onesweep_sort_config_static_selectorELNS0_4arch9wavefront6targetE1EEEvSN_
    .private_segment_fixed_size: 0
    .sgpr_count:     4
    .sgpr_spill_count: 0
    .symbol:         _ZN7rocprim17ROCPRIM_400000_NS6detail17trampoline_kernelINS0_14default_configENS1_35radix_sort_onesweep_config_selectorIjN6thrust23THRUST_200600_302600_NS5tupleIffNS6_9null_typeES8_S8_S8_S8_S8_S8_S8_EEEEZZNS1_29radix_sort_onesweep_iterationIS3_Lb0ENS6_6detail15normal_iteratorINS6_10device_ptrIjEEEESG_NSD_INSE_IS9_EEEESI_jNS0_19identity_decomposerENS1_16block_id_wrapperIjLb1EEEEE10hipError_tT1_PNSt15iterator_traitsISN_E10value_typeET2_T3_PNSO_IST_E10value_typeET4_T5_PSY_SZ_PNS1_23onesweep_lookback_stateEbbT6_jjT7_P12ihipStream_tbENKUlT_T0_SN_SS_E_clISG_PjSI_PS9_EEDaS16_S17_SN_SS_EUlS16_E_NS1_11comp_targetILNS1_3genE3ELNS1_11target_archE908ELNS1_3gpuE7ELNS1_3repE0EEENS1_47radix_sort_onesweep_sort_config_static_selectorELNS0_4arch9wavefront6targetE1EEEvSN_.kd
    .uniform_work_group_size: 1
    .uses_dynamic_stack: false
    .vgpr_count:     0
    .vgpr_spill_count: 0
    .wavefront_size: 64
  - .agpr_count:     0
    .args:
      - .offset:         0
        .size:           88
        .value_kind:     by_value
    .group_segment_fixed_size: 0
    .kernarg_segment_align: 8
    .kernarg_segment_size: 88
    .language:       OpenCL C
    .language_version:
      - 2
      - 0
    .max_flat_workgroup_size: 1024
    .name:           _ZN7rocprim17ROCPRIM_400000_NS6detail17trampoline_kernelINS0_14default_configENS1_35radix_sort_onesweep_config_selectorIjN6thrust23THRUST_200600_302600_NS5tupleIffNS6_9null_typeES8_S8_S8_S8_S8_S8_S8_EEEEZZNS1_29radix_sort_onesweep_iterationIS3_Lb0ENS6_6detail15normal_iteratorINS6_10device_ptrIjEEEESG_NSD_INSE_IS9_EEEESI_jNS0_19identity_decomposerENS1_16block_id_wrapperIjLb1EEEEE10hipError_tT1_PNSt15iterator_traitsISN_E10value_typeET2_T3_PNSO_IST_E10value_typeET4_T5_PSY_SZ_PNS1_23onesweep_lookback_stateEbbT6_jjT7_P12ihipStream_tbENKUlT_T0_SN_SS_E_clISG_PjSI_PS9_EEDaS16_S17_SN_SS_EUlS16_E_NS1_11comp_targetILNS1_3genE10ELNS1_11target_archE1201ELNS1_3gpuE5ELNS1_3repE0EEENS1_47radix_sort_onesweep_sort_config_static_selectorELNS0_4arch9wavefront6targetE1EEEvSN_
    .private_segment_fixed_size: 0
    .sgpr_count:     4
    .sgpr_spill_count: 0
    .symbol:         _ZN7rocprim17ROCPRIM_400000_NS6detail17trampoline_kernelINS0_14default_configENS1_35radix_sort_onesweep_config_selectorIjN6thrust23THRUST_200600_302600_NS5tupleIffNS6_9null_typeES8_S8_S8_S8_S8_S8_S8_EEEEZZNS1_29radix_sort_onesweep_iterationIS3_Lb0ENS6_6detail15normal_iteratorINS6_10device_ptrIjEEEESG_NSD_INSE_IS9_EEEESI_jNS0_19identity_decomposerENS1_16block_id_wrapperIjLb1EEEEE10hipError_tT1_PNSt15iterator_traitsISN_E10value_typeET2_T3_PNSO_IST_E10value_typeET4_T5_PSY_SZ_PNS1_23onesweep_lookback_stateEbbT6_jjT7_P12ihipStream_tbENKUlT_T0_SN_SS_E_clISG_PjSI_PS9_EEDaS16_S17_SN_SS_EUlS16_E_NS1_11comp_targetILNS1_3genE10ELNS1_11target_archE1201ELNS1_3gpuE5ELNS1_3repE0EEENS1_47radix_sort_onesweep_sort_config_static_selectorELNS0_4arch9wavefront6targetE1EEEvSN_.kd
    .uniform_work_group_size: 1
    .uses_dynamic_stack: false
    .vgpr_count:     0
    .vgpr_spill_count: 0
    .wavefront_size: 64
  - .agpr_count:     0
    .args:
      - .offset:         0
        .size:           88
        .value_kind:     by_value
    .group_segment_fixed_size: 0
    .kernarg_segment_align: 8
    .kernarg_segment_size: 88
    .language:       OpenCL C
    .language_version:
      - 2
      - 0
    .max_flat_workgroup_size: 1024
    .name:           _ZN7rocprim17ROCPRIM_400000_NS6detail17trampoline_kernelINS0_14default_configENS1_35radix_sort_onesweep_config_selectorIjN6thrust23THRUST_200600_302600_NS5tupleIffNS6_9null_typeES8_S8_S8_S8_S8_S8_S8_EEEEZZNS1_29radix_sort_onesweep_iterationIS3_Lb0ENS6_6detail15normal_iteratorINS6_10device_ptrIjEEEESG_NSD_INSE_IS9_EEEESI_jNS0_19identity_decomposerENS1_16block_id_wrapperIjLb1EEEEE10hipError_tT1_PNSt15iterator_traitsISN_E10value_typeET2_T3_PNSO_IST_E10value_typeET4_T5_PSY_SZ_PNS1_23onesweep_lookback_stateEbbT6_jjT7_P12ihipStream_tbENKUlT_T0_SN_SS_E_clISG_PjSI_PS9_EEDaS16_S17_SN_SS_EUlS16_E_NS1_11comp_targetILNS1_3genE9ELNS1_11target_archE1100ELNS1_3gpuE3ELNS1_3repE0EEENS1_47radix_sort_onesweep_sort_config_static_selectorELNS0_4arch9wavefront6targetE1EEEvSN_
    .private_segment_fixed_size: 0
    .sgpr_count:     4
    .sgpr_spill_count: 0
    .symbol:         _ZN7rocprim17ROCPRIM_400000_NS6detail17trampoline_kernelINS0_14default_configENS1_35radix_sort_onesweep_config_selectorIjN6thrust23THRUST_200600_302600_NS5tupleIffNS6_9null_typeES8_S8_S8_S8_S8_S8_S8_EEEEZZNS1_29radix_sort_onesweep_iterationIS3_Lb0ENS6_6detail15normal_iteratorINS6_10device_ptrIjEEEESG_NSD_INSE_IS9_EEEESI_jNS0_19identity_decomposerENS1_16block_id_wrapperIjLb1EEEEE10hipError_tT1_PNSt15iterator_traitsISN_E10value_typeET2_T3_PNSO_IST_E10value_typeET4_T5_PSY_SZ_PNS1_23onesweep_lookback_stateEbbT6_jjT7_P12ihipStream_tbENKUlT_T0_SN_SS_E_clISG_PjSI_PS9_EEDaS16_S17_SN_SS_EUlS16_E_NS1_11comp_targetILNS1_3genE9ELNS1_11target_archE1100ELNS1_3gpuE3ELNS1_3repE0EEENS1_47radix_sort_onesweep_sort_config_static_selectorELNS0_4arch9wavefront6targetE1EEEvSN_.kd
    .uniform_work_group_size: 1
    .uses_dynamic_stack: false
    .vgpr_count:     0
    .vgpr_spill_count: 0
    .wavefront_size: 64
  - .agpr_count:     0
    .args:
      - .offset:         0
        .size:           88
        .value_kind:     by_value
    .group_segment_fixed_size: 0
    .kernarg_segment_align: 8
    .kernarg_segment_size: 88
    .language:       OpenCL C
    .language_version:
      - 2
      - 0
    .max_flat_workgroup_size: 1024
    .name:           _ZN7rocprim17ROCPRIM_400000_NS6detail17trampoline_kernelINS0_14default_configENS1_35radix_sort_onesweep_config_selectorIjN6thrust23THRUST_200600_302600_NS5tupleIffNS6_9null_typeES8_S8_S8_S8_S8_S8_S8_EEEEZZNS1_29radix_sort_onesweep_iterationIS3_Lb0ENS6_6detail15normal_iteratorINS6_10device_ptrIjEEEESG_NSD_INSE_IS9_EEEESI_jNS0_19identity_decomposerENS1_16block_id_wrapperIjLb1EEEEE10hipError_tT1_PNSt15iterator_traitsISN_E10value_typeET2_T3_PNSO_IST_E10value_typeET4_T5_PSY_SZ_PNS1_23onesweep_lookback_stateEbbT6_jjT7_P12ihipStream_tbENKUlT_T0_SN_SS_E_clISG_PjSI_PS9_EEDaS16_S17_SN_SS_EUlS16_E_NS1_11comp_targetILNS1_3genE8ELNS1_11target_archE1030ELNS1_3gpuE2ELNS1_3repE0EEENS1_47radix_sort_onesweep_sort_config_static_selectorELNS0_4arch9wavefront6targetE1EEEvSN_
    .private_segment_fixed_size: 0
    .sgpr_count:     4
    .sgpr_spill_count: 0
    .symbol:         _ZN7rocprim17ROCPRIM_400000_NS6detail17trampoline_kernelINS0_14default_configENS1_35radix_sort_onesweep_config_selectorIjN6thrust23THRUST_200600_302600_NS5tupleIffNS6_9null_typeES8_S8_S8_S8_S8_S8_S8_EEEEZZNS1_29radix_sort_onesweep_iterationIS3_Lb0ENS6_6detail15normal_iteratorINS6_10device_ptrIjEEEESG_NSD_INSE_IS9_EEEESI_jNS0_19identity_decomposerENS1_16block_id_wrapperIjLb1EEEEE10hipError_tT1_PNSt15iterator_traitsISN_E10value_typeET2_T3_PNSO_IST_E10value_typeET4_T5_PSY_SZ_PNS1_23onesweep_lookback_stateEbbT6_jjT7_P12ihipStream_tbENKUlT_T0_SN_SS_E_clISG_PjSI_PS9_EEDaS16_S17_SN_SS_EUlS16_E_NS1_11comp_targetILNS1_3genE8ELNS1_11target_archE1030ELNS1_3gpuE2ELNS1_3repE0EEENS1_47radix_sort_onesweep_sort_config_static_selectorELNS0_4arch9wavefront6targetE1EEEvSN_.kd
    .uniform_work_group_size: 1
    .uses_dynamic_stack: false
    .vgpr_count:     0
    .vgpr_spill_count: 0
    .wavefront_size: 64
  - .agpr_count:     0
    .args:
      - .offset:         0
        .size:           88
        .value_kind:     by_value
    .group_segment_fixed_size: 0
    .kernarg_segment_align: 8
    .kernarg_segment_size: 88
    .language:       OpenCL C
    .language_version:
      - 2
      - 0
    .max_flat_workgroup_size: 512
    .name:           _ZN7rocprim17ROCPRIM_400000_NS6detail17trampoline_kernelINS0_14default_configENS1_35radix_sort_onesweep_config_selectorIjN6thrust23THRUST_200600_302600_NS5tupleIffNS6_9null_typeES8_S8_S8_S8_S8_S8_S8_EEEEZZNS1_29radix_sort_onesweep_iterationIS3_Lb0ENS6_6detail15normal_iteratorINS6_10device_ptrIjEEEESG_NSD_INSE_IS9_EEEESI_jNS0_19identity_decomposerENS1_16block_id_wrapperIjLb1EEEEE10hipError_tT1_PNSt15iterator_traitsISN_E10value_typeET2_T3_PNSO_IST_E10value_typeET4_T5_PSY_SZ_PNS1_23onesweep_lookback_stateEbbT6_jjT7_P12ihipStream_tbENKUlT_T0_SN_SS_E_clIPjSG_PS9_SI_EEDaS16_S17_SN_SS_EUlS16_E_NS1_11comp_targetILNS1_3genE0ELNS1_11target_archE4294967295ELNS1_3gpuE0ELNS1_3repE0EEENS1_47radix_sort_onesweep_sort_config_static_selectorELNS0_4arch9wavefront6targetE1EEEvSN_
    .private_segment_fixed_size: 0
    .sgpr_count:     4
    .sgpr_spill_count: 0
    .symbol:         _ZN7rocprim17ROCPRIM_400000_NS6detail17trampoline_kernelINS0_14default_configENS1_35radix_sort_onesweep_config_selectorIjN6thrust23THRUST_200600_302600_NS5tupleIffNS6_9null_typeES8_S8_S8_S8_S8_S8_S8_EEEEZZNS1_29radix_sort_onesweep_iterationIS3_Lb0ENS6_6detail15normal_iteratorINS6_10device_ptrIjEEEESG_NSD_INSE_IS9_EEEESI_jNS0_19identity_decomposerENS1_16block_id_wrapperIjLb1EEEEE10hipError_tT1_PNSt15iterator_traitsISN_E10value_typeET2_T3_PNSO_IST_E10value_typeET4_T5_PSY_SZ_PNS1_23onesweep_lookback_stateEbbT6_jjT7_P12ihipStream_tbENKUlT_T0_SN_SS_E_clIPjSG_PS9_SI_EEDaS16_S17_SN_SS_EUlS16_E_NS1_11comp_targetILNS1_3genE0ELNS1_11target_archE4294967295ELNS1_3gpuE0ELNS1_3repE0EEENS1_47radix_sort_onesweep_sort_config_static_selectorELNS0_4arch9wavefront6targetE1EEEvSN_.kd
    .uniform_work_group_size: 1
    .uses_dynamic_stack: false
    .vgpr_count:     0
    .vgpr_spill_count: 0
    .wavefront_size: 64
  - .agpr_count:     0
    .args:
      - .offset:         0
        .size:           88
        .value_kind:     by_value
    .group_segment_fixed_size: 0
    .kernarg_segment_align: 8
    .kernarg_segment_size: 88
    .language:       OpenCL C
    .language_version:
      - 2
      - 0
    .max_flat_workgroup_size: 1024
    .name:           _ZN7rocprim17ROCPRIM_400000_NS6detail17trampoline_kernelINS0_14default_configENS1_35radix_sort_onesweep_config_selectorIjN6thrust23THRUST_200600_302600_NS5tupleIffNS6_9null_typeES8_S8_S8_S8_S8_S8_S8_EEEEZZNS1_29radix_sort_onesweep_iterationIS3_Lb0ENS6_6detail15normal_iteratorINS6_10device_ptrIjEEEESG_NSD_INSE_IS9_EEEESI_jNS0_19identity_decomposerENS1_16block_id_wrapperIjLb1EEEEE10hipError_tT1_PNSt15iterator_traitsISN_E10value_typeET2_T3_PNSO_IST_E10value_typeET4_T5_PSY_SZ_PNS1_23onesweep_lookback_stateEbbT6_jjT7_P12ihipStream_tbENKUlT_T0_SN_SS_E_clIPjSG_PS9_SI_EEDaS16_S17_SN_SS_EUlS16_E_NS1_11comp_targetILNS1_3genE6ELNS1_11target_archE950ELNS1_3gpuE13ELNS1_3repE0EEENS1_47radix_sort_onesweep_sort_config_static_selectorELNS0_4arch9wavefront6targetE1EEEvSN_
    .private_segment_fixed_size: 0
    .sgpr_count:     4
    .sgpr_spill_count: 0
    .symbol:         _ZN7rocprim17ROCPRIM_400000_NS6detail17trampoline_kernelINS0_14default_configENS1_35radix_sort_onesweep_config_selectorIjN6thrust23THRUST_200600_302600_NS5tupleIffNS6_9null_typeES8_S8_S8_S8_S8_S8_S8_EEEEZZNS1_29radix_sort_onesweep_iterationIS3_Lb0ENS6_6detail15normal_iteratorINS6_10device_ptrIjEEEESG_NSD_INSE_IS9_EEEESI_jNS0_19identity_decomposerENS1_16block_id_wrapperIjLb1EEEEE10hipError_tT1_PNSt15iterator_traitsISN_E10value_typeET2_T3_PNSO_IST_E10value_typeET4_T5_PSY_SZ_PNS1_23onesweep_lookback_stateEbbT6_jjT7_P12ihipStream_tbENKUlT_T0_SN_SS_E_clIPjSG_PS9_SI_EEDaS16_S17_SN_SS_EUlS16_E_NS1_11comp_targetILNS1_3genE6ELNS1_11target_archE950ELNS1_3gpuE13ELNS1_3repE0EEENS1_47radix_sort_onesweep_sort_config_static_selectorELNS0_4arch9wavefront6targetE1EEEvSN_.kd
    .uniform_work_group_size: 1
    .uses_dynamic_stack: false
    .vgpr_count:     0
    .vgpr_spill_count: 0
    .wavefront_size: 64
  - .agpr_count:     0
    .args:
      - .offset:         0
        .size:           88
        .value_kind:     by_value
    .group_segment_fixed_size: 0
    .kernarg_segment_align: 8
    .kernarg_segment_size: 88
    .language:       OpenCL C
    .language_version:
      - 2
      - 0
    .max_flat_workgroup_size: 1024
    .name:           _ZN7rocprim17ROCPRIM_400000_NS6detail17trampoline_kernelINS0_14default_configENS1_35radix_sort_onesweep_config_selectorIjN6thrust23THRUST_200600_302600_NS5tupleIffNS6_9null_typeES8_S8_S8_S8_S8_S8_S8_EEEEZZNS1_29radix_sort_onesweep_iterationIS3_Lb0ENS6_6detail15normal_iteratorINS6_10device_ptrIjEEEESG_NSD_INSE_IS9_EEEESI_jNS0_19identity_decomposerENS1_16block_id_wrapperIjLb1EEEEE10hipError_tT1_PNSt15iterator_traitsISN_E10value_typeET2_T3_PNSO_IST_E10value_typeET4_T5_PSY_SZ_PNS1_23onesweep_lookback_stateEbbT6_jjT7_P12ihipStream_tbENKUlT_T0_SN_SS_E_clIPjSG_PS9_SI_EEDaS16_S17_SN_SS_EUlS16_E_NS1_11comp_targetILNS1_3genE5ELNS1_11target_archE942ELNS1_3gpuE9ELNS1_3repE0EEENS1_47radix_sort_onesweep_sort_config_static_selectorELNS0_4arch9wavefront6targetE1EEEvSN_
    .private_segment_fixed_size: 0
    .sgpr_count:     4
    .sgpr_spill_count: 0
    .symbol:         _ZN7rocprim17ROCPRIM_400000_NS6detail17trampoline_kernelINS0_14default_configENS1_35radix_sort_onesweep_config_selectorIjN6thrust23THRUST_200600_302600_NS5tupleIffNS6_9null_typeES8_S8_S8_S8_S8_S8_S8_EEEEZZNS1_29radix_sort_onesweep_iterationIS3_Lb0ENS6_6detail15normal_iteratorINS6_10device_ptrIjEEEESG_NSD_INSE_IS9_EEEESI_jNS0_19identity_decomposerENS1_16block_id_wrapperIjLb1EEEEE10hipError_tT1_PNSt15iterator_traitsISN_E10value_typeET2_T3_PNSO_IST_E10value_typeET4_T5_PSY_SZ_PNS1_23onesweep_lookback_stateEbbT6_jjT7_P12ihipStream_tbENKUlT_T0_SN_SS_E_clIPjSG_PS9_SI_EEDaS16_S17_SN_SS_EUlS16_E_NS1_11comp_targetILNS1_3genE5ELNS1_11target_archE942ELNS1_3gpuE9ELNS1_3repE0EEENS1_47radix_sort_onesweep_sort_config_static_selectorELNS0_4arch9wavefront6targetE1EEEvSN_.kd
    .uniform_work_group_size: 1
    .uses_dynamic_stack: false
    .vgpr_count:     0
    .vgpr_spill_count: 0
    .wavefront_size: 64
  - .agpr_count:     0
    .args:
      - .offset:         0
        .size:           88
        .value_kind:     by_value
    .group_segment_fixed_size: 0
    .kernarg_segment_align: 8
    .kernarg_segment_size: 88
    .language:       OpenCL C
    .language_version:
      - 2
      - 0
    .max_flat_workgroup_size: 512
    .name:           _ZN7rocprim17ROCPRIM_400000_NS6detail17trampoline_kernelINS0_14default_configENS1_35radix_sort_onesweep_config_selectorIjN6thrust23THRUST_200600_302600_NS5tupleIffNS6_9null_typeES8_S8_S8_S8_S8_S8_S8_EEEEZZNS1_29radix_sort_onesweep_iterationIS3_Lb0ENS6_6detail15normal_iteratorINS6_10device_ptrIjEEEESG_NSD_INSE_IS9_EEEESI_jNS0_19identity_decomposerENS1_16block_id_wrapperIjLb1EEEEE10hipError_tT1_PNSt15iterator_traitsISN_E10value_typeET2_T3_PNSO_IST_E10value_typeET4_T5_PSY_SZ_PNS1_23onesweep_lookback_stateEbbT6_jjT7_P12ihipStream_tbENKUlT_T0_SN_SS_E_clIPjSG_PS9_SI_EEDaS16_S17_SN_SS_EUlS16_E_NS1_11comp_targetILNS1_3genE2ELNS1_11target_archE906ELNS1_3gpuE6ELNS1_3repE0EEENS1_47radix_sort_onesweep_sort_config_static_selectorELNS0_4arch9wavefront6targetE1EEEvSN_
    .private_segment_fixed_size: 0
    .sgpr_count:     4
    .sgpr_spill_count: 0
    .symbol:         _ZN7rocprim17ROCPRIM_400000_NS6detail17trampoline_kernelINS0_14default_configENS1_35radix_sort_onesweep_config_selectorIjN6thrust23THRUST_200600_302600_NS5tupleIffNS6_9null_typeES8_S8_S8_S8_S8_S8_S8_EEEEZZNS1_29radix_sort_onesweep_iterationIS3_Lb0ENS6_6detail15normal_iteratorINS6_10device_ptrIjEEEESG_NSD_INSE_IS9_EEEESI_jNS0_19identity_decomposerENS1_16block_id_wrapperIjLb1EEEEE10hipError_tT1_PNSt15iterator_traitsISN_E10value_typeET2_T3_PNSO_IST_E10value_typeET4_T5_PSY_SZ_PNS1_23onesweep_lookback_stateEbbT6_jjT7_P12ihipStream_tbENKUlT_T0_SN_SS_E_clIPjSG_PS9_SI_EEDaS16_S17_SN_SS_EUlS16_E_NS1_11comp_targetILNS1_3genE2ELNS1_11target_archE906ELNS1_3gpuE6ELNS1_3repE0EEENS1_47radix_sort_onesweep_sort_config_static_selectorELNS0_4arch9wavefront6targetE1EEEvSN_.kd
    .uniform_work_group_size: 1
    .uses_dynamic_stack: false
    .vgpr_count:     0
    .vgpr_spill_count: 0
    .wavefront_size: 64
  - .agpr_count:     0
    .args:
      - .offset:         0
        .size:           88
        .value_kind:     by_value
      - .offset:         88
        .size:           4
        .value_kind:     hidden_block_count_x
      - .offset:         92
        .size:           4
        .value_kind:     hidden_block_count_y
      - .offset:         96
        .size:           4
        .value_kind:     hidden_block_count_z
      - .offset:         100
        .size:           2
        .value_kind:     hidden_group_size_x
      - .offset:         102
        .size:           2
        .value_kind:     hidden_group_size_y
      - .offset:         104
        .size:           2
        .value_kind:     hidden_group_size_z
      - .offset:         106
        .size:           2
        .value_kind:     hidden_remainder_x
      - .offset:         108
        .size:           2
        .value_kind:     hidden_remainder_y
      - .offset:         110
        .size:           2
        .value_kind:     hidden_remainder_z
      - .offset:         128
        .size:           8
        .value_kind:     hidden_global_offset_x
      - .offset:         136
        .size:           8
        .value_kind:     hidden_global_offset_y
      - .offset:         144
        .size:           8
        .value_kind:     hidden_global_offset_z
      - .offset:         152
        .size:           2
        .value_kind:     hidden_grid_dims
    .group_segment_fixed_size: 10280
    .kernarg_segment_align: 8
    .kernarg_segment_size: 344
    .language:       OpenCL C
    .language_version:
      - 2
      - 0
    .max_flat_workgroup_size: 512
    .name:           _ZN7rocprim17ROCPRIM_400000_NS6detail17trampoline_kernelINS0_14default_configENS1_35radix_sort_onesweep_config_selectorIjN6thrust23THRUST_200600_302600_NS5tupleIffNS6_9null_typeES8_S8_S8_S8_S8_S8_S8_EEEEZZNS1_29radix_sort_onesweep_iterationIS3_Lb0ENS6_6detail15normal_iteratorINS6_10device_ptrIjEEEESG_NSD_INSE_IS9_EEEESI_jNS0_19identity_decomposerENS1_16block_id_wrapperIjLb1EEEEE10hipError_tT1_PNSt15iterator_traitsISN_E10value_typeET2_T3_PNSO_IST_E10value_typeET4_T5_PSY_SZ_PNS1_23onesweep_lookback_stateEbbT6_jjT7_P12ihipStream_tbENKUlT_T0_SN_SS_E_clIPjSG_PS9_SI_EEDaS16_S17_SN_SS_EUlS16_E_NS1_11comp_targetILNS1_3genE4ELNS1_11target_archE910ELNS1_3gpuE8ELNS1_3repE0EEENS1_47radix_sort_onesweep_sort_config_static_selectorELNS0_4arch9wavefront6targetE1EEEvSN_
    .private_segment_fixed_size: 0
    .sgpr_count:     76
    .sgpr_spill_count: 0
    .symbol:         _ZN7rocprim17ROCPRIM_400000_NS6detail17trampoline_kernelINS0_14default_configENS1_35radix_sort_onesweep_config_selectorIjN6thrust23THRUST_200600_302600_NS5tupleIffNS6_9null_typeES8_S8_S8_S8_S8_S8_S8_EEEEZZNS1_29radix_sort_onesweep_iterationIS3_Lb0ENS6_6detail15normal_iteratorINS6_10device_ptrIjEEEESG_NSD_INSE_IS9_EEEESI_jNS0_19identity_decomposerENS1_16block_id_wrapperIjLb1EEEEE10hipError_tT1_PNSt15iterator_traitsISN_E10value_typeET2_T3_PNSO_IST_E10value_typeET4_T5_PSY_SZ_PNS1_23onesweep_lookback_stateEbbT6_jjT7_P12ihipStream_tbENKUlT_T0_SN_SS_E_clIPjSG_PS9_SI_EEDaS16_S17_SN_SS_EUlS16_E_NS1_11comp_targetILNS1_3genE4ELNS1_11target_archE910ELNS1_3gpuE8ELNS1_3repE0EEENS1_47radix_sort_onesweep_sort_config_static_selectorELNS0_4arch9wavefront6targetE1EEEvSN_.kd
    .uniform_work_group_size: 1
    .uses_dynamic_stack: false
    .vgpr_count:     88
    .vgpr_spill_count: 0
    .wavefront_size: 64
  - .agpr_count:     0
    .args:
      - .offset:         0
        .size:           88
        .value_kind:     by_value
    .group_segment_fixed_size: 0
    .kernarg_segment_align: 8
    .kernarg_segment_size: 88
    .language:       OpenCL C
    .language_version:
      - 2
      - 0
    .max_flat_workgroup_size: 512
    .name:           _ZN7rocprim17ROCPRIM_400000_NS6detail17trampoline_kernelINS0_14default_configENS1_35radix_sort_onesweep_config_selectorIjN6thrust23THRUST_200600_302600_NS5tupleIffNS6_9null_typeES8_S8_S8_S8_S8_S8_S8_EEEEZZNS1_29radix_sort_onesweep_iterationIS3_Lb0ENS6_6detail15normal_iteratorINS6_10device_ptrIjEEEESG_NSD_INSE_IS9_EEEESI_jNS0_19identity_decomposerENS1_16block_id_wrapperIjLb1EEEEE10hipError_tT1_PNSt15iterator_traitsISN_E10value_typeET2_T3_PNSO_IST_E10value_typeET4_T5_PSY_SZ_PNS1_23onesweep_lookback_stateEbbT6_jjT7_P12ihipStream_tbENKUlT_T0_SN_SS_E_clIPjSG_PS9_SI_EEDaS16_S17_SN_SS_EUlS16_E_NS1_11comp_targetILNS1_3genE3ELNS1_11target_archE908ELNS1_3gpuE7ELNS1_3repE0EEENS1_47radix_sort_onesweep_sort_config_static_selectorELNS0_4arch9wavefront6targetE1EEEvSN_
    .private_segment_fixed_size: 0
    .sgpr_count:     4
    .sgpr_spill_count: 0
    .symbol:         _ZN7rocprim17ROCPRIM_400000_NS6detail17trampoline_kernelINS0_14default_configENS1_35radix_sort_onesweep_config_selectorIjN6thrust23THRUST_200600_302600_NS5tupleIffNS6_9null_typeES8_S8_S8_S8_S8_S8_S8_EEEEZZNS1_29radix_sort_onesweep_iterationIS3_Lb0ENS6_6detail15normal_iteratorINS6_10device_ptrIjEEEESG_NSD_INSE_IS9_EEEESI_jNS0_19identity_decomposerENS1_16block_id_wrapperIjLb1EEEEE10hipError_tT1_PNSt15iterator_traitsISN_E10value_typeET2_T3_PNSO_IST_E10value_typeET4_T5_PSY_SZ_PNS1_23onesweep_lookback_stateEbbT6_jjT7_P12ihipStream_tbENKUlT_T0_SN_SS_E_clIPjSG_PS9_SI_EEDaS16_S17_SN_SS_EUlS16_E_NS1_11comp_targetILNS1_3genE3ELNS1_11target_archE908ELNS1_3gpuE7ELNS1_3repE0EEENS1_47radix_sort_onesweep_sort_config_static_selectorELNS0_4arch9wavefront6targetE1EEEvSN_.kd
    .uniform_work_group_size: 1
    .uses_dynamic_stack: false
    .vgpr_count:     0
    .vgpr_spill_count: 0
    .wavefront_size: 64
  - .agpr_count:     0
    .args:
      - .offset:         0
        .size:           88
        .value_kind:     by_value
    .group_segment_fixed_size: 0
    .kernarg_segment_align: 8
    .kernarg_segment_size: 88
    .language:       OpenCL C
    .language_version:
      - 2
      - 0
    .max_flat_workgroup_size: 1024
    .name:           _ZN7rocprim17ROCPRIM_400000_NS6detail17trampoline_kernelINS0_14default_configENS1_35radix_sort_onesweep_config_selectorIjN6thrust23THRUST_200600_302600_NS5tupleIffNS6_9null_typeES8_S8_S8_S8_S8_S8_S8_EEEEZZNS1_29radix_sort_onesweep_iterationIS3_Lb0ENS6_6detail15normal_iteratorINS6_10device_ptrIjEEEESG_NSD_INSE_IS9_EEEESI_jNS0_19identity_decomposerENS1_16block_id_wrapperIjLb1EEEEE10hipError_tT1_PNSt15iterator_traitsISN_E10value_typeET2_T3_PNSO_IST_E10value_typeET4_T5_PSY_SZ_PNS1_23onesweep_lookback_stateEbbT6_jjT7_P12ihipStream_tbENKUlT_T0_SN_SS_E_clIPjSG_PS9_SI_EEDaS16_S17_SN_SS_EUlS16_E_NS1_11comp_targetILNS1_3genE10ELNS1_11target_archE1201ELNS1_3gpuE5ELNS1_3repE0EEENS1_47radix_sort_onesweep_sort_config_static_selectorELNS0_4arch9wavefront6targetE1EEEvSN_
    .private_segment_fixed_size: 0
    .sgpr_count:     4
    .sgpr_spill_count: 0
    .symbol:         _ZN7rocprim17ROCPRIM_400000_NS6detail17trampoline_kernelINS0_14default_configENS1_35radix_sort_onesweep_config_selectorIjN6thrust23THRUST_200600_302600_NS5tupleIffNS6_9null_typeES8_S8_S8_S8_S8_S8_S8_EEEEZZNS1_29radix_sort_onesweep_iterationIS3_Lb0ENS6_6detail15normal_iteratorINS6_10device_ptrIjEEEESG_NSD_INSE_IS9_EEEESI_jNS0_19identity_decomposerENS1_16block_id_wrapperIjLb1EEEEE10hipError_tT1_PNSt15iterator_traitsISN_E10value_typeET2_T3_PNSO_IST_E10value_typeET4_T5_PSY_SZ_PNS1_23onesweep_lookback_stateEbbT6_jjT7_P12ihipStream_tbENKUlT_T0_SN_SS_E_clIPjSG_PS9_SI_EEDaS16_S17_SN_SS_EUlS16_E_NS1_11comp_targetILNS1_3genE10ELNS1_11target_archE1201ELNS1_3gpuE5ELNS1_3repE0EEENS1_47radix_sort_onesweep_sort_config_static_selectorELNS0_4arch9wavefront6targetE1EEEvSN_.kd
    .uniform_work_group_size: 1
    .uses_dynamic_stack: false
    .vgpr_count:     0
    .vgpr_spill_count: 0
    .wavefront_size: 64
  - .agpr_count:     0
    .args:
      - .offset:         0
        .size:           88
        .value_kind:     by_value
    .group_segment_fixed_size: 0
    .kernarg_segment_align: 8
    .kernarg_segment_size: 88
    .language:       OpenCL C
    .language_version:
      - 2
      - 0
    .max_flat_workgroup_size: 1024
    .name:           _ZN7rocprim17ROCPRIM_400000_NS6detail17trampoline_kernelINS0_14default_configENS1_35radix_sort_onesweep_config_selectorIjN6thrust23THRUST_200600_302600_NS5tupleIffNS6_9null_typeES8_S8_S8_S8_S8_S8_S8_EEEEZZNS1_29radix_sort_onesweep_iterationIS3_Lb0ENS6_6detail15normal_iteratorINS6_10device_ptrIjEEEESG_NSD_INSE_IS9_EEEESI_jNS0_19identity_decomposerENS1_16block_id_wrapperIjLb1EEEEE10hipError_tT1_PNSt15iterator_traitsISN_E10value_typeET2_T3_PNSO_IST_E10value_typeET4_T5_PSY_SZ_PNS1_23onesweep_lookback_stateEbbT6_jjT7_P12ihipStream_tbENKUlT_T0_SN_SS_E_clIPjSG_PS9_SI_EEDaS16_S17_SN_SS_EUlS16_E_NS1_11comp_targetILNS1_3genE9ELNS1_11target_archE1100ELNS1_3gpuE3ELNS1_3repE0EEENS1_47radix_sort_onesweep_sort_config_static_selectorELNS0_4arch9wavefront6targetE1EEEvSN_
    .private_segment_fixed_size: 0
    .sgpr_count:     4
    .sgpr_spill_count: 0
    .symbol:         _ZN7rocprim17ROCPRIM_400000_NS6detail17trampoline_kernelINS0_14default_configENS1_35radix_sort_onesweep_config_selectorIjN6thrust23THRUST_200600_302600_NS5tupleIffNS6_9null_typeES8_S8_S8_S8_S8_S8_S8_EEEEZZNS1_29radix_sort_onesweep_iterationIS3_Lb0ENS6_6detail15normal_iteratorINS6_10device_ptrIjEEEESG_NSD_INSE_IS9_EEEESI_jNS0_19identity_decomposerENS1_16block_id_wrapperIjLb1EEEEE10hipError_tT1_PNSt15iterator_traitsISN_E10value_typeET2_T3_PNSO_IST_E10value_typeET4_T5_PSY_SZ_PNS1_23onesweep_lookback_stateEbbT6_jjT7_P12ihipStream_tbENKUlT_T0_SN_SS_E_clIPjSG_PS9_SI_EEDaS16_S17_SN_SS_EUlS16_E_NS1_11comp_targetILNS1_3genE9ELNS1_11target_archE1100ELNS1_3gpuE3ELNS1_3repE0EEENS1_47radix_sort_onesweep_sort_config_static_selectorELNS0_4arch9wavefront6targetE1EEEvSN_.kd
    .uniform_work_group_size: 1
    .uses_dynamic_stack: false
    .vgpr_count:     0
    .vgpr_spill_count: 0
    .wavefront_size: 64
  - .agpr_count:     0
    .args:
      - .offset:         0
        .size:           88
        .value_kind:     by_value
    .group_segment_fixed_size: 0
    .kernarg_segment_align: 8
    .kernarg_segment_size: 88
    .language:       OpenCL C
    .language_version:
      - 2
      - 0
    .max_flat_workgroup_size: 1024
    .name:           _ZN7rocprim17ROCPRIM_400000_NS6detail17trampoline_kernelINS0_14default_configENS1_35radix_sort_onesweep_config_selectorIjN6thrust23THRUST_200600_302600_NS5tupleIffNS6_9null_typeES8_S8_S8_S8_S8_S8_S8_EEEEZZNS1_29radix_sort_onesweep_iterationIS3_Lb0ENS6_6detail15normal_iteratorINS6_10device_ptrIjEEEESG_NSD_INSE_IS9_EEEESI_jNS0_19identity_decomposerENS1_16block_id_wrapperIjLb1EEEEE10hipError_tT1_PNSt15iterator_traitsISN_E10value_typeET2_T3_PNSO_IST_E10value_typeET4_T5_PSY_SZ_PNS1_23onesweep_lookback_stateEbbT6_jjT7_P12ihipStream_tbENKUlT_T0_SN_SS_E_clIPjSG_PS9_SI_EEDaS16_S17_SN_SS_EUlS16_E_NS1_11comp_targetILNS1_3genE8ELNS1_11target_archE1030ELNS1_3gpuE2ELNS1_3repE0EEENS1_47radix_sort_onesweep_sort_config_static_selectorELNS0_4arch9wavefront6targetE1EEEvSN_
    .private_segment_fixed_size: 0
    .sgpr_count:     4
    .sgpr_spill_count: 0
    .symbol:         _ZN7rocprim17ROCPRIM_400000_NS6detail17trampoline_kernelINS0_14default_configENS1_35radix_sort_onesweep_config_selectorIjN6thrust23THRUST_200600_302600_NS5tupleIffNS6_9null_typeES8_S8_S8_S8_S8_S8_S8_EEEEZZNS1_29radix_sort_onesweep_iterationIS3_Lb0ENS6_6detail15normal_iteratorINS6_10device_ptrIjEEEESG_NSD_INSE_IS9_EEEESI_jNS0_19identity_decomposerENS1_16block_id_wrapperIjLb1EEEEE10hipError_tT1_PNSt15iterator_traitsISN_E10value_typeET2_T3_PNSO_IST_E10value_typeET4_T5_PSY_SZ_PNS1_23onesweep_lookback_stateEbbT6_jjT7_P12ihipStream_tbENKUlT_T0_SN_SS_E_clIPjSG_PS9_SI_EEDaS16_S17_SN_SS_EUlS16_E_NS1_11comp_targetILNS1_3genE8ELNS1_11target_archE1030ELNS1_3gpuE2ELNS1_3repE0EEENS1_47radix_sort_onesweep_sort_config_static_selectorELNS0_4arch9wavefront6targetE1EEEvSN_.kd
    .uniform_work_group_size: 1
    .uses_dynamic_stack: false
    .vgpr_count:     0
    .vgpr_spill_count: 0
    .wavefront_size: 64
  - .agpr_count:     0
    .args:
      - .offset:         0
        .size:           88
        .value_kind:     by_value
    .group_segment_fixed_size: 0
    .kernarg_segment_align: 8
    .kernarg_segment_size: 88
    .language:       OpenCL C
    .language_version:
      - 2
      - 0
    .max_flat_workgroup_size: 512
    .name:           _ZN7rocprim17ROCPRIM_400000_NS6detail17trampoline_kernelINS0_14default_configENS1_35radix_sort_onesweep_config_selectorIjN6thrust23THRUST_200600_302600_NS5tupleIffNS6_9null_typeES8_S8_S8_S8_S8_S8_S8_EEEEZZNS1_29radix_sort_onesweep_iterationIS3_Lb0ENS6_6detail15normal_iteratorINS6_10device_ptrIjEEEESG_NSD_INSE_IS9_EEEESI_jNS0_19identity_decomposerENS1_16block_id_wrapperIjLb0EEEEE10hipError_tT1_PNSt15iterator_traitsISN_E10value_typeET2_T3_PNSO_IST_E10value_typeET4_T5_PSY_SZ_PNS1_23onesweep_lookback_stateEbbT6_jjT7_P12ihipStream_tbENKUlT_T0_SN_SS_E_clISG_SG_SI_SI_EEDaS16_S17_SN_SS_EUlS16_E_NS1_11comp_targetILNS1_3genE0ELNS1_11target_archE4294967295ELNS1_3gpuE0ELNS1_3repE0EEENS1_47radix_sort_onesweep_sort_config_static_selectorELNS0_4arch9wavefront6targetE1EEEvSN_
    .private_segment_fixed_size: 0
    .sgpr_count:     4
    .sgpr_spill_count: 0
    .symbol:         _ZN7rocprim17ROCPRIM_400000_NS6detail17trampoline_kernelINS0_14default_configENS1_35radix_sort_onesweep_config_selectorIjN6thrust23THRUST_200600_302600_NS5tupleIffNS6_9null_typeES8_S8_S8_S8_S8_S8_S8_EEEEZZNS1_29radix_sort_onesweep_iterationIS3_Lb0ENS6_6detail15normal_iteratorINS6_10device_ptrIjEEEESG_NSD_INSE_IS9_EEEESI_jNS0_19identity_decomposerENS1_16block_id_wrapperIjLb0EEEEE10hipError_tT1_PNSt15iterator_traitsISN_E10value_typeET2_T3_PNSO_IST_E10value_typeET4_T5_PSY_SZ_PNS1_23onesweep_lookback_stateEbbT6_jjT7_P12ihipStream_tbENKUlT_T0_SN_SS_E_clISG_SG_SI_SI_EEDaS16_S17_SN_SS_EUlS16_E_NS1_11comp_targetILNS1_3genE0ELNS1_11target_archE4294967295ELNS1_3gpuE0ELNS1_3repE0EEENS1_47radix_sort_onesweep_sort_config_static_selectorELNS0_4arch9wavefront6targetE1EEEvSN_.kd
    .uniform_work_group_size: 1
    .uses_dynamic_stack: false
    .vgpr_count:     0
    .vgpr_spill_count: 0
    .wavefront_size: 64
  - .agpr_count:     0
    .args:
      - .offset:         0
        .size:           88
        .value_kind:     by_value
    .group_segment_fixed_size: 0
    .kernarg_segment_align: 8
    .kernarg_segment_size: 88
    .language:       OpenCL C
    .language_version:
      - 2
      - 0
    .max_flat_workgroup_size: 1024
    .name:           _ZN7rocprim17ROCPRIM_400000_NS6detail17trampoline_kernelINS0_14default_configENS1_35radix_sort_onesweep_config_selectorIjN6thrust23THRUST_200600_302600_NS5tupleIffNS6_9null_typeES8_S8_S8_S8_S8_S8_S8_EEEEZZNS1_29radix_sort_onesweep_iterationIS3_Lb0ENS6_6detail15normal_iteratorINS6_10device_ptrIjEEEESG_NSD_INSE_IS9_EEEESI_jNS0_19identity_decomposerENS1_16block_id_wrapperIjLb0EEEEE10hipError_tT1_PNSt15iterator_traitsISN_E10value_typeET2_T3_PNSO_IST_E10value_typeET4_T5_PSY_SZ_PNS1_23onesweep_lookback_stateEbbT6_jjT7_P12ihipStream_tbENKUlT_T0_SN_SS_E_clISG_SG_SI_SI_EEDaS16_S17_SN_SS_EUlS16_E_NS1_11comp_targetILNS1_3genE6ELNS1_11target_archE950ELNS1_3gpuE13ELNS1_3repE0EEENS1_47radix_sort_onesweep_sort_config_static_selectorELNS0_4arch9wavefront6targetE1EEEvSN_
    .private_segment_fixed_size: 0
    .sgpr_count:     4
    .sgpr_spill_count: 0
    .symbol:         _ZN7rocprim17ROCPRIM_400000_NS6detail17trampoline_kernelINS0_14default_configENS1_35radix_sort_onesweep_config_selectorIjN6thrust23THRUST_200600_302600_NS5tupleIffNS6_9null_typeES8_S8_S8_S8_S8_S8_S8_EEEEZZNS1_29radix_sort_onesweep_iterationIS3_Lb0ENS6_6detail15normal_iteratorINS6_10device_ptrIjEEEESG_NSD_INSE_IS9_EEEESI_jNS0_19identity_decomposerENS1_16block_id_wrapperIjLb0EEEEE10hipError_tT1_PNSt15iterator_traitsISN_E10value_typeET2_T3_PNSO_IST_E10value_typeET4_T5_PSY_SZ_PNS1_23onesweep_lookback_stateEbbT6_jjT7_P12ihipStream_tbENKUlT_T0_SN_SS_E_clISG_SG_SI_SI_EEDaS16_S17_SN_SS_EUlS16_E_NS1_11comp_targetILNS1_3genE6ELNS1_11target_archE950ELNS1_3gpuE13ELNS1_3repE0EEENS1_47radix_sort_onesweep_sort_config_static_selectorELNS0_4arch9wavefront6targetE1EEEvSN_.kd
    .uniform_work_group_size: 1
    .uses_dynamic_stack: false
    .vgpr_count:     0
    .vgpr_spill_count: 0
    .wavefront_size: 64
  - .agpr_count:     0
    .args:
      - .offset:         0
        .size:           88
        .value_kind:     by_value
    .group_segment_fixed_size: 0
    .kernarg_segment_align: 8
    .kernarg_segment_size: 88
    .language:       OpenCL C
    .language_version:
      - 2
      - 0
    .max_flat_workgroup_size: 1024
    .name:           _ZN7rocprim17ROCPRIM_400000_NS6detail17trampoline_kernelINS0_14default_configENS1_35radix_sort_onesweep_config_selectorIjN6thrust23THRUST_200600_302600_NS5tupleIffNS6_9null_typeES8_S8_S8_S8_S8_S8_S8_EEEEZZNS1_29radix_sort_onesweep_iterationIS3_Lb0ENS6_6detail15normal_iteratorINS6_10device_ptrIjEEEESG_NSD_INSE_IS9_EEEESI_jNS0_19identity_decomposerENS1_16block_id_wrapperIjLb0EEEEE10hipError_tT1_PNSt15iterator_traitsISN_E10value_typeET2_T3_PNSO_IST_E10value_typeET4_T5_PSY_SZ_PNS1_23onesweep_lookback_stateEbbT6_jjT7_P12ihipStream_tbENKUlT_T0_SN_SS_E_clISG_SG_SI_SI_EEDaS16_S17_SN_SS_EUlS16_E_NS1_11comp_targetILNS1_3genE5ELNS1_11target_archE942ELNS1_3gpuE9ELNS1_3repE0EEENS1_47radix_sort_onesweep_sort_config_static_selectorELNS0_4arch9wavefront6targetE1EEEvSN_
    .private_segment_fixed_size: 0
    .sgpr_count:     4
    .sgpr_spill_count: 0
    .symbol:         _ZN7rocprim17ROCPRIM_400000_NS6detail17trampoline_kernelINS0_14default_configENS1_35radix_sort_onesweep_config_selectorIjN6thrust23THRUST_200600_302600_NS5tupleIffNS6_9null_typeES8_S8_S8_S8_S8_S8_S8_EEEEZZNS1_29radix_sort_onesweep_iterationIS3_Lb0ENS6_6detail15normal_iteratorINS6_10device_ptrIjEEEESG_NSD_INSE_IS9_EEEESI_jNS0_19identity_decomposerENS1_16block_id_wrapperIjLb0EEEEE10hipError_tT1_PNSt15iterator_traitsISN_E10value_typeET2_T3_PNSO_IST_E10value_typeET4_T5_PSY_SZ_PNS1_23onesweep_lookback_stateEbbT6_jjT7_P12ihipStream_tbENKUlT_T0_SN_SS_E_clISG_SG_SI_SI_EEDaS16_S17_SN_SS_EUlS16_E_NS1_11comp_targetILNS1_3genE5ELNS1_11target_archE942ELNS1_3gpuE9ELNS1_3repE0EEENS1_47radix_sort_onesweep_sort_config_static_selectorELNS0_4arch9wavefront6targetE1EEEvSN_.kd
    .uniform_work_group_size: 1
    .uses_dynamic_stack: false
    .vgpr_count:     0
    .vgpr_spill_count: 0
    .wavefront_size: 64
  - .agpr_count:     0
    .args:
      - .offset:         0
        .size:           88
        .value_kind:     by_value
    .group_segment_fixed_size: 0
    .kernarg_segment_align: 8
    .kernarg_segment_size: 88
    .language:       OpenCL C
    .language_version:
      - 2
      - 0
    .max_flat_workgroup_size: 512
    .name:           _ZN7rocprim17ROCPRIM_400000_NS6detail17trampoline_kernelINS0_14default_configENS1_35radix_sort_onesweep_config_selectorIjN6thrust23THRUST_200600_302600_NS5tupleIffNS6_9null_typeES8_S8_S8_S8_S8_S8_S8_EEEEZZNS1_29radix_sort_onesweep_iterationIS3_Lb0ENS6_6detail15normal_iteratorINS6_10device_ptrIjEEEESG_NSD_INSE_IS9_EEEESI_jNS0_19identity_decomposerENS1_16block_id_wrapperIjLb0EEEEE10hipError_tT1_PNSt15iterator_traitsISN_E10value_typeET2_T3_PNSO_IST_E10value_typeET4_T5_PSY_SZ_PNS1_23onesweep_lookback_stateEbbT6_jjT7_P12ihipStream_tbENKUlT_T0_SN_SS_E_clISG_SG_SI_SI_EEDaS16_S17_SN_SS_EUlS16_E_NS1_11comp_targetILNS1_3genE2ELNS1_11target_archE906ELNS1_3gpuE6ELNS1_3repE0EEENS1_47radix_sort_onesweep_sort_config_static_selectorELNS0_4arch9wavefront6targetE1EEEvSN_
    .private_segment_fixed_size: 0
    .sgpr_count:     4
    .sgpr_spill_count: 0
    .symbol:         _ZN7rocprim17ROCPRIM_400000_NS6detail17trampoline_kernelINS0_14default_configENS1_35radix_sort_onesweep_config_selectorIjN6thrust23THRUST_200600_302600_NS5tupleIffNS6_9null_typeES8_S8_S8_S8_S8_S8_S8_EEEEZZNS1_29radix_sort_onesweep_iterationIS3_Lb0ENS6_6detail15normal_iteratorINS6_10device_ptrIjEEEESG_NSD_INSE_IS9_EEEESI_jNS0_19identity_decomposerENS1_16block_id_wrapperIjLb0EEEEE10hipError_tT1_PNSt15iterator_traitsISN_E10value_typeET2_T3_PNSO_IST_E10value_typeET4_T5_PSY_SZ_PNS1_23onesweep_lookback_stateEbbT6_jjT7_P12ihipStream_tbENKUlT_T0_SN_SS_E_clISG_SG_SI_SI_EEDaS16_S17_SN_SS_EUlS16_E_NS1_11comp_targetILNS1_3genE2ELNS1_11target_archE906ELNS1_3gpuE6ELNS1_3repE0EEENS1_47radix_sort_onesweep_sort_config_static_selectorELNS0_4arch9wavefront6targetE1EEEvSN_.kd
    .uniform_work_group_size: 1
    .uses_dynamic_stack: false
    .vgpr_count:     0
    .vgpr_spill_count: 0
    .wavefront_size: 64
  - .agpr_count:     0
    .args:
      - .offset:         0
        .size:           88
        .value_kind:     by_value
      - .offset:         88
        .size:           4
        .value_kind:     hidden_block_count_x
      - .offset:         92
        .size:           4
        .value_kind:     hidden_block_count_y
      - .offset:         96
        .size:           4
        .value_kind:     hidden_block_count_z
      - .offset:         100
        .size:           2
        .value_kind:     hidden_group_size_x
      - .offset:         102
        .size:           2
        .value_kind:     hidden_group_size_y
      - .offset:         104
        .size:           2
        .value_kind:     hidden_group_size_z
      - .offset:         106
        .size:           2
        .value_kind:     hidden_remainder_x
      - .offset:         108
        .size:           2
        .value_kind:     hidden_remainder_y
      - .offset:         110
        .size:           2
        .value_kind:     hidden_remainder_z
      - .offset:         128
        .size:           8
        .value_kind:     hidden_global_offset_x
      - .offset:         136
        .size:           8
        .value_kind:     hidden_global_offset_y
      - .offset:         144
        .size:           8
        .value_kind:     hidden_global_offset_z
      - .offset:         152
        .size:           2
        .value_kind:     hidden_grid_dims
    .group_segment_fixed_size: 10280
    .kernarg_segment_align: 8
    .kernarg_segment_size: 344
    .language:       OpenCL C
    .language_version:
      - 2
      - 0
    .max_flat_workgroup_size: 512
    .name:           _ZN7rocprim17ROCPRIM_400000_NS6detail17trampoline_kernelINS0_14default_configENS1_35radix_sort_onesweep_config_selectorIjN6thrust23THRUST_200600_302600_NS5tupleIffNS6_9null_typeES8_S8_S8_S8_S8_S8_S8_EEEEZZNS1_29radix_sort_onesweep_iterationIS3_Lb0ENS6_6detail15normal_iteratorINS6_10device_ptrIjEEEESG_NSD_INSE_IS9_EEEESI_jNS0_19identity_decomposerENS1_16block_id_wrapperIjLb0EEEEE10hipError_tT1_PNSt15iterator_traitsISN_E10value_typeET2_T3_PNSO_IST_E10value_typeET4_T5_PSY_SZ_PNS1_23onesweep_lookback_stateEbbT6_jjT7_P12ihipStream_tbENKUlT_T0_SN_SS_E_clISG_SG_SI_SI_EEDaS16_S17_SN_SS_EUlS16_E_NS1_11comp_targetILNS1_3genE4ELNS1_11target_archE910ELNS1_3gpuE8ELNS1_3repE0EEENS1_47radix_sort_onesweep_sort_config_static_selectorELNS0_4arch9wavefront6targetE1EEEvSN_
    .private_segment_fixed_size: 0
    .sgpr_count:     73
    .sgpr_spill_count: 0
    .symbol:         _ZN7rocprim17ROCPRIM_400000_NS6detail17trampoline_kernelINS0_14default_configENS1_35radix_sort_onesweep_config_selectorIjN6thrust23THRUST_200600_302600_NS5tupleIffNS6_9null_typeES8_S8_S8_S8_S8_S8_S8_EEEEZZNS1_29radix_sort_onesweep_iterationIS3_Lb0ENS6_6detail15normal_iteratorINS6_10device_ptrIjEEEESG_NSD_INSE_IS9_EEEESI_jNS0_19identity_decomposerENS1_16block_id_wrapperIjLb0EEEEE10hipError_tT1_PNSt15iterator_traitsISN_E10value_typeET2_T3_PNSO_IST_E10value_typeET4_T5_PSY_SZ_PNS1_23onesweep_lookback_stateEbbT6_jjT7_P12ihipStream_tbENKUlT_T0_SN_SS_E_clISG_SG_SI_SI_EEDaS16_S17_SN_SS_EUlS16_E_NS1_11comp_targetILNS1_3genE4ELNS1_11target_archE910ELNS1_3gpuE8ELNS1_3repE0EEENS1_47radix_sort_onesweep_sort_config_static_selectorELNS0_4arch9wavefront6targetE1EEEvSN_.kd
    .uniform_work_group_size: 1
    .uses_dynamic_stack: false
    .vgpr_count:     88
    .vgpr_spill_count: 0
    .wavefront_size: 64
  - .agpr_count:     0
    .args:
      - .offset:         0
        .size:           88
        .value_kind:     by_value
    .group_segment_fixed_size: 0
    .kernarg_segment_align: 8
    .kernarg_segment_size: 88
    .language:       OpenCL C
    .language_version:
      - 2
      - 0
    .max_flat_workgroup_size: 512
    .name:           _ZN7rocprim17ROCPRIM_400000_NS6detail17trampoline_kernelINS0_14default_configENS1_35radix_sort_onesweep_config_selectorIjN6thrust23THRUST_200600_302600_NS5tupleIffNS6_9null_typeES8_S8_S8_S8_S8_S8_S8_EEEEZZNS1_29radix_sort_onesweep_iterationIS3_Lb0ENS6_6detail15normal_iteratorINS6_10device_ptrIjEEEESG_NSD_INSE_IS9_EEEESI_jNS0_19identity_decomposerENS1_16block_id_wrapperIjLb0EEEEE10hipError_tT1_PNSt15iterator_traitsISN_E10value_typeET2_T3_PNSO_IST_E10value_typeET4_T5_PSY_SZ_PNS1_23onesweep_lookback_stateEbbT6_jjT7_P12ihipStream_tbENKUlT_T0_SN_SS_E_clISG_SG_SI_SI_EEDaS16_S17_SN_SS_EUlS16_E_NS1_11comp_targetILNS1_3genE3ELNS1_11target_archE908ELNS1_3gpuE7ELNS1_3repE0EEENS1_47radix_sort_onesweep_sort_config_static_selectorELNS0_4arch9wavefront6targetE1EEEvSN_
    .private_segment_fixed_size: 0
    .sgpr_count:     4
    .sgpr_spill_count: 0
    .symbol:         _ZN7rocprim17ROCPRIM_400000_NS6detail17trampoline_kernelINS0_14default_configENS1_35radix_sort_onesweep_config_selectorIjN6thrust23THRUST_200600_302600_NS5tupleIffNS6_9null_typeES8_S8_S8_S8_S8_S8_S8_EEEEZZNS1_29radix_sort_onesweep_iterationIS3_Lb0ENS6_6detail15normal_iteratorINS6_10device_ptrIjEEEESG_NSD_INSE_IS9_EEEESI_jNS0_19identity_decomposerENS1_16block_id_wrapperIjLb0EEEEE10hipError_tT1_PNSt15iterator_traitsISN_E10value_typeET2_T3_PNSO_IST_E10value_typeET4_T5_PSY_SZ_PNS1_23onesweep_lookback_stateEbbT6_jjT7_P12ihipStream_tbENKUlT_T0_SN_SS_E_clISG_SG_SI_SI_EEDaS16_S17_SN_SS_EUlS16_E_NS1_11comp_targetILNS1_3genE3ELNS1_11target_archE908ELNS1_3gpuE7ELNS1_3repE0EEENS1_47radix_sort_onesweep_sort_config_static_selectorELNS0_4arch9wavefront6targetE1EEEvSN_.kd
    .uniform_work_group_size: 1
    .uses_dynamic_stack: false
    .vgpr_count:     0
    .vgpr_spill_count: 0
    .wavefront_size: 64
  - .agpr_count:     0
    .args:
      - .offset:         0
        .size:           88
        .value_kind:     by_value
    .group_segment_fixed_size: 0
    .kernarg_segment_align: 8
    .kernarg_segment_size: 88
    .language:       OpenCL C
    .language_version:
      - 2
      - 0
    .max_flat_workgroup_size: 1024
    .name:           _ZN7rocprim17ROCPRIM_400000_NS6detail17trampoline_kernelINS0_14default_configENS1_35radix_sort_onesweep_config_selectorIjN6thrust23THRUST_200600_302600_NS5tupleIffNS6_9null_typeES8_S8_S8_S8_S8_S8_S8_EEEEZZNS1_29radix_sort_onesweep_iterationIS3_Lb0ENS6_6detail15normal_iteratorINS6_10device_ptrIjEEEESG_NSD_INSE_IS9_EEEESI_jNS0_19identity_decomposerENS1_16block_id_wrapperIjLb0EEEEE10hipError_tT1_PNSt15iterator_traitsISN_E10value_typeET2_T3_PNSO_IST_E10value_typeET4_T5_PSY_SZ_PNS1_23onesweep_lookback_stateEbbT6_jjT7_P12ihipStream_tbENKUlT_T0_SN_SS_E_clISG_SG_SI_SI_EEDaS16_S17_SN_SS_EUlS16_E_NS1_11comp_targetILNS1_3genE10ELNS1_11target_archE1201ELNS1_3gpuE5ELNS1_3repE0EEENS1_47radix_sort_onesweep_sort_config_static_selectorELNS0_4arch9wavefront6targetE1EEEvSN_
    .private_segment_fixed_size: 0
    .sgpr_count:     4
    .sgpr_spill_count: 0
    .symbol:         _ZN7rocprim17ROCPRIM_400000_NS6detail17trampoline_kernelINS0_14default_configENS1_35radix_sort_onesweep_config_selectorIjN6thrust23THRUST_200600_302600_NS5tupleIffNS6_9null_typeES8_S8_S8_S8_S8_S8_S8_EEEEZZNS1_29radix_sort_onesweep_iterationIS3_Lb0ENS6_6detail15normal_iteratorINS6_10device_ptrIjEEEESG_NSD_INSE_IS9_EEEESI_jNS0_19identity_decomposerENS1_16block_id_wrapperIjLb0EEEEE10hipError_tT1_PNSt15iterator_traitsISN_E10value_typeET2_T3_PNSO_IST_E10value_typeET4_T5_PSY_SZ_PNS1_23onesweep_lookback_stateEbbT6_jjT7_P12ihipStream_tbENKUlT_T0_SN_SS_E_clISG_SG_SI_SI_EEDaS16_S17_SN_SS_EUlS16_E_NS1_11comp_targetILNS1_3genE10ELNS1_11target_archE1201ELNS1_3gpuE5ELNS1_3repE0EEENS1_47radix_sort_onesweep_sort_config_static_selectorELNS0_4arch9wavefront6targetE1EEEvSN_.kd
    .uniform_work_group_size: 1
    .uses_dynamic_stack: false
    .vgpr_count:     0
    .vgpr_spill_count: 0
    .wavefront_size: 64
  - .agpr_count:     0
    .args:
      - .offset:         0
        .size:           88
        .value_kind:     by_value
    .group_segment_fixed_size: 0
    .kernarg_segment_align: 8
    .kernarg_segment_size: 88
    .language:       OpenCL C
    .language_version:
      - 2
      - 0
    .max_flat_workgroup_size: 1024
    .name:           _ZN7rocprim17ROCPRIM_400000_NS6detail17trampoline_kernelINS0_14default_configENS1_35radix_sort_onesweep_config_selectorIjN6thrust23THRUST_200600_302600_NS5tupleIffNS6_9null_typeES8_S8_S8_S8_S8_S8_S8_EEEEZZNS1_29radix_sort_onesweep_iterationIS3_Lb0ENS6_6detail15normal_iteratorINS6_10device_ptrIjEEEESG_NSD_INSE_IS9_EEEESI_jNS0_19identity_decomposerENS1_16block_id_wrapperIjLb0EEEEE10hipError_tT1_PNSt15iterator_traitsISN_E10value_typeET2_T3_PNSO_IST_E10value_typeET4_T5_PSY_SZ_PNS1_23onesweep_lookback_stateEbbT6_jjT7_P12ihipStream_tbENKUlT_T0_SN_SS_E_clISG_SG_SI_SI_EEDaS16_S17_SN_SS_EUlS16_E_NS1_11comp_targetILNS1_3genE9ELNS1_11target_archE1100ELNS1_3gpuE3ELNS1_3repE0EEENS1_47radix_sort_onesweep_sort_config_static_selectorELNS0_4arch9wavefront6targetE1EEEvSN_
    .private_segment_fixed_size: 0
    .sgpr_count:     4
    .sgpr_spill_count: 0
    .symbol:         _ZN7rocprim17ROCPRIM_400000_NS6detail17trampoline_kernelINS0_14default_configENS1_35radix_sort_onesweep_config_selectorIjN6thrust23THRUST_200600_302600_NS5tupleIffNS6_9null_typeES8_S8_S8_S8_S8_S8_S8_EEEEZZNS1_29radix_sort_onesweep_iterationIS3_Lb0ENS6_6detail15normal_iteratorINS6_10device_ptrIjEEEESG_NSD_INSE_IS9_EEEESI_jNS0_19identity_decomposerENS1_16block_id_wrapperIjLb0EEEEE10hipError_tT1_PNSt15iterator_traitsISN_E10value_typeET2_T3_PNSO_IST_E10value_typeET4_T5_PSY_SZ_PNS1_23onesweep_lookback_stateEbbT6_jjT7_P12ihipStream_tbENKUlT_T0_SN_SS_E_clISG_SG_SI_SI_EEDaS16_S17_SN_SS_EUlS16_E_NS1_11comp_targetILNS1_3genE9ELNS1_11target_archE1100ELNS1_3gpuE3ELNS1_3repE0EEENS1_47radix_sort_onesweep_sort_config_static_selectorELNS0_4arch9wavefront6targetE1EEEvSN_.kd
    .uniform_work_group_size: 1
    .uses_dynamic_stack: false
    .vgpr_count:     0
    .vgpr_spill_count: 0
    .wavefront_size: 64
  - .agpr_count:     0
    .args:
      - .offset:         0
        .size:           88
        .value_kind:     by_value
    .group_segment_fixed_size: 0
    .kernarg_segment_align: 8
    .kernarg_segment_size: 88
    .language:       OpenCL C
    .language_version:
      - 2
      - 0
    .max_flat_workgroup_size: 1024
    .name:           _ZN7rocprim17ROCPRIM_400000_NS6detail17trampoline_kernelINS0_14default_configENS1_35radix_sort_onesweep_config_selectorIjN6thrust23THRUST_200600_302600_NS5tupleIffNS6_9null_typeES8_S8_S8_S8_S8_S8_S8_EEEEZZNS1_29radix_sort_onesweep_iterationIS3_Lb0ENS6_6detail15normal_iteratorINS6_10device_ptrIjEEEESG_NSD_INSE_IS9_EEEESI_jNS0_19identity_decomposerENS1_16block_id_wrapperIjLb0EEEEE10hipError_tT1_PNSt15iterator_traitsISN_E10value_typeET2_T3_PNSO_IST_E10value_typeET4_T5_PSY_SZ_PNS1_23onesweep_lookback_stateEbbT6_jjT7_P12ihipStream_tbENKUlT_T0_SN_SS_E_clISG_SG_SI_SI_EEDaS16_S17_SN_SS_EUlS16_E_NS1_11comp_targetILNS1_3genE8ELNS1_11target_archE1030ELNS1_3gpuE2ELNS1_3repE0EEENS1_47radix_sort_onesweep_sort_config_static_selectorELNS0_4arch9wavefront6targetE1EEEvSN_
    .private_segment_fixed_size: 0
    .sgpr_count:     4
    .sgpr_spill_count: 0
    .symbol:         _ZN7rocprim17ROCPRIM_400000_NS6detail17trampoline_kernelINS0_14default_configENS1_35radix_sort_onesweep_config_selectorIjN6thrust23THRUST_200600_302600_NS5tupleIffNS6_9null_typeES8_S8_S8_S8_S8_S8_S8_EEEEZZNS1_29radix_sort_onesweep_iterationIS3_Lb0ENS6_6detail15normal_iteratorINS6_10device_ptrIjEEEESG_NSD_INSE_IS9_EEEESI_jNS0_19identity_decomposerENS1_16block_id_wrapperIjLb0EEEEE10hipError_tT1_PNSt15iterator_traitsISN_E10value_typeET2_T3_PNSO_IST_E10value_typeET4_T5_PSY_SZ_PNS1_23onesweep_lookback_stateEbbT6_jjT7_P12ihipStream_tbENKUlT_T0_SN_SS_E_clISG_SG_SI_SI_EEDaS16_S17_SN_SS_EUlS16_E_NS1_11comp_targetILNS1_3genE8ELNS1_11target_archE1030ELNS1_3gpuE2ELNS1_3repE0EEENS1_47radix_sort_onesweep_sort_config_static_selectorELNS0_4arch9wavefront6targetE1EEEvSN_.kd
    .uniform_work_group_size: 1
    .uses_dynamic_stack: false
    .vgpr_count:     0
    .vgpr_spill_count: 0
    .wavefront_size: 64
  - .agpr_count:     0
    .args:
      - .offset:         0
        .size:           88
        .value_kind:     by_value
    .group_segment_fixed_size: 0
    .kernarg_segment_align: 8
    .kernarg_segment_size: 88
    .language:       OpenCL C
    .language_version:
      - 2
      - 0
    .max_flat_workgroup_size: 512
    .name:           _ZN7rocprim17ROCPRIM_400000_NS6detail17trampoline_kernelINS0_14default_configENS1_35radix_sort_onesweep_config_selectorIjN6thrust23THRUST_200600_302600_NS5tupleIffNS6_9null_typeES8_S8_S8_S8_S8_S8_S8_EEEEZZNS1_29radix_sort_onesweep_iterationIS3_Lb0ENS6_6detail15normal_iteratorINS6_10device_ptrIjEEEESG_NSD_INSE_IS9_EEEESI_jNS0_19identity_decomposerENS1_16block_id_wrapperIjLb0EEEEE10hipError_tT1_PNSt15iterator_traitsISN_E10value_typeET2_T3_PNSO_IST_E10value_typeET4_T5_PSY_SZ_PNS1_23onesweep_lookback_stateEbbT6_jjT7_P12ihipStream_tbENKUlT_T0_SN_SS_E_clISG_PjSI_PS9_EEDaS16_S17_SN_SS_EUlS16_E_NS1_11comp_targetILNS1_3genE0ELNS1_11target_archE4294967295ELNS1_3gpuE0ELNS1_3repE0EEENS1_47radix_sort_onesweep_sort_config_static_selectorELNS0_4arch9wavefront6targetE1EEEvSN_
    .private_segment_fixed_size: 0
    .sgpr_count:     4
    .sgpr_spill_count: 0
    .symbol:         _ZN7rocprim17ROCPRIM_400000_NS6detail17trampoline_kernelINS0_14default_configENS1_35radix_sort_onesweep_config_selectorIjN6thrust23THRUST_200600_302600_NS5tupleIffNS6_9null_typeES8_S8_S8_S8_S8_S8_S8_EEEEZZNS1_29radix_sort_onesweep_iterationIS3_Lb0ENS6_6detail15normal_iteratorINS6_10device_ptrIjEEEESG_NSD_INSE_IS9_EEEESI_jNS0_19identity_decomposerENS1_16block_id_wrapperIjLb0EEEEE10hipError_tT1_PNSt15iterator_traitsISN_E10value_typeET2_T3_PNSO_IST_E10value_typeET4_T5_PSY_SZ_PNS1_23onesweep_lookback_stateEbbT6_jjT7_P12ihipStream_tbENKUlT_T0_SN_SS_E_clISG_PjSI_PS9_EEDaS16_S17_SN_SS_EUlS16_E_NS1_11comp_targetILNS1_3genE0ELNS1_11target_archE4294967295ELNS1_3gpuE0ELNS1_3repE0EEENS1_47radix_sort_onesweep_sort_config_static_selectorELNS0_4arch9wavefront6targetE1EEEvSN_.kd
    .uniform_work_group_size: 1
    .uses_dynamic_stack: false
    .vgpr_count:     0
    .vgpr_spill_count: 0
    .wavefront_size: 64
  - .agpr_count:     0
    .args:
      - .offset:         0
        .size:           88
        .value_kind:     by_value
    .group_segment_fixed_size: 0
    .kernarg_segment_align: 8
    .kernarg_segment_size: 88
    .language:       OpenCL C
    .language_version:
      - 2
      - 0
    .max_flat_workgroup_size: 1024
    .name:           _ZN7rocprim17ROCPRIM_400000_NS6detail17trampoline_kernelINS0_14default_configENS1_35radix_sort_onesweep_config_selectorIjN6thrust23THRUST_200600_302600_NS5tupleIffNS6_9null_typeES8_S8_S8_S8_S8_S8_S8_EEEEZZNS1_29radix_sort_onesweep_iterationIS3_Lb0ENS6_6detail15normal_iteratorINS6_10device_ptrIjEEEESG_NSD_INSE_IS9_EEEESI_jNS0_19identity_decomposerENS1_16block_id_wrapperIjLb0EEEEE10hipError_tT1_PNSt15iterator_traitsISN_E10value_typeET2_T3_PNSO_IST_E10value_typeET4_T5_PSY_SZ_PNS1_23onesweep_lookback_stateEbbT6_jjT7_P12ihipStream_tbENKUlT_T0_SN_SS_E_clISG_PjSI_PS9_EEDaS16_S17_SN_SS_EUlS16_E_NS1_11comp_targetILNS1_3genE6ELNS1_11target_archE950ELNS1_3gpuE13ELNS1_3repE0EEENS1_47radix_sort_onesweep_sort_config_static_selectorELNS0_4arch9wavefront6targetE1EEEvSN_
    .private_segment_fixed_size: 0
    .sgpr_count:     4
    .sgpr_spill_count: 0
    .symbol:         _ZN7rocprim17ROCPRIM_400000_NS6detail17trampoline_kernelINS0_14default_configENS1_35radix_sort_onesweep_config_selectorIjN6thrust23THRUST_200600_302600_NS5tupleIffNS6_9null_typeES8_S8_S8_S8_S8_S8_S8_EEEEZZNS1_29radix_sort_onesweep_iterationIS3_Lb0ENS6_6detail15normal_iteratorINS6_10device_ptrIjEEEESG_NSD_INSE_IS9_EEEESI_jNS0_19identity_decomposerENS1_16block_id_wrapperIjLb0EEEEE10hipError_tT1_PNSt15iterator_traitsISN_E10value_typeET2_T3_PNSO_IST_E10value_typeET4_T5_PSY_SZ_PNS1_23onesweep_lookback_stateEbbT6_jjT7_P12ihipStream_tbENKUlT_T0_SN_SS_E_clISG_PjSI_PS9_EEDaS16_S17_SN_SS_EUlS16_E_NS1_11comp_targetILNS1_3genE6ELNS1_11target_archE950ELNS1_3gpuE13ELNS1_3repE0EEENS1_47radix_sort_onesweep_sort_config_static_selectorELNS0_4arch9wavefront6targetE1EEEvSN_.kd
    .uniform_work_group_size: 1
    .uses_dynamic_stack: false
    .vgpr_count:     0
    .vgpr_spill_count: 0
    .wavefront_size: 64
  - .agpr_count:     0
    .args:
      - .offset:         0
        .size:           88
        .value_kind:     by_value
    .group_segment_fixed_size: 0
    .kernarg_segment_align: 8
    .kernarg_segment_size: 88
    .language:       OpenCL C
    .language_version:
      - 2
      - 0
    .max_flat_workgroup_size: 1024
    .name:           _ZN7rocprim17ROCPRIM_400000_NS6detail17trampoline_kernelINS0_14default_configENS1_35radix_sort_onesweep_config_selectorIjN6thrust23THRUST_200600_302600_NS5tupleIffNS6_9null_typeES8_S8_S8_S8_S8_S8_S8_EEEEZZNS1_29radix_sort_onesweep_iterationIS3_Lb0ENS6_6detail15normal_iteratorINS6_10device_ptrIjEEEESG_NSD_INSE_IS9_EEEESI_jNS0_19identity_decomposerENS1_16block_id_wrapperIjLb0EEEEE10hipError_tT1_PNSt15iterator_traitsISN_E10value_typeET2_T3_PNSO_IST_E10value_typeET4_T5_PSY_SZ_PNS1_23onesweep_lookback_stateEbbT6_jjT7_P12ihipStream_tbENKUlT_T0_SN_SS_E_clISG_PjSI_PS9_EEDaS16_S17_SN_SS_EUlS16_E_NS1_11comp_targetILNS1_3genE5ELNS1_11target_archE942ELNS1_3gpuE9ELNS1_3repE0EEENS1_47radix_sort_onesweep_sort_config_static_selectorELNS0_4arch9wavefront6targetE1EEEvSN_
    .private_segment_fixed_size: 0
    .sgpr_count:     4
    .sgpr_spill_count: 0
    .symbol:         _ZN7rocprim17ROCPRIM_400000_NS6detail17trampoline_kernelINS0_14default_configENS1_35radix_sort_onesweep_config_selectorIjN6thrust23THRUST_200600_302600_NS5tupleIffNS6_9null_typeES8_S8_S8_S8_S8_S8_S8_EEEEZZNS1_29radix_sort_onesweep_iterationIS3_Lb0ENS6_6detail15normal_iteratorINS6_10device_ptrIjEEEESG_NSD_INSE_IS9_EEEESI_jNS0_19identity_decomposerENS1_16block_id_wrapperIjLb0EEEEE10hipError_tT1_PNSt15iterator_traitsISN_E10value_typeET2_T3_PNSO_IST_E10value_typeET4_T5_PSY_SZ_PNS1_23onesweep_lookback_stateEbbT6_jjT7_P12ihipStream_tbENKUlT_T0_SN_SS_E_clISG_PjSI_PS9_EEDaS16_S17_SN_SS_EUlS16_E_NS1_11comp_targetILNS1_3genE5ELNS1_11target_archE942ELNS1_3gpuE9ELNS1_3repE0EEENS1_47radix_sort_onesweep_sort_config_static_selectorELNS0_4arch9wavefront6targetE1EEEvSN_.kd
    .uniform_work_group_size: 1
    .uses_dynamic_stack: false
    .vgpr_count:     0
    .vgpr_spill_count: 0
    .wavefront_size: 64
  - .agpr_count:     0
    .args:
      - .offset:         0
        .size:           88
        .value_kind:     by_value
    .group_segment_fixed_size: 0
    .kernarg_segment_align: 8
    .kernarg_segment_size: 88
    .language:       OpenCL C
    .language_version:
      - 2
      - 0
    .max_flat_workgroup_size: 512
    .name:           _ZN7rocprim17ROCPRIM_400000_NS6detail17trampoline_kernelINS0_14default_configENS1_35radix_sort_onesweep_config_selectorIjN6thrust23THRUST_200600_302600_NS5tupleIffNS6_9null_typeES8_S8_S8_S8_S8_S8_S8_EEEEZZNS1_29radix_sort_onesweep_iterationIS3_Lb0ENS6_6detail15normal_iteratorINS6_10device_ptrIjEEEESG_NSD_INSE_IS9_EEEESI_jNS0_19identity_decomposerENS1_16block_id_wrapperIjLb0EEEEE10hipError_tT1_PNSt15iterator_traitsISN_E10value_typeET2_T3_PNSO_IST_E10value_typeET4_T5_PSY_SZ_PNS1_23onesweep_lookback_stateEbbT6_jjT7_P12ihipStream_tbENKUlT_T0_SN_SS_E_clISG_PjSI_PS9_EEDaS16_S17_SN_SS_EUlS16_E_NS1_11comp_targetILNS1_3genE2ELNS1_11target_archE906ELNS1_3gpuE6ELNS1_3repE0EEENS1_47radix_sort_onesweep_sort_config_static_selectorELNS0_4arch9wavefront6targetE1EEEvSN_
    .private_segment_fixed_size: 0
    .sgpr_count:     4
    .sgpr_spill_count: 0
    .symbol:         _ZN7rocprim17ROCPRIM_400000_NS6detail17trampoline_kernelINS0_14default_configENS1_35radix_sort_onesweep_config_selectorIjN6thrust23THRUST_200600_302600_NS5tupleIffNS6_9null_typeES8_S8_S8_S8_S8_S8_S8_EEEEZZNS1_29radix_sort_onesweep_iterationIS3_Lb0ENS6_6detail15normal_iteratorINS6_10device_ptrIjEEEESG_NSD_INSE_IS9_EEEESI_jNS0_19identity_decomposerENS1_16block_id_wrapperIjLb0EEEEE10hipError_tT1_PNSt15iterator_traitsISN_E10value_typeET2_T3_PNSO_IST_E10value_typeET4_T5_PSY_SZ_PNS1_23onesweep_lookback_stateEbbT6_jjT7_P12ihipStream_tbENKUlT_T0_SN_SS_E_clISG_PjSI_PS9_EEDaS16_S17_SN_SS_EUlS16_E_NS1_11comp_targetILNS1_3genE2ELNS1_11target_archE906ELNS1_3gpuE6ELNS1_3repE0EEENS1_47radix_sort_onesweep_sort_config_static_selectorELNS0_4arch9wavefront6targetE1EEEvSN_.kd
    .uniform_work_group_size: 1
    .uses_dynamic_stack: false
    .vgpr_count:     0
    .vgpr_spill_count: 0
    .wavefront_size: 64
  - .agpr_count:     0
    .args:
      - .offset:         0
        .size:           88
        .value_kind:     by_value
      - .offset:         88
        .size:           4
        .value_kind:     hidden_block_count_x
      - .offset:         92
        .size:           4
        .value_kind:     hidden_block_count_y
      - .offset:         96
        .size:           4
        .value_kind:     hidden_block_count_z
      - .offset:         100
        .size:           2
        .value_kind:     hidden_group_size_x
      - .offset:         102
        .size:           2
        .value_kind:     hidden_group_size_y
      - .offset:         104
        .size:           2
        .value_kind:     hidden_group_size_z
      - .offset:         106
        .size:           2
        .value_kind:     hidden_remainder_x
      - .offset:         108
        .size:           2
        .value_kind:     hidden_remainder_y
      - .offset:         110
        .size:           2
        .value_kind:     hidden_remainder_z
      - .offset:         128
        .size:           8
        .value_kind:     hidden_global_offset_x
      - .offset:         136
        .size:           8
        .value_kind:     hidden_global_offset_y
      - .offset:         144
        .size:           8
        .value_kind:     hidden_global_offset_z
      - .offset:         152
        .size:           2
        .value_kind:     hidden_grid_dims
    .group_segment_fixed_size: 10280
    .kernarg_segment_align: 8
    .kernarg_segment_size: 344
    .language:       OpenCL C
    .language_version:
      - 2
      - 0
    .max_flat_workgroup_size: 512
    .name:           _ZN7rocprim17ROCPRIM_400000_NS6detail17trampoline_kernelINS0_14default_configENS1_35radix_sort_onesweep_config_selectorIjN6thrust23THRUST_200600_302600_NS5tupleIffNS6_9null_typeES8_S8_S8_S8_S8_S8_S8_EEEEZZNS1_29radix_sort_onesweep_iterationIS3_Lb0ENS6_6detail15normal_iteratorINS6_10device_ptrIjEEEESG_NSD_INSE_IS9_EEEESI_jNS0_19identity_decomposerENS1_16block_id_wrapperIjLb0EEEEE10hipError_tT1_PNSt15iterator_traitsISN_E10value_typeET2_T3_PNSO_IST_E10value_typeET4_T5_PSY_SZ_PNS1_23onesweep_lookback_stateEbbT6_jjT7_P12ihipStream_tbENKUlT_T0_SN_SS_E_clISG_PjSI_PS9_EEDaS16_S17_SN_SS_EUlS16_E_NS1_11comp_targetILNS1_3genE4ELNS1_11target_archE910ELNS1_3gpuE8ELNS1_3repE0EEENS1_47radix_sort_onesweep_sort_config_static_selectorELNS0_4arch9wavefront6targetE1EEEvSN_
    .private_segment_fixed_size: 0
    .sgpr_count:     73
    .sgpr_spill_count: 0
    .symbol:         _ZN7rocprim17ROCPRIM_400000_NS6detail17trampoline_kernelINS0_14default_configENS1_35radix_sort_onesweep_config_selectorIjN6thrust23THRUST_200600_302600_NS5tupleIffNS6_9null_typeES8_S8_S8_S8_S8_S8_S8_EEEEZZNS1_29radix_sort_onesweep_iterationIS3_Lb0ENS6_6detail15normal_iteratorINS6_10device_ptrIjEEEESG_NSD_INSE_IS9_EEEESI_jNS0_19identity_decomposerENS1_16block_id_wrapperIjLb0EEEEE10hipError_tT1_PNSt15iterator_traitsISN_E10value_typeET2_T3_PNSO_IST_E10value_typeET4_T5_PSY_SZ_PNS1_23onesweep_lookback_stateEbbT6_jjT7_P12ihipStream_tbENKUlT_T0_SN_SS_E_clISG_PjSI_PS9_EEDaS16_S17_SN_SS_EUlS16_E_NS1_11comp_targetILNS1_3genE4ELNS1_11target_archE910ELNS1_3gpuE8ELNS1_3repE0EEENS1_47radix_sort_onesweep_sort_config_static_selectorELNS0_4arch9wavefront6targetE1EEEvSN_.kd
    .uniform_work_group_size: 1
    .uses_dynamic_stack: false
    .vgpr_count:     88
    .vgpr_spill_count: 0
    .wavefront_size: 64
  - .agpr_count:     0
    .args:
      - .offset:         0
        .size:           88
        .value_kind:     by_value
    .group_segment_fixed_size: 0
    .kernarg_segment_align: 8
    .kernarg_segment_size: 88
    .language:       OpenCL C
    .language_version:
      - 2
      - 0
    .max_flat_workgroup_size: 512
    .name:           _ZN7rocprim17ROCPRIM_400000_NS6detail17trampoline_kernelINS0_14default_configENS1_35radix_sort_onesweep_config_selectorIjN6thrust23THRUST_200600_302600_NS5tupleIffNS6_9null_typeES8_S8_S8_S8_S8_S8_S8_EEEEZZNS1_29radix_sort_onesweep_iterationIS3_Lb0ENS6_6detail15normal_iteratorINS6_10device_ptrIjEEEESG_NSD_INSE_IS9_EEEESI_jNS0_19identity_decomposerENS1_16block_id_wrapperIjLb0EEEEE10hipError_tT1_PNSt15iterator_traitsISN_E10value_typeET2_T3_PNSO_IST_E10value_typeET4_T5_PSY_SZ_PNS1_23onesweep_lookback_stateEbbT6_jjT7_P12ihipStream_tbENKUlT_T0_SN_SS_E_clISG_PjSI_PS9_EEDaS16_S17_SN_SS_EUlS16_E_NS1_11comp_targetILNS1_3genE3ELNS1_11target_archE908ELNS1_3gpuE7ELNS1_3repE0EEENS1_47radix_sort_onesweep_sort_config_static_selectorELNS0_4arch9wavefront6targetE1EEEvSN_
    .private_segment_fixed_size: 0
    .sgpr_count:     4
    .sgpr_spill_count: 0
    .symbol:         _ZN7rocprim17ROCPRIM_400000_NS6detail17trampoline_kernelINS0_14default_configENS1_35radix_sort_onesweep_config_selectorIjN6thrust23THRUST_200600_302600_NS5tupleIffNS6_9null_typeES8_S8_S8_S8_S8_S8_S8_EEEEZZNS1_29radix_sort_onesweep_iterationIS3_Lb0ENS6_6detail15normal_iteratorINS6_10device_ptrIjEEEESG_NSD_INSE_IS9_EEEESI_jNS0_19identity_decomposerENS1_16block_id_wrapperIjLb0EEEEE10hipError_tT1_PNSt15iterator_traitsISN_E10value_typeET2_T3_PNSO_IST_E10value_typeET4_T5_PSY_SZ_PNS1_23onesweep_lookback_stateEbbT6_jjT7_P12ihipStream_tbENKUlT_T0_SN_SS_E_clISG_PjSI_PS9_EEDaS16_S17_SN_SS_EUlS16_E_NS1_11comp_targetILNS1_3genE3ELNS1_11target_archE908ELNS1_3gpuE7ELNS1_3repE0EEENS1_47radix_sort_onesweep_sort_config_static_selectorELNS0_4arch9wavefront6targetE1EEEvSN_.kd
    .uniform_work_group_size: 1
    .uses_dynamic_stack: false
    .vgpr_count:     0
    .vgpr_spill_count: 0
    .wavefront_size: 64
  - .agpr_count:     0
    .args:
      - .offset:         0
        .size:           88
        .value_kind:     by_value
    .group_segment_fixed_size: 0
    .kernarg_segment_align: 8
    .kernarg_segment_size: 88
    .language:       OpenCL C
    .language_version:
      - 2
      - 0
    .max_flat_workgroup_size: 1024
    .name:           _ZN7rocprim17ROCPRIM_400000_NS6detail17trampoline_kernelINS0_14default_configENS1_35radix_sort_onesweep_config_selectorIjN6thrust23THRUST_200600_302600_NS5tupleIffNS6_9null_typeES8_S8_S8_S8_S8_S8_S8_EEEEZZNS1_29radix_sort_onesweep_iterationIS3_Lb0ENS6_6detail15normal_iteratorINS6_10device_ptrIjEEEESG_NSD_INSE_IS9_EEEESI_jNS0_19identity_decomposerENS1_16block_id_wrapperIjLb0EEEEE10hipError_tT1_PNSt15iterator_traitsISN_E10value_typeET2_T3_PNSO_IST_E10value_typeET4_T5_PSY_SZ_PNS1_23onesweep_lookback_stateEbbT6_jjT7_P12ihipStream_tbENKUlT_T0_SN_SS_E_clISG_PjSI_PS9_EEDaS16_S17_SN_SS_EUlS16_E_NS1_11comp_targetILNS1_3genE10ELNS1_11target_archE1201ELNS1_3gpuE5ELNS1_3repE0EEENS1_47radix_sort_onesweep_sort_config_static_selectorELNS0_4arch9wavefront6targetE1EEEvSN_
    .private_segment_fixed_size: 0
    .sgpr_count:     4
    .sgpr_spill_count: 0
    .symbol:         _ZN7rocprim17ROCPRIM_400000_NS6detail17trampoline_kernelINS0_14default_configENS1_35radix_sort_onesweep_config_selectorIjN6thrust23THRUST_200600_302600_NS5tupleIffNS6_9null_typeES8_S8_S8_S8_S8_S8_S8_EEEEZZNS1_29radix_sort_onesweep_iterationIS3_Lb0ENS6_6detail15normal_iteratorINS6_10device_ptrIjEEEESG_NSD_INSE_IS9_EEEESI_jNS0_19identity_decomposerENS1_16block_id_wrapperIjLb0EEEEE10hipError_tT1_PNSt15iterator_traitsISN_E10value_typeET2_T3_PNSO_IST_E10value_typeET4_T5_PSY_SZ_PNS1_23onesweep_lookback_stateEbbT6_jjT7_P12ihipStream_tbENKUlT_T0_SN_SS_E_clISG_PjSI_PS9_EEDaS16_S17_SN_SS_EUlS16_E_NS1_11comp_targetILNS1_3genE10ELNS1_11target_archE1201ELNS1_3gpuE5ELNS1_3repE0EEENS1_47radix_sort_onesweep_sort_config_static_selectorELNS0_4arch9wavefront6targetE1EEEvSN_.kd
    .uniform_work_group_size: 1
    .uses_dynamic_stack: false
    .vgpr_count:     0
    .vgpr_spill_count: 0
    .wavefront_size: 64
  - .agpr_count:     0
    .args:
      - .offset:         0
        .size:           88
        .value_kind:     by_value
    .group_segment_fixed_size: 0
    .kernarg_segment_align: 8
    .kernarg_segment_size: 88
    .language:       OpenCL C
    .language_version:
      - 2
      - 0
    .max_flat_workgroup_size: 1024
    .name:           _ZN7rocprim17ROCPRIM_400000_NS6detail17trampoline_kernelINS0_14default_configENS1_35radix_sort_onesweep_config_selectorIjN6thrust23THRUST_200600_302600_NS5tupleIffNS6_9null_typeES8_S8_S8_S8_S8_S8_S8_EEEEZZNS1_29radix_sort_onesweep_iterationIS3_Lb0ENS6_6detail15normal_iteratorINS6_10device_ptrIjEEEESG_NSD_INSE_IS9_EEEESI_jNS0_19identity_decomposerENS1_16block_id_wrapperIjLb0EEEEE10hipError_tT1_PNSt15iterator_traitsISN_E10value_typeET2_T3_PNSO_IST_E10value_typeET4_T5_PSY_SZ_PNS1_23onesweep_lookback_stateEbbT6_jjT7_P12ihipStream_tbENKUlT_T0_SN_SS_E_clISG_PjSI_PS9_EEDaS16_S17_SN_SS_EUlS16_E_NS1_11comp_targetILNS1_3genE9ELNS1_11target_archE1100ELNS1_3gpuE3ELNS1_3repE0EEENS1_47radix_sort_onesweep_sort_config_static_selectorELNS0_4arch9wavefront6targetE1EEEvSN_
    .private_segment_fixed_size: 0
    .sgpr_count:     4
    .sgpr_spill_count: 0
    .symbol:         _ZN7rocprim17ROCPRIM_400000_NS6detail17trampoline_kernelINS0_14default_configENS1_35radix_sort_onesweep_config_selectorIjN6thrust23THRUST_200600_302600_NS5tupleIffNS6_9null_typeES8_S8_S8_S8_S8_S8_S8_EEEEZZNS1_29radix_sort_onesweep_iterationIS3_Lb0ENS6_6detail15normal_iteratorINS6_10device_ptrIjEEEESG_NSD_INSE_IS9_EEEESI_jNS0_19identity_decomposerENS1_16block_id_wrapperIjLb0EEEEE10hipError_tT1_PNSt15iterator_traitsISN_E10value_typeET2_T3_PNSO_IST_E10value_typeET4_T5_PSY_SZ_PNS1_23onesweep_lookback_stateEbbT6_jjT7_P12ihipStream_tbENKUlT_T0_SN_SS_E_clISG_PjSI_PS9_EEDaS16_S17_SN_SS_EUlS16_E_NS1_11comp_targetILNS1_3genE9ELNS1_11target_archE1100ELNS1_3gpuE3ELNS1_3repE0EEENS1_47radix_sort_onesweep_sort_config_static_selectorELNS0_4arch9wavefront6targetE1EEEvSN_.kd
    .uniform_work_group_size: 1
    .uses_dynamic_stack: false
    .vgpr_count:     0
    .vgpr_spill_count: 0
    .wavefront_size: 64
  - .agpr_count:     0
    .args:
      - .offset:         0
        .size:           88
        .value_kind:     by_value
    .group_segment_fixed_size: 0
    .kernarg_segment_align: 8
    .kernarg_segment_size: 88
    .language:       OpenCL C
    .language_version:
      - 2
      - 0
    .max_flat_workgroup_size: 1024
    .name:           _ZN7rocprim17ROCPRIM_400000_NS6detail17trampoline_kernelINS0_14default_configENS1_35radix_sort_onesweep_config_selectorIjN6thrust23THRUST_200600_302600_NS5tupleIffNS6_9null_typeES8_S8_S8_S8_S8_S8_S8_EEEEZZNS1_29radix_sort_onesweep_iterationIS3_Lb0ENS6_6detail15normal_iteratorINS6_10device_ptrIjEEEESG_NSD_INSE_IS9_EEEESI_jNS0_19identity_decomposerENS1_16block_id_wrapperIjLb0EEEEE10hipError_tT1_PNSt15iterator_traitsISN_E10value_typeET2_T3_PNSO_IST_E10value_typeET4_T5_PSY_SZ_PNS1_23onesweep_lookback_stateEbbT6_jjT7_P12ihipStream_tbENKUlT_T0_SN_SS_E_clISG_PjSI_PS9_EEDaS16_S17_SN_SS_EUlS16_E_NS1_11comp_targetILNS1_3genE8ELNS1_11target_archE1030ELNS1_3gpuE2ELNS1_3repE0EEENS1_47radix_sort_onesweep_sort_config_static_selectorELNS0_4arch9wavefront6targetE1EEEvSN_
    .private_segment_fixed_size: 0
    .sgpr_count:     4
    .sgpr_spill_count: 0
    .symbol:         _ZN7rocprim17ROCPRIM_400000_NS6detail17trampoline_kernelINS0_14default_configENS1_35radix_sort_onesweep_config_selectorIjN6thrust23THRUST_200600_302600_NS5tupleIffNS6_9null_typeES8_S8_S8_S8_S8_S8_S8_EEEEZZNS1_29radix_sort_onesweep_iterationIS3_Lb0ENS6_6detail15normal_iteratorINS6_10device_ptrIjEEEESG_NSD_INSE_IS9_EEEESI_jNS0_19identity_decomposerENS1_16block_id_wrapperIjLb0EEEEE10hipError_tT1_PNSt15iterator_traitsISN_E10value_typeET2_T3_PNSO_IST_E10value_typeET4_T5_PSY_SZ_PNS1_23onesweep_lookback_stateEbbT6_jjT7_P12ihipStream_tbENKUlT_T0_SN_SS_E_clISG_PjSI_PS9_EEDaS16_S17_SN_SS_EUlS16_E_NS1_11comp_targetILNS1_3genE8ELNS1_11target_archE1030ELNS1_3gpuE2ELNS1_3repE0EEENS1_47radix_sort_onesweep_sort_config_static_selectorELNS0_4arch9wavefront6targetE1EEEvSN_.kd
    .uniform_work_group_size: 1
    .uses_dynamic_stack: false
    .vgpr_count:     0
    .vgpr_spill_count: 0
    .wavefront_size: 64
  - .agpr_count:     0
    .args:
      - .offset:         0
        .size:           88
        .value_kind:     by_value
    .group_segment_fixed_size: 0
    .kernarg_segment_align: 8
    .kernarg_segment_size: 88
    .language:       OpenCL C
    .language_version:
      - 2
      - 0
    .max_flat_workgroup_size: 512
    .name:           _ZN7rocprim17ROCPRIM_400000_NS6detail17trampoline_kernelINS0_14default_configENS1_35radix_sort_onesweep_config_selectorIjN6thrust23THRUST_200600_302600_NS5tupleIffNS6_9null_typeES8_S8_S8_S8_S8_S8_S8_EEEEZZNS1_29radix_sort_onesweep_iterationIS3_Lb0ENS6_6detail15normal_iteratorINS6_10device_ptrIjEEEESG_NSD_INSE_IS9_EEEESI_jNS0_19identity_decomposerENS1_16block_id_wrapperIjLb0EEEEE10hipError_tT1_PNSt15iterator_traitsISN_E10value_typeET2_T3_PNSO_IST_E10value_typeET4_T5_PSY_SZ_PNS1_23onesweep_lookback_stateEbbT6_jjT7_P12ihipStream_tbENKUlT_T0_SN_SS_E_clIPjSG_PS9_SI_EEDaS16_S17_SN_SS_EUlS16_E_NS1_11comp_targetILNS1_3genE0ELNS1_11target_archE4294967295ELNS1_3gpuE0ELNS1_3repE0EEENS1_47radix_sort_onesweep_sort_config_static_selectorELNS0_4arch9wavefront6targetE1EEEvSN_
    .private_segment_fixed_size: 0
    .sgpr_count:     4
    .sgpr_spill_count: 0
    .symbol:         _ZN7rocprim17ROCPRIM_400000_NS6detail17trampoline_kernelINS0_14default_configENS1_35radix_sort_onesweep_config_selectorIjN6thrust23THRUST_200600_302600_NS5tupleIffNS6_9null_typeES8_S8_S8_S8_S8_S8_S8_EEEEZZNS1_29radix_sort_onesweep_iterationIS3_Lb0ENS6_6detail15normal_iteratorINS6_10device_ptrIjEEEESG_NSD_INSE_IS9_EEEESI_jNS0_19identity_decomposerENS1_16block_id_wrapperIjLb0EEEEE10hipError_tT1_PNSt15iterator_traitsISN_E10value_typeET2_T3_PNSO_IST_E10value_typeET4_T5_PSY_SZ_PNS1_23onesweep_lookback_stateEbbT6_jjT7_P12ihipStream_tbENKUlT_T0_SN_SS_E_clIPjSG_PS9_SI_EEDaS16_S17_SN_SS_EUlS16_E_NS1_11comp_targetILNS1_3genE0ELNS1_11target_archE4294967295ELNS1_3gpuE0ELNS1_3repE0EEENS1_47radix_sort_onesweep_sort_config_static_selectorELNS0_4arch9wavefront6targetE1EEEvSN_.kd
    .uniform_work_group_size: 1
    .uses_dynamic_stack: false
    .vgpr_count:     0
    .vgpr_spill_count: 0
    .wavefront_size: 64
  - .agpr_count:     0
    .args:
      - .offset:         0
        .size:           88
        .value_kind:     by_value
    .group_segment_fixed_size: 0
    .kernarg_segment_align: 8
    .kernarg_segment_size: 88
    .language:       OpenCL C
    .language_version:
      - 2
      - 0
    .max_flat_workgroup_size: 1024
    .name:           _ZN7rocprim17ROCPRIM_400000_NS6detail17trampoline_kernelINS0_14default_configENS1_35radix_sort_onesweep_config_selectorIjN6thrust23THRUST_200600_302600_NS5tupleIffNS6_9null_typeES8_S8_S8_S8_S8_S8_S8_EEEEZZNS1_29radix_sort_onesweep_iterationIS3_Lb0ENS6_6detail15normal_iteratorINS6_10device_ptrIjEEEESG_NSD_INSE_IS9_EEEESI_jNS0_19identity_decomposerENS1_16block_id_wrapperIjLb0EEEEE10hipError_tT1_PNSt15iterator_traitsISN_E10value_typeET2_T3_PNSO_IST_E10value_typeET4_T5_PSY_SZ_PNS1_23onesweep_lookback_stateEbbT6_jjT7_P12ihipStream_tbENKUlT_T0_SN_SS_E_clIPjSG_PS9_SI_EEDaS16_S17_SN_SS_EUlS16_E_NS1_11comp_targetILNS1_3genE6ELNS1_11target_archE950ELNS1_3gpuE13ELNS1_3repE0EEENS1_47radix_sort_onesweep_sort_config_static_selectorELNS0_4arch9wavefront6targetE1EEEvSN_
    .private_segment_fixed_size: 0
    .sgpr_count:     4
    .sgpr_spill_count: 0
    .symbol:         _ZN7rocprim17ROCPRIM_400000_NS6detail17trampoline_kernelINS0_14default_configENS1_35radix_sort_onesweep_config_selectorIjN6thrust23THRUST_200600_302600_NS5tupleIffNS6_9null_typeES8_S8_S8_S8_S8_S8_S8_EEEEZZNS1_29radix_sort_onesweep_iterationIS3_Lb0ENS6_6detail15normal_iteratorINS6_10device_ptrIjEEEESG_NSD_INSE_IS9_EEEESI_jNS0_19identity_decomposerENS1_16block_id_wrapperIjLb0EEEEE10hipError_tT1_PNSt15iterator_traitsISN_E10value_typeET2_T3_PNSO_IST_E10value_typeET4_T5_PSY_SZ_PNS1_23onesweep_lookback_stateEbbT6_jjT7_P12ihipStream_tbENKUlT_T0_SN_SS_E_clIPjSG_PS9_SI_EEDaS16_S17_SN_SS_EUlS16_E_NS1_11comp_targetILNS1_3genE6ELNS1_11target_archE950ELNS1_3gpuE13ELNS1_3repE0EEENS1_47radix_sort_onesweep_sort_config_static_selectorELNS0_4arch9wavefront6targetE1EEEvSN_.kd
    .uniform_work_group_size: 1
    .uses_dynamic_stack: false
    .vgpr_count:     0
    .vgpr_spill_count: 0
    .wavefront_size: 64
  - .agpr_count:     0
    .args:
      - .offset:         0
        .size:           88
        .value_kind:     by_value
    .group_segment_fixed_size: 0
    .kernarg_segment_align: 8
    .kernarg_segment_size: 88
    .language:       OpenCL C
    .language_version:
      - 2
      - 0
    .max_flat_workgroup_size: 1024
    .name:           _ZN7rocprim17ROCPRIM_400000_NS6detail17trampoline_kernelINS0_14default_configENS1_35radix_sort_onesweep_config_selectorIjN6thrust23THRUST_200600_302600_NS5tupleIffNS6_9null_typeES8_S8_S8_S8_S8_S8_S8_EEEEZZNS1_29radix_sort_onesweep_iterationIS3_Lb0ENS6_6detail15normal_iteratorINS6_10device_ptrIjEEEESG_NSD_INSE_IS9_EEEESI_jNS0_19identity_decomposerENS1_16block_id_wrapperIjLb0EEEEE10hipError_tT1_PNSt15iterator_traitsISN_E10value_typeET2_T3_PNSO_IST_E10value_typeET4_T5_PSY_SZ_PNS1_23onesweep_lookback_stateEbbT6_jjT7_P12ihipStream_tbENKUlT_T0_SN_SS_E_clIPjSG_PS9_SI_EEDaS16_S17_SN_SS_EUlS16_E_NS1_11comp_targetILNS1_3genE5ELNS1_11target_archE942ELNS1_3gpuE9ELNS1_3repE0EEENS1_47radix_sort_onesweep_sort_config_static_selectorELNS0_4arch9wavefront6targetE1EEEvSN_
    .private_segment_fixed_size: 0
    .sgpr_count:     4
    .sgpr_spill_count: 0
    .symbol:         _ZN7rocprim17ROCPRIM_400000_NS6detail17trampoline_kernelINS0_14default_configENS1_35radix_sort_onesweep_config_selectorIjN6thrust23THRUST_200600_302600_NS5tupleIffNS6_9null_typeES8_S8_S8_S8_S8_S8_S8_EEEEZZNS1_29radix_sort_onesweep_iterationIS3_Lb0ENS6_6detail15normal_iteratorINS6_10device_ptrIjEEEESG_NSD_INSE_IS9_EEEESI_jNS0_19identity_decomposerENS1_16block_id_wrapperIjLb0EEEEE10hipError_tT1_PNSt15iterator_traitsISN_E10value_typeET2_T3_PNSO_IST_E10value_typeET4_T5_PSY_SZ_PNS1_23onesweep_lookback_stateEbbT6_jjT7_P12ihipStream_tbENKUlT_T0_SN_SS_E_clIPjSG_PS9_SI_EEDaS16_S17_SN_SS_EUlS16_E_NS1_11comp_targetILNS1_3genE5ELNS1_11target_archE942ELNS1_3gpuE9ELNS1_3repE0EEENS1_47radix_sort_onesweep_sort_config_static_selectorELNS0_4arch9wavefront6targetE1EEEvSN_.kd
    .uniform_work_group_size: 1
    .uses_dynamic_stack: false
    .vgpr_count:     0
    .vgpr_spill_count: 0
    .wavefront_size: 64
  - .agpr_count:     0
    .args:
      - .offset:         0
        .size:           88
        .value_kind:     by_value
    .group_segment_fixed_size: 0
    .kernarg_segment_align: 8
    .kernarg_segment_size: 88
    .language:       OpenCL C
    .language_version:
      - 2
      - 0
    .max_flat_workgroup_size: 512
    .name:           _ZN7rocprim17ROCPRIM_400000_NS6detail17trampoline_kernelINS0_14default_configENS1_35radix_sort_onesweep_config_selectorIjN6thrust23THRUST_200600_302600_NS5tupleIffNS6_9null_typeES8_S8_S8_S8_S8_S8_S8_EEEEZZNS1_29radix_sort_onesweep_iterationIS3_Lb0ENS6_6detail15normal_iteratorINS6_10device_ptrIjEEEESG_NSD_INSE_IS9_EEEESI_jNS0_19identity_decomposerENS1_16block_id_wrapperIjLb0EEEEE10hipError_tT1_PNSt15iterator_traitsISN_E10value_typeET2_T3_PNSO_IST_E10value_typeET4_T5_PSY_SZ_PNS1_23onesweep_lookback_stateEbbT6_jjT7_P12ihipStream_tbENKUlT_T0_SN_SS_E_clIPjSG_PS9_SI_EEDaS16_S17_SN_SS_EUlS16_E_NS1_11comp_targetILNS1_3genE2ELNS1_11target_archE906ELNS1_3gpuE6ELNS1_3repE0EEENS1_47radix_sort_onesweep_sort_config_static_selectorELNS0_4arch9wavefront6targetE1EEEvSN_
    .private_segment_fixed_size: 0
    .sgpr_count:     4
    .sgpr_spill_count: 0
    .symbol:         _ZN7rocprim17ROCPRIM_400000_NS6detail17trampoline_kernelINS0_14default_configENS1_35radix_sort_onesweep_config_selectorIjN6thrust23THRUST_200600_302600_NS5tupleIffNS6_9null_typeES8_S8_S8_S8_S8_S8_S8_EEEEZZNS1_29radix_sort_onesweep_iterationIS3_Lb0ENS6_6detail15normal_iteratorINS6_10device_ptrIjEEEESG_NSD_INSE_IS9_EEEESI_jNS0_19identity_decomposerENS1_16block_id_wrapperIjLb0EEEEE10hipError_tT1_PNSt15iterator_traitsISN_E10value_typeET2_T3_PNSO_IST_E10value_typeET4_T5_PSY_SZ_PNS1_23onesweep_lookback_stateEbbT6_jjT7_P12ihipStream_tbENKUlT_T0_SN_SS_E_clIPjSG_PS9_SI_EEDaS16_S17_SN_SS_EUlS16_E_NS1_11comp_targetILNS1_3genE2ELNS1_11target_archE906ELNS1_3gpuE6ELNS1_3repE0EEENS1_47radix_sort_onesweep_sort_config_static_selectorELNS0_4arch9wavefront6targetE1EEEvSN_.kd
    .uniform_work_group_size: 1
    .uses_dynamic_stack: false
    .vgpr_count:     0
    .vgpr_spill_count: 0
    .wavefront_size: 64
  - .agpr_count:     0
    .args:
      - .offset:         0
        .size:           88
        .value_kind:     by_value
      - .offset:         88
        .size:           4
        .value_kind:     hidden_block_count_x
      - .offset:         92
        .size:           4
        .value_kind:     hidden_block_count_y
      - .offset:         96
        .size:           4
        .value_kind:     hidden_block_count_z
      - .offset:         100
        .size:           2
        .value_kind:     hidden_group_size_x
      - .offset:         102
        .size:           2
        .value_kind:     hidden_group_size_y
      - .offset:         104
        .size:           2
        .value_kind:     hidden_group_size_z
      - .offset:         106
        .size:           2
        .value_kind:     hidden_remainder_x
      - .offset:         108
        .size:           2
        .value_kind:     hidden_remainder_y
      - .offset:         110
        .size:           2
        .value_kind:     hidden_remainder_z
      - .offset:         128
        .size:           8
        .value_kind:     hidden_global_offset_x
      - .offset:         136
        .size:           8
        .value_kind:     hidden_global_offset_y
      - .offset:         144
        .size:           8
        .value_kind:     hidden_global_offset_z
      - .offset:         152
        .size:           2
        .value_kind:     hidden_grid_dims
    .group_segment_fixed_size: 10280
    .kernarg_segment_align: 8
    .kernarg_segment_size: 344
    .language:       OpenCL C
    .language_version:
      - 2
      - 0
    .max_flat_workgroup_size: 512
    .name:           _ZN7rocprim17ROCPRIM_400000_NS6detail17trampoline_kernelINS0_14default_configENS1_35radix_sort_onesweep_config_selectorIjN6thrust23THRUST_200600_302600_NS5tupleIffNS6_9null_typeES8_S8_S8_S8_S8_S8_S8_EEEEZZNS1_29radix_sort_onesweep_iterationIS3_Lb0ENS6_6detail15normal_iteratorINS6_10device_ptrIjEEEESG_NSD_INSE_IS9_EEEESI_jNS0_19identity_decomposerENS1_16block_id_wrapperIjLb0EEEEE10hipError_tT1_PNSt15iterator_traitsISN_E10value_typeET2_T3_PNSO_IST_E10value_typeET4_T5_PSY_SZ_PNS1_23onesweep_lookback_stateEbbT6_jjT7_P12ihipStream_tbENKUlT_T0_SN_SS_E_clIPjSG_PS9_SI_EEDaS16_S17_SN_SS_EUlS16_E_NS1_11comp_targetILNS1_3genE4ELNS1_11target_archE910ELNS1_3gpuE8ELNS1_3repE0EEENS1_47radix_sort_onesweep_sort_config_static_selectorELNS0_4arch9wavefront6targetE1EEEvSN_
    .private_segment_fixed_size: 0
    .sgpr_count:     73
    .sgpr_spill_count: 0
    .symbol:         _ZN7rocprim17ROCPRIM_400000_NS6detail17trampoline_kernelINS0_14default_configENS1_35radix_sort_onesweep_config_selectorIjN6thrust23THRUST_200600_302600_NS5tupleIffNS6_9null_typeES8_S8_S8_S8_S8_S8_S8_EEEEZZNS1_29radix_sort_onesweep_iterationIS3_Lb0ENS6_6detail15normal_iteratorINS6_10device_ptrIjEEEESG_NSD_INSE_IS9_EEEESI_jNS0_19identity_decomposerENS1_16block_id_wrapperIjLb0EEEEE10hipError_tT1_PNSt15iterator_traitsISN_E10value_typeET2_T3_PNSO_IST_E10value_typeET4_T5_PSY_SZ_PNS1_23onesweep_lookback_stateEbbT6_jjT7_P12ihipStream_tbENKUlT_T0_SN_SS_E_clIPjSG_PS9_SI_EEDaS16_S17_SN_SS_EUlS16_E_NS1_11comp_targetILNS1_3genE4ELNS1_11target_archE910ELNS1_3gpuE8ELNS1_3repE0EEENS1_47radix_sort_onesweep_sort_config_static_selectorELNS0_4arch9wavefront6targetE1EEEvSN_.kd
    .uniform_work_group_size: 1
    .uses_dynamic_stack: false
    .vgpr_count:     88
    .vgpr_spill_count: 0
    .wavefront_size: 64
  - .agpr_count:     0
    .args:
      - .offset:         0
        .size:           88
        .value_kind:     by_value
    .group_segment_fixed_size: 0
    .kernarg_segment_align: 8
    .kernarg_segment_size: 88
    .language:       OpenCL C
    .language_version:
      - 2
      - 0
    .max_flat_workgroup_size: 512
    .name:           _ZN7rocprim17ROCPRIM_400000_NS6detail17trampoline_kernelINS0_14default_configENS1_35radix_sort_onesweep_config_selectorIjN6thrust23THRUST_200600_302600_NS5tupleIffNS6_9null_typeES8_S8_S8_S8_S8_S8_S8_EEEEZZNS1_29radix_sort_onesweep_iterationIS3_Lb0ENS6_6detail15normal_iteratorINS6_10device_ptrIjEEEESG_NSD_INSE_IS9_EEEESI_jNS0_19identity_decomposerENS1_16block_id_wrapperIjLb0EEEEE10hipError_tT1_PNSt15iterator_traitsISN_E10value_typeET2_T3_PNSO_IST_E10value_typeET4_T5_PSY_SZ_PNS1_23onesweep_lookback_stateEbbT6_jjT7_P12ihipStream_tbENKUlT_T0_SN_SS_E_clIPjSG_PS9_SI_EEDaS16_S17_SN_SS_EUlS16_E_NS1_11comp_targetILNS1_3genE3ELNS1_11target_archE908ELNS1_3gpuE7ELNS1_3repE0EEENS1_47radix_sort_onesweep_sort_config_static_selectorELNS0_4arch9wavefront6targetE1EEEvSN_
    .private_segment_fixed_size: 0
    .sgpr_count:     4
    .sgpr_spill_count: 0
    .symbol:         _ZN7rocprim17ROCPRIM_400000_NS6detail17trampoline_kernelINS0_14default_configENS1_35radix_sort_onesweep_config_selectorIjN6thrust23THRUST_200600_302600_NS5tupleIffNS6_9null_typeES8_S8_S8_S8_S8_S8_S8_EEEEZZNS1_29radix_sort_onesweep_iterationIS3_Lb0ENS6_6detail15normal_iteratorINS6_10device_ptrIjEEEESG_NSD_INSE_IS9_EEEESI_jNS0_19identity_decomposerENS1_16block_id_wrapperIjLb0EEEEE10hipError_tT1_PNSt15iterator_traitsISN_E10value_typeET2_T3_PNSO_IST_E10value_typeET4_T5_PSY_SZ_PNS1_23onesweep_lookback_stateEbbT6_jjT7_P12ihipStream_tbENKUlT_T0_SN_SS_E_clIPjSG_PS9_SI_EEDaS16_S17_SN_SS_EUlS16_E_NS1_11comp_targetILNS1_3genE3ELNS1_11target_archE908ELNS1_3gpuE7ELNS1_3repE0EEENS1_47radix_sort_onesweep_sort_config_static_selectorELNS0_4arch9wavefront6targetE1EEEvSN_.kd
    .uniform_work_group_size: 1
    .uses_dynamic_stack: false
    .vgpr_count:     0
    .vgpr_spill_count: 0
    .wavefront_size: 64
  - .agpr_count:     0
    .args:
      - .offset:         0
        .size:           88
        .value_kind:     by_value
    .group_segment_fixed_size: 0
    .kernarg_segment_align: 8
    .kernarg_segment_size: 88
    .language:       OpenCL C
    .language_version:
      - 2
      - 0
    .max_flat_workgroup_size: 1024
    .name:           _ZN7rocprim17ROCPRIM_400000_NS6detail17trampoline_kernelINS0_14default_configENS1_35radix_sort_onesweep_config_selectorIjN6thrust23THRUST_200600_302600_NS5tupleIffNS6_9null_typeES8_S8_S8_S8_S8_S8_S8_EEEEZZNS1_29radix_sort_onesweep_iterationIS3_Lb0ENS6_6detail15normal_iteratorINS6_10device_ptrIjEEEESG_NSD_INSE_IS9_EEEESI_jNS0_19identity_decomposerENS1_16block_id_wrapperIjLb0EEEEE10hipError_tT1_PNSt15iterator_traitsISN_E10value_typeET2_T3_PNSO_IST_E10value_typeET4_T5_PSY_SZ_PNS1_23onesweep_lookback_stateEbbT6_jjT7_P12ihipStream_tbENKUlT_T0_SN_SS_E_clIPjSG_PS9_SI_EEDaS16_S17_SN_SS_EUlS16_E_NS1_11comp_targetILNS1_3genE10ELNS1_11target_archE1201ELNS1_3gpuE5ELNS1_3repE0EEENS1_47radix_sort_onesweep_sort_config_static_selectorELNS0_4arch9wavefront6targetE1EEEvSN_
    .private_segment_fixed_size: 0
    .sgpr_count:     4
    .sgpr_spill_count: 0
    .symbol:         _ZN7rocprim17ROCPRIM_400000_NS6detail17trampoline_kernelINS0_14default_configENS1_35radix_sort_onesweep_config_selectorIjN6thrust23THRUST_200600_302600_NS5tupleIffNS6_9null_typeES8_S8_S8_S8_S8_S8_S8_EEEEZZNS1_29radix_sort_onesweep_iterationIS3_Lb0ENS6_6detail15normal_iteratorINS6_10device_ptrIjEEEESG_NSD_INSE_IS9_EEEESI_jNS0_19identity_decomposerENS1_16block_id_wrapperIjLb0EEEEE10hipError_tT1_PNSt15iterator_traitsISN_E10value_typeET2_T3_PNSO_IST_E10value_typeET4_T5_PSY_SZ_PNS1_23onesweep_lookback_stateEbbT6_jjT7_P12ihipStream_tbENKUlT_T0_SN_SS_E_clIPjSG_PS9_SI_EEDaS16_S17_SN_SS_EUlS16_E_NS1_11comp_targetILNS1_3genE10ELNS1_11target_archE1201ELNS1_3gpuE5ELNS1_3repE0EEENS1_47radix_sort_onesweep_sort_config_static_selectorELNS0_4arch9wavefront6targetE1EEEvSN_.kd
    .uniform_work_group_size: 1
    .uses_dynamic_stack: false
    .vgpr_count:     0
    .vgpr_spill_count: 0
    .wavefront_size: 64
  - .agpr_count:     0
    .args:
      - .offset:         0
        .size:           88
        .value_kind:     by_value
    .group_segment_fixed_size: 0
    .kernarg_segment_align: 8
    .kernarg_segment_size: 88
    .language:       OpenCL C
    .language_version:
      - 2
      - 0
    .max_flat_workgroup_size: 1024
    .name:           _ZN7rocprim17ROCPRIM_400000_NS6detail17trampoline_kernelINS0_14default_configENS1_35radix_sort_onesweep_config_selectorIjN6thrust23THRUST_200600_302600_NS5tupleIffNS6_9null_typeES8_S8_S8_S8_S8_S8_S8_EEEEZZNS1_29radix_sort_onesweep_iterationIS3_Lb0ENS6_6detail15normal_iteratorINS6_10device_ptrIjEEEESG_NSD_INSE_IS9_EEEESI_jNS0_19identity_decomposerENS1_16block_id_wrapperIjLb0EEEEE10hipError_tT1_PNSt15iterator_traitsISN_E10value_typeET2_T3_PNSO_IST_E10value_typeET4_T5_PSY_SZ_PNS1_23onesweep_lookback_stateEbbT6_jjT7_P12ihipStream_tbENKUlT_T0_SN_SS_E_clIPjSG_PS9_SI_EEDaS16_S17_SN_SS_EUlS16_E_NS1_11comp_targetILNS1_3genE9ELNS1_11target_archE1100ELNS1_3gpuE3ELNS1_3repE0EEENS1_47radix_sort_onesweep_sort_config_static_selectorELNS0_4arch9wavefront6targetE1EEEvSN_
    .private_segment_fixed_size: 0
    .sgpr_count:     4
    .sgpr_spill_count: 0
    .symbol:         _ZN7rocprim17ROCPRIM_400000_NS6detail17trampoline_kernelINS0_14default_configENS1_35radix_sort_onesweep_config_selectorIjN6thrust23THRUST_200600_302600_NS5tupleIffNS6_9null_typeES8_S8_S8_S8_S8_S8_S8_EEEEZZNS1_29radix_sort_onesweep_iterationIS3_Lb0ENS6_6detail15normal_iteratorINS6_10device_ptrIjEEEESG_NSD_INSE_IS9_EEEESI_jNS0_19identity_decomposerENS1_16block_id_wrapperIjLb0EEEEE10hipError_tT1_PNSt15iterator_traitsISN_E10value_typeET2_T3_PNSO_IST_E10value_typeET4_T5_PSY_SZ_PNS1_23onesweep_lookback_stateEbbT6_jjT7_P12ihipStream_tbENKUlT_T0_SN_SS_E_clIPjSG_PS9_SI_EEDaS16_S17_SN_SS_EUlS16_E_NS1_11comp_targetILNS1_3genE9ELNS1_11target_archE1100ELNS1_3gpuE3ELNS1_3repE0EEENS1_47radix_sort_onesweep_sort_config_static_selectorELNS0_4arch9wavefront6targetE1EEEvSN_.kd
    .uniform_work_group_size: 1
    .uses_dynamic_stack: false
    .vgpr_count:     0
    .vgpr_spill_count: 0
    .wavefront_size: 64
  - .agpr_count:     0
    .args:
      - .offset:         0
        .size:           88
        .value_kind:     by_value
    .group_segment_fixed_size: 0
    .kernarg_segment_align: 8
    .kernarg_segment_size: 88
    .language:       OpenCL C
    .language_version:
      - 2
      - 0
    .max_flat_workgroup_size: 1024
    .name:           _ZN7rocprim17ROCPRIM_400000_NS6detail17trampoline_kernelINS0_14default_configENS1_35radix_sort_onesweep_config_selectorIjN6thrust23THRUST_200600_302600_NS5tupleIffNS6_9null_typeES8_S8_S8_S8_S8_S8_S8_EEEEZZNS1_29radix_sort_onesweep_iterationIS3_Lb0ENS6_6detail15normal_iteratorINS6_10device_ptrIjEEEESG_NSD_INSE_IS9_EEEESI_jNS0_19identity_decomposerENS1_16block_id_wrapperIjLb0EEEEE10hipError_tT1_PNSt15iterator_traitsISN_E10value_typeET2_T3_PNSO_IST_E10value_typeET4_T5_PSY_SZ_PNS1_23onesweep_lookback_stateEbbT6_jjT7_P12ihipStream_tbENKUlT_T0_SN_SS_E_clIPjSG_PS9_SI_EEDaS16_S17_SN_SS_EUlS16_E_NS1_11comp_targetILNS1_3genE8ELNS1_11target_archE1030ELNS1_3gpuE2ELNS1_3repE0EEENS1_47radix_sort_onesweep_sort_config_static_selectorELNS0_4arch9wavefront6targetE1EEEvSN_
    .private_segment_fixed_size: 0
    .sgpr_count:     4
    .sgpr_spill_count: 0
    .symbol:         _ZN7rocprim17ROCPRIM_400000_NS6detail17trampoline_kernelINS0_14default_configENS1_35radix_sort_onesweep_config_selectorIjN6thrust23THRUST_200600_302600_NS5tupleIffNS6_9null_typeES8_S8_S8_S8_S8_S8_S8_EEEEZZNS1_29radix_sort_onesweep_iterationIS3_Lb0ENS6_6detail15normal_iteratorINS6_10device_ptrIjEEEESG_NSD_INSE_IS9_EEEESI_jNS0_19identity_decomposerENS1_16block_id_wrapperIjLb0EEEEE10hipError_tT1_PNSt15iterator_traitsISN_E10value_typeET2_T3_PNSO_IST_E10value_typeET4_T5_PSY_SZ_PNS1_23onesweep_lookback_stateEbbT6_jjT7_P12ihipStream_tbENKUlT_T0_SN_SS_E_clIPjSG_PS9_SI_EEDaS16_S17_SN_SS_EUlS16_E_NS1_11comp_targetILNS1_3genE8ELNS1_11target_archE1030ELNS1_3gpuE2ELNS1_3repE0EEENS1_47radix_sort_onesweep_sort_config_static_selectorELNS0_4arch9wavefront6targetE1EEEvSN_.kd
    .uniform_work_group_size: 1
    .uses_dynamic_stack: false
    .vgpr_count:     0
    .vgpr_spill_count: 0
    .wavefront_size: 64
  - .agpr_count:     0
    .args:
      - .offset:         0
        .size:           24
        .value_kind:     by_value
      - .offset:         24
        .size:           8
        .value_kind:     by_value
      - .offset:         32
        .size:           8
        .value_kind:     by_value
    .group_segment_fixed_size: 0
    .kernarg_segment_align: 8
    .kernarg_segment_size: 40
    .language:       OpenCL C
    .language_version:
      - 2
      - 0
    .max_flat_workgroup_size: 256
    .name:           _ZN6thrust23THRUST_200600_302600_NS11hip_rocprim14__parallel_for6kernelILj256ENS1_11__transform17unary_transform_fINS0_10device_ptrINS0_5tupleIffNS0_9null_typeES8_S8_S8_S8_S8_S8_S8_EEEESA_NS4_14no_stencil_tagENS0_8identityIS9_EENS4_21always_true_predicateEEElLj1EEEvT0_T1_SH_
    .private_segment_fixed_size: 0
    .sgpr_count:     16
    .sgpr_spill_count: 0
    .symbol:         _ZN6thrust23THRUST_200600_302600_NS11hip_rocprim14__parallel_for6kernelILj256ENS1_11__transform17unary_transform_fINS0_10device_ptrINS0_5tupleIffNS0_9null_typeES8_S8_S8_S8_S8_S8_S8_EEEESA_NS4_14no_stencil_tagENS0_8identityIS9_EENS4_21always_true_predicateEEElLj1EEEvT0_T1_SH_.kd
    .uniform_work_group_size: 1
    .uses_dynamic_stack: false
    .vgpr_count:     6
    .vgpr_spill_count: 0
    .wavefront_size: 64
  - .agpr_count:     0
    .args:
      - .offset:         0
        .size:           56
        .value_kind:     by_value
    .group_segment_fixed_size: 0
    .kernarg_segment_align: 8
    .kernarg_segment_size: 56
    .language:       OpenCL C
    .language_version:
      - 2
      - 0
    .max_flat_workgroup_size: 64
    .name:           _ZN7rocprim17ROCPRIM_400000_NS6detail17trampoline_kernelINS0_14default_configENS1_27lower_bound_config_selectorIjjEEZNS1_14transform_implILb0ES3_S5_N6thrust23THRUST_200600_302600_NS17counting_iteratorIjNS8_11use_defaultESA_SA_EENS8_6detail15normal_iteratorINS8_10device_ptrIjEEEEZNS1_13binary_searchIS3_S5_SG_SB_SG_NS1_21lower_bound_search_opENSC_16wrapped_functionINS0_4lessIvEEbEEEE10hipError_tPvRmT1_T2_T3_mmT4_T5_P12ihipStream_tbEUlRKjE_EESN_SR_SS_mST_SW_bEUlT_E_NS1_11comp_targetILNS1_3genE0ELNS1_11target_archE4294967295ELNS1_3gpuE0ELNS1_3repE0EEENS1_30default_config_static_selectorELNS0_4arch9wavefront6targetE1EEEvSQ_
    .private_segment_fixed_size: 0
    .sgpr_count:     4
    .sgpr_spill_count: 0
    .symbol:         _ZN7rocprim17ROCPRIM_400000_NS6detail17trampoline_kernelINS0_14default_configENS1_27lower_bound_config_selectorIjjEEZNS1_14transform_implILb0ES3_S5_N6thrust23THRUST_200600_302600_NS17counting_iteratorIjNS8_11use_defaultESA_SA_EENS8_6detail15normal_iteratorINS8_10device_ptrIjEEEEZNS1_13binary_searchIS3_S5_SG_SB_SG_NS1_21lower_bound_search_opENSC_16wrapped_functionINS0_4lessIvEEbEEEE10hipError_tPvRmT1_T2_T3_mmT4_T5_P12ihipStream_tbEUlRKjE_EESN_SR_SS_mST_SW_bEUlT_E_NS1_11comp_targetILNS1_3genE0ELNS1_11target_archE4294967295ELNS1_3gpuE0ELNS1_3repE0EEENS1_30default_config_static_selectorELNS0_4arch9wavefront6targetE1EEEvSQ_.kd
    .uniform_work_group_size: 1
    .uses_dynamic_stack: false
    .vgpr_count:     0
    .vgpr_spill_count: 0
    .wavefront_size: 64
  - .agpr_count:     0
    .args:
      - .offset:         0
        .size:           56
        .value_kind:     by_value
    .group_segment_fixed_size: 0
    .kernarg_segment_align: 8
    .kernarg_segment_size: 56
    .language:       OpenCL C
    .language_version:
      - 2
      - 0
    .max_flat_workgroup_size: 256
    .name:           _ZN7rocprim17ROCPRIM_400000_NS6detail17trampoline_kernelINS0_14default_configENS1_27lower_bound_config_selectorIjjEEZNS1_14transform_implILb0ES3_S5_N6thrust23THRUST_200600_302600_NS17counting_iteratorIjNS8_11use_defaultESA_SA_EENS8_6detail15normal_iteratorINS8_10device_ptrIjEEEEZNS1_13binary_searchIS3_S5_SG_SB_SG_NS1_21lower_bound_search_opENSC_16wrapped_functionINS0_4lessIvEEbEEEE10hipError_tPvRmT1_T2_T3_mmT4_T5_P12ihipStream_tbEUlRKjE_EESN_SR_SS_mST_SW_bEUlT_E_NS1_11comp_targetILNS1_3genE5ELNS1_11target_archE942ELNS1_3gpuE9ELNS1_3repE0EEENS1_30default_config_static_selectorELNS0_4arch9wavefront6targetE1EEEvSQ_
    .private_segment_fixed_size: 0
    .sgpr_count:     4
    .sgpr_spill_count: 0
    .symbol:         _ZN7rocprim17ROCPRIM_400000_NS6detail17trampoline_kernelINS0_14default_configENS1_27lower_bound_config_selectorIjjEEZNS1_14transform_implILb0ES3_S5_N6thrust23THRUST_200600_302600_NS17counting_iteratorIjNS8_11use_defaultESA_SA_EENS8_6detail15normal_iteratorINS8_10device_ptrIjEEEEZNS1_13binary_searchIS3_S5_SG_SB_SG_NS1_21lower_bound_search_opENSC_16wrapped_functionINS0_4lessIvEEbEEEE10hipError_tPvRmT1_T2_T3_mmT4_T5_P12ihipStream_tbEUlRKjE_EESN_SR_SS_mST_SW_bEUlT_E_NS1_11comp_targetILNS1_3genE5ELNS1_11target_archE942ELNS1_3gpuE9ELNS1_3repE0EEENS1_30default_config_static_selectorELNS0_4arch9wavefront6targetE1EEEvSQ_.kd
    .uniform_work_group_size: 1
    .uses_dynamic_stack: false
    .vgpr_count:     0
    .vgpr_spill_count: 0
    .wavefront_size: 64
  - .agpr_count:     0
    .args:
      - .offset:         0
        .size:           56
        .value_kind:     by_value
      - .offset:         56
        .size:           4
        .value_kind:     hidden_block_count_x
      - .offset:         60
        .size:           4
        .value_kind:     hidden_block_count_y
      - .offset:         64
        .size:           4
        .value_kind:     hidden_block_count_z
      - .offset:         68
        .size:           2
        .value_kind:     hidden_group_size_x
      - .offset:         70
        .size:           2
        .value_kind:     hidden_group_size_y
      - .offset:         72
        .size:           2
        .value_kind:     hidden_group_size_z
      - .offset:         74
        .size:           2
        .value_kind:     hidden_remainder_x
      - .offset:         76
        .size:           2
        .value_kind:     hidden_remainder_y
      - .offset:         78
        .size:           2
        .value_kind:     hidden_remainder_z
      - .offset:         96
        .size:           8
        .value_kind:     hidden_global_offset_x
      - .offset:         104
        .size:           8
        .value_kind:     hidden_global_offset_y
      - .offset:         112
        .size:           8
        .value_kind:     hidden_global_offset_z
      - .offset:         120
        .size:           2
        .value_kind:     hidden_grid_dims
    .group_segment_fixed_size: 0
    .kernarg_segment_align: 8
    .kernarg_segment_size: 312
    .language:       OpenCL C
    .language_version:
      - 2
      - 0
    .max_flat_workgroup_size: 256
    .name:           _ZN7rocprim17ROCPRIM_400000_NS6detail17trampoline_kernelINS0_14default_configENS1_27lower_bound_config_selectorIjjEEZNS1_14transform_implILb0ES3_S5_N6thrust23THRUST_200600_302600_NS17counting_iteratorIjNS8_11use_defaultESA_SA_EENS8_6detail15normal_iteratorINS8_10device_ptrIjEEEEZNS1_13binary_searchIS3_S5_SG_SB_SG_NS1_21lower_bound_search_opENSC_16wrapped_functionINS0_4lessIvEEbEEEE10hipError_tPvRmT1_T2_T3_mmT4_T5_P12ihipStream_tbEUlRKjE_EESN_SR_SS_mST_SW_bEUlT_E_NS1_11comp_targetILNS1_3genE4ELNS1_11target_archE910ELNS1_3gpuE8ELNS1_3repE0EEENS1_30default_config_static_selectorELNS0_4arch9wavefront6targetE1EEEvSQ_
    .private_segment_fixed_size: 0
    .sgpr_count:     21
    .sgpr_spill_count: 0
    .symbol:         _ZN7rocprim17ROCPRIM_400000_NS6detail17trampoline_kernelINS0_14default_configENS1_27lower_bound_config_selectorIjjEEZNS1_14transform_implILb0ES3_S5_N6thrust23THRUST_200600_302600_NS17counting_iteratorIjNS8_11use_defaultESA_SA_EENS8_6detail15normal_iteratorINS8_10device_ptrIjEEEEZNS1_13binary_searchIS3_S5_SG_SB_SG_NS1_21lower_bound_search_opENSC_16wrapped_functionINS0_4lessIvEEbEEEE10hipError_tPvRmT1_T2_T3_mmT4_T5_P12ihipStream_tbEUlRKjE_EESN_SR_SS_mST_SW_bEUlT_E_NS1_11comp_targetILNS1_3genE4ELNS1_11target_archE910ELNS1_3gpuE8ELNS1_3repE0EEENS1_30default_config_static_selectorELNS0_4arch9wavefront6targetE1EEEvSQ_.kd
    .uniform_work_group_size: 1
    .uses_dynamic_stack: false
    .vgpr_count:     12
    .vgpr_spill_count: 0
    .wavefront_size: 64
  - .agpr_count:     0
    .args:
      - .offset:         0
        .size:           56
        .value_kind:     by_value
    .group_segment_fixed_size: 0
    .kernarg_segment_align: 8
    .kernarg_segment_size: 56
    .language:       OpenCL C
    .language_version:
      - 2
      - 0
    .max_flat_workgroup_size: 64
    .name:           _ZN7rocprim17ROCPRIM_400000_NS6detail17trampoline_kernelINS0_14default_configENS1_27lower_bound_config_selectorIjjEEZNS1_14transform_implILb0ES3_S5_N6thrust23THRUST_200600_302600_NS17counting_iteratorIjNS8_11use_defaultESA_SA_EENS8_6detail15normal_iteratorINS8_10device_ptrIjEEEEZNS1_13binary_searchIS3_S5_SG_SB_SG_NS1_21lower_bound_search_opENSC_16wrapped_functionINS0_4lessIvEEbEEEE10hipError_tPvRmT1_T2_T3_mmT4_T5_P12ihipStream_tbEUlRKjE_EESN_SR_SS_mST_SW_bEUlT_E_NS1_11comp_targetILNS1_3genE3ELNS1_11target_archE908ELNS1_3gpuE7ELNS1_3repE0EEENS1_30default_config_static_selectorELNS0_4arch9wavefront6targetE1EEEvSQ_
    .private_segment_fixed_size: 0
    .sgpr_count:     4
    .sgpr_spill_count: 0
    .symbol:         _ZN7rocprim17ROCPRIM_400000_NS6detail17trampoline_kernelINS0_14default_configENS1_27lower_bound_config_selectorIjjEEZNS1_14transform_implILb0ES3_S5_N6thrust23THRUST_200600_302600_NS17counting_iteratorIjNS8_11use_defaultESA_SA_EENS8_6detail15normal_iteratorINS8_10device_ptrIjEEEEZNS1_13binary_searchIS3_S5_SG_SB_SG_NS1_21lower_bound_search_opENSC_16wrapped_functionINS0_4lessIvEEbEEEE10hipError_tPvRmT1_T2_T3_mmT4_T5_P12ihipStream_tbEUlRKjE_EESN_SR_SS_mST_SW_bEUlT_E_NS1_11comp_targetILNS1_3genE3ELNS1_11target_archE908ELNS1_3gpuE7ELNS1_3repE0EEENS1_30default_config_static_selectorELNS0_4arch9wavefront6targetE1EEEvSQ_.kd
    .uniform_work_group_size: 1
    .uses_dynamic_stack: false
    .vgpr_count:     0
    .vgpr_spill_count: 0
    .wavefront_size: 64
  - .agpr_count:     0
    .args:
      - .offset:         0
        .size:           56
        .value_kind:     by_value
    .group_segment_fixed_size: 0
    .kernarg_segment_align: 8
    .kernarg_segment_size: 56
    .language:       OpenCL C
    .language_version:
      - 2
      - 0
    .max_flat_workgroup_size: 256
    .name:           _ZN7rocprim17ROCPRIM_400000_NS6detail17trampoline_kernelINS0_14default_configENS1_27lower_bound_config_selectorIjjEEZNS1_14transform_implILb0ES3_S5_N6thrust23THRUST_200600_302600_NS17counting_iteratorIjNS8_11use_defaultESA_SA_EENS8_6detail15normal_iteratorINS8_10device_ptrIjEEEEZNS1_13binary_searchIS3_S5_SG_SB_SG_NS1_21lower_bound_search_opENSC_16wrapped_functionINS0_4lessIvEEbEEEE10hipError_tPvRmT1_T2_T3_mmT4_T5_P12ihipStream_tbEUlRKjE_EESN_SR_SS_mST_SW_bEUlT_E_NS1_11comp_targetILNS1_3genE2ELNS1_11target_archE906ELNS1_3gpuE6ELNS1_3repE0EEENS1_30default_config_static_selectorELNS0_4arch9wavefront6targetE1EEEvSQ_
    .private_segment_fixed_size: 0
    .sgpr_count:     4
    .sgpr_spill_count: 0
    .symbol:         _ZN7rocprim17ROCPRIM_400000_NS6detail17trampoline_kernelINS0_14default_configENS1_27lower_bound_config_selectorIjjEEZNS1_14transform_implILb0ES3_S5_N6thrust23THRUST_200600_302600_NS17counting_iteratorIjNS8_11use_defaultESA_SA_EENS8_6detail15normal_iteratorINS8_10device_ptrIjEEEEZNS1_13binary_searchIS3_S5_SG_SB_SG_NS1_21lower_bound_search_opENSC_16wrapped_functionINS0_4lessIvEEbEEEE10hipError_tPvRmT1_T2_T3_mmT4_T5_P12ihipStream_tbEUlRKjE_EESN_SR_SS_mST_SW_bEUlT_E_NS1_11comp_targetILNS1_3genE2ELNS1_11target_archE906ELNS1_3gpuE6ELNS1_3repE0EEENS1_30default_config_static_selectorELNS0_4arch9wavefront6targetE1EEEvSQ_.kd
    .uniform_work_group_size: 1
    .uses_dynamic_stack: false
    .vgpr_count:     0
    .vgpr_spill_count: 0
    .wavefront_size: 64
  - .agpr_count:     0
    .args:
      - .offset:         0
        .size:           56
        .value_kind:     by_value
    .group_segment_fixed_size: 0
    .kernarg_segment_align: 8
    .kernarg_segment_size: 56
    .language:       OpenCL C
    .language_version:
      - 2
      - 0
    .max_flat_workgroup_size: 128
    .name:           _ZN7rocprim17ROCPRIM_400000_NS6detail17trampoline_kernelINS0_14default_configENS1_27lower_bound_config_selectorIjjEEZNS1_14transform_implILb0ES3_S5_N6thrust23THRUST_200600_302600_NS17counting_iteratorIjNS8_11use_defaultESA_SA_EENS8_6detail15normal_iteratorINS8_10device_ptrIjEEEEZNS1_13binary_searchIS3_S5_SG_SB_SG_NS1_21lower_bound_search_opENSC_16wrapped_functionINS0_4lessIvEEbEEEE10hipError_tPvRmT1_T2_T3_mmT4_T5_P12ihipStream_tbEUlRKjE_EESN_SR_SS_mST_SW_bEUlT_E_NS1_11comp_targetILNS1_3genE10ELNS1_11target_archE1201ELNS1_3gpuE5ELNS1_3repE0EEENS1_30default_config_static_selectorELNS0_4arch9wavefront6targetE1EEEvSQ_
    .private_segment_fixed_size: 0
    .sgpr_count:     4
    .sgpr_spill_count: 0
    .symbol:         _ZN7rocprim17ROCPRIM_400000_NS6detail17trampoline_kernelINS0_14default_configENS1_27lower_bound_config_selectorIjjEEZNS1_14transform_implILb0ES3_S5_N6thrust23THRUST_200600_302600_NS17counting_iteratorIjNS8_11use_defaultESA_SA_EENS8_6detail15normal_iteratorINS8_10device_ptrIjEEEEZNS1_13binary_searchIS3_S5_SG_SB_SG_NS1_21lower_bound_search_opENSC_16wrapped_functionINS0_4lessIvEEbEEEE10hipError_tPvRmT1_T2_T3_mmT4_T5_P12ihipStream_tbEUlRKjE_EESN_SR_SS_mST_SW_bEUlT_E_NS1_11comp_targetILNS1_3genE10ELNS1_11target_archE1201ELNS1_3gpuE5ELNS1_3repE0EEENS1_30default_config_static_selectorELNS0_4arch9wavefront6targetE1EEEvSQ_.kd
    .uniform_work_group_size: 1
    .uses_dynamic_stack: false
    .vgpr_count:     0
    .vgpr_spill_count: 0
    .wavefront_size: 64
  - .agpr_count:     0
    .args:
      - .offset:         0
        .size:           56
        .value_kind:     by_value
    .group_segment_fixed_size: 0
    .kernarg_segment_align: 8
    .kernarg_segment_size: 56
    .language:       OpenCL C
    .language_version:
      - 2
      - 0
    .max_flat_workgroup_size: 128
    .name:           _ZN7rocprim17ROCPRIM_400000_NS6detail17trampoline_kernelINS0_14default_configENS1_27lower_bound_config_selectorIjjEEZNS1_14transform_implILb0ES3_S5_N6thrust23THRUST_200600_302600_NS17counting_iteratorIjNS8_11use_defaultESA_SA_EENS8_6detail15normal_iteratorINS8_10device_ptrIjEEEEZNS1_13binary_searchIS3_S5_SG_SB_SG_NS1_21lower_bound_search_opENSC_16wrapped_functionINS0_4lessIvEEbEEEE10hipError_tPvRmT1_T2_T3_mmT4_T5_P12ihipStream_tbEUlRKjE_EESN_SR_SS_mST_SW_bEUlT_E_NS1_11comp_targetILNS1_3genE10ELNS1_11target_archE1200ELNS1_3gpuE4ELNS1_3repE0EEENS1_30default_config_static_selectorELNS0_4arch9wavefront6targetE1EEEvSQ_
    .private_segment_fixed_size: 0
    .sgpr_count:     4
    .sgpr_spill_count: 0
    .symbol:         _ZN7rocprim17ROCPRIM_400000_NS6detail17trampoline_kernelINS0_14default_configENS1_27lower_bound_config_selectorIjjEEZNS1_14transform_implILb0ES3_S5_N6thrust23THRUST_200600_302600_NS17counting_iteratorIjNS8_11use_defaultESA_SA_EENS8_6detail15normal_iteratorINS8_10device_ptrIjEEEEZNS1_13binary_searchIS3_S5_SG_SB_SG_NS1_21lower_bound_search_opENSC_16wrapped_functionINS0_4lessIvEEbEEEE10hipError_tPvRmT1_T2_T3_mmT4_T5_P12ihipStream_tbEUlRKjE_EESN_SR_SS_mST_SW_bEUlT_E_NS1_11comp_targetILNS1_3genE10ELNS1_11target_archE1200ELNS1_3gpuE4ELNS1_3repE0EEENS1_30default_config_static_selectorELNS0_4arch9wavefront6targetE1EEEvSQ_.kd
    .uniform_work_group_size: 1
    .uses_dynamic_stack: false
    .vgpr_count:     0
    .vgpr_spill_count: 0
    .wavefront_size: 64
  - .agpr_count:     0
    .args:
      - .offset:         0
        .size:           56
        .value_kind:     by_value
    .group_segment_fixed_size: 0
    .kernarg_segment_align: 8
    .kernarg_segment_size: 56
    .language:       OpenCL C
    .language_version:
      - 2
      - 0
    .max_flat_workgroup_size: 128
    .name:           _ZN7rocprim17ROCPRIM_400000_NS6detail17trampoline_kernelINS0_14default_configENS1_27lower_bound_config_selectorIjjEEZNS1_14transform_implILb0ES3_S5_N6thrust23THRUST_200600_302600_NS17counting_iteratorIjNS8_11use_defaultESA_SA_EENS8_6detail15normal_iteratorINS8_10device_ptrIjEEEEZNS1_13binary_searchIS3_S5_SG_SB_SG_NS1_21lower_bound_search_opENSC_16wrapped_functionINS0_4lessIvEEbEEEE10hipError_tPvRmT1_T2_T3_mmT4_T5_P12ihipStream_tbEUlRKjE_EESN_SR_SS_mST_SW_bEUlT_E_NS1_11comp_targetILNS1_3genE9ELNS1_11target_archE1100ELNS1_3gpuE3ELNS1_3repE0EEENS1_30default_config_static_selectorELNS0_4arch9wavefront6targetE1EEEvSQ_
    .private_segment_fixed_size: 0
    .sgpr_count:     4
    .sgpr_spill_count: 0
    .symbol:         _ZN7rocprim17ROCPRIM_400000_NS6detail17trampoline_kernelINS0_14default_configENS1_27lower_bound_config_selectorIjjEEZNS1_14transform_implILb0ES3_S5_N6thrust23THRUST_200600_302600_NS17counting_iteratorIjNS8_11use_defaultESA_SA_EENS8_6detail15normal_iteratorINS8_10device_ptrIjEEEEZNS1_13binary_searchIS3_S5_SG_SB_SG_NS1_21lower_bound_search_opENSC_16wrapped_functionINS0_4lessIvEEbEEEE10hipError_tPvRmT1_T2_T3_mmT4_T5_P12ihipStream_tbEUlRKjE_EESN_SR_SS_mST_SW_bEUlT_E_NS1_11comp_targetILNS1_3genE9ELNS1_11target_archE1100ELNS1_3gpuE3ELNS1_3repE0EEENS1_30default_config_static_selectorELNS0_4arch9wavefront6targetE1EEEvSQ_.kd
    .uniform_work_group_size: 1
    .uses_dynamic_stack: false
    .vgpr_count:     0
    .vgpr_spill_count: 0
    .wavefront_size: 64
  - .agpr_count:     0
    .args:
      - .offset:         0
        .size:           56
        .value_kind:     by_value
    .group_segment_fixed_size: 0
    .kernarg_segment_align: 8
    .kernarg_segment_size: 56
    .language:       OpenCL C
    .language_version:
      - 2
      - 0
    .max_flat_workgroup_size: 256
    .name:           _ZN7rocprim17ROCPRIM_400000_NS6detail17trampoline_kernelINS0_14default_configENS1_27lower_bound_config_selectorIjjEEZNS1_14transform_implILb0ES3_S5_N6thrust23THRUST_200600_302600_NS17counting_iteratorIjNS8_11use_defaultESA_SA_EENS8_6detail15normal_iteratorINS8_10device_ptrIjEEEEZNS1_13binary_searchIS3_S5_SG_SB_SG_NS1_21lower_bound_search_opENSC_16wrapped_functionINS0_4lessIvEEbEEEE10hipError_tPvRmT1_T2_T3_mmT4_T5_P12ihipStream_tbEUlRKjE_EESN_SR_SS_mST_SW_bEUlT_E_NS1_11comp_targetILNS1_3genE8ELNS1_11target_archE1030ELNS1_3gpuE2ELNS1_3repE0EEENS1_30default_config_static_selectorELNS0_4arch9wavefront6targetE1EEEvSQ_
    .private_segment_fixed_size: 0
    .sgpr_count:     4
    .sgpr_spill_count: 0
    .symbol:         _ZN7rocprim17ROCPRIM_400000_NS6detail17trampoline_kernelINS0_14default_configENS1_27lower_bound_config_selectorIjjEEZNS1_14transform_implILb0ES3_S5_N6thrust23THRUST_200600_302600_NS17counting_iteratorIjNS8_11use_defaultESA_SA_EENS8_6detail15normal_iteratorINS8_10device_ptrIjEEEEZNS1_13binary_searchIS3_S5_SG_SB_SG_NS1_21lower_bound_search_opENSC_16wrapped_functionINS0_4lessIvEEbEEEE10hipError_tPvRmT1_T2_T3_mmT4_T5_P12ihipStream_tbEUlRKjE_EESN_SR_SS_mST_SW_bEUlT_E_NS1_11comp_targetILNS1_3genE8ELNS1_11target_archE1030ELNS1_3gpuE2ELNS1_3repE0EEENS1_30default_config_static_selectorELNS0_4arch9wavefront6targetE1EEEvSQ_.kd
    .uniform_work_group_size: 1
    .uses_dynamic_stack: false
    .vgpr_count:     0
    .vgpr_spill_count: 0
    .wavefront_size: 64
  - .agpr_count:     0
    .args:
      - .offset:         0
        .size:           56
        .value_kind:     by_value
    .group_segment_fixed_size: 0
    .kernarg_segment_align: 8
    .kernarg_segment_size: 56
    .language:       OpenCL C
    .language_version:
      - 2
      - 0
    .max_flat_workgroup_size: 256
    .name:           _ZN7rocprim17ROCPRIM_400000_NS6detail17trampoline_kernelINS0_14default_configENS1_27upper_bound_config_selectorIjjEEZNS1_14transform_implILb0ES3_S5_N6thrust23THRUST_200600_302600_NS17counting_iteratorIjNS8_11use_defaultESA_SA_EENS8_6detail15normal_iteratorINS8_10device_ptrIjEEEEZNS1_13binary_searchIS3_S5_SG_SB_SG_NS1_21upper_bound_search_opENSC_16wrapped_functionINS0_4lessIvEEbEEEE10hipError_tPvRmT1_T2_T3_mmT4_T5_P12ihipStream_tbEUlRKjE_EESN_SR_SS_mST_SW_bEUlT_E_NS1_11comp_targetILNS1_3genE0ELNS1_11target_archE4294967295ELNS1_3gpuE0ELNS1_3repE0EEENS1_30default_config_static_selectorELNS0_4arch9wavefront6targetE1EEEvSQ_
    .private_segment_fixed_size: 0
    .sgpr_count:     4
    .sgpr_spill_count: 0
    .symbol:         _ZN7rocprim17ROCPRIM_400000_NS6detail17trampoline_kernelINS0_14default_configENS1_27upper_bound_config_selectorIjjEEZNS1_14transform_implILb0ES3_S5_N6thrust23THRUST_200600_302600_NS17counting_iteratorIjNS8_11use_defaultESA_SA_EENS8_6detail15normal_iteratorINS8_10device_ptrIjEEEEZNS1_13binary_searchIS3_S5_SG_SB_SG_NS1_21upper_bound_search_opENSC_16wrapped_functionINS0_4lessIvEEbEEEE10hipError_tPvRmT1_T2_T3_mmT4_T5_P12ihipStream_tbEUlRKjE_EESN_SR_SS_mST_SW_bEUlT_E_NS1_11comp_targetILNS1_3genE0ELNS1_11target_archE4294967295ELNS1_3gpuE0ELNS1_3repE0EEENS1_30default_config_static_selectorELNS0_4arch9wavefront6targetE1EEEvSQ_.kd
    .uniform_work_group_size: 1
    .uses_dynamic_stack: false
    .vgpr_count:     0
    .vgpr_spill_count: 0
    .wavefront_size: 64
  - .agpr_count:     0
    .args:
      - .offset:         0
        .size:           56
        .value_kind:     by_value
    .group_segment_fixed_size: 0
    .kernarg_segment_align: 8
    .kernarg_segment_size: 56
    .language:       OpenCL C
    .language_version:
      - 2
      - 0
    .max_flat_workgroup_size: 256
    .name:           _ZN7rocprim17ROCPRIM_400000_NS6detail17trampoline_kernelINS0_14default_configENS1_27upper_bound_config_selectorIjjEEZNS1_14transform_implILb0ES3_S5_N6thrust23THRUST_200600_302600_NS17counting_iteratorIjNS8_11use_defaultESA_SA_EENS8_6detail15normal_iteratorINS8_10device_ptrIjEEEEZNS1_13binary_searchIS3_S5_SG_SB_SG_NS1_21upper_bound_search_opENSC_16wrapped_functionINS0_4lessIvEEbEEEE10hipError_tPvRmT1_T2_T3_mmT4_T5_P12ihipStream_tbEUlRKjE_EESN_SR_SS_mST_SW_bEUlT_E_NS1_11comp_targetILNS1_3genE5ELNS1_11target_archE942ELNS1_3gpuE9ELNS1_3repE0EEENS1_30default_config_static_selectorELNS0_4arch9wavefront6targetE1EEEvSQ_
    .private_segment_fixed_size: 0
    .sgpr_count:     4
    .sgpr_spill_count: 0
    .symbol:         _ZN7rocprim17ROCPRIM_400000_NS6detail17trampoline_kernelINS0_14default_configENS1_27upper_bound_config_selectorIjjEEZNS1_14transform_implILb0ES3_S5_N6thrust23THRUST_200600_302600_NS17counting_iteratorIjNS8_11use_defaultESA_SA_EENS8_6detail15normal_iteratorINS8_10device_ptrIjEEEEZNS1_13binary_searchIS3_S5_SG_SB_SG_NS1_21upper_bound_search_opENSC_16wrapped_functionINS0_4lessIvEEbEEEE10hipError_tPvRmT1_T2_T3_mmT4_T5_P12ihipStream_tbEUlRKjE_EESN_SR_SS_mST_SW_bEUlT_E_NS1_11comp_targetILNS1_3genE5ELNS1_11target_archE942ELNS1_3gpuE9ELNS1_3repE0EEENS1_30default_config_static_selectorELNS0_4arch9wavefront6targetE1EEEvSQ_.kd
    .uniform_work_group_size: 1
    .uses_dynamic_stack: false
    .vgpr_count:     0
    .vgpr_spill_count: 0
    .wavefront_size: 64
  - .agpr_count:     0
    .args:
      - .offset:         0
        .size:           56
        .value_kind:     by_value
      - .offset:         56
        .size:           4
        .value_kind:     hidden_block_count_x
      - .offset:         60
        .size:           4
        .value_kind:     hidden_block_count_y
      - .offset:         64
        .size:           4
        .value_kind:     hidden_block_count_z
      - .offset:         68
        .size:           2
        .value_kind:     hidden_group_size_x
      - .offset:         70
        .size:           2
        .value_kind:     hidden_group_size_y
      - .offset:         72
        .size:           2
        .value_kind:     hidden_group_size_z
      - .offset:         74
        .size:           2
        .value_kind:     hidden_remainder_x
      - .offset:         76
        .size:           2
        .value_kind:     hidden_remainder_y
      - .offset:         78
        .size:           2
        .value_kind:     hidden_remainder_z
      - .offset:         96
        .size:           8
        .value_kind:     hidden_global_offset_x
      - .offset:         104
        .size:           8
        .value_kind:     hidden_global_offset_y
      - .offset:         112
        .size:           8
        .value_kind:     hidden_global_offset_z
      - .offset:         120
        .size:           2
        .value_kind:     hidden_grid_dims
    .group_segment_fixed_size: 0
    .kernarg_segment_align: 8
    .kernarg_segment_size: 312
    .language:       OpenCL C
    .language_version:
      - 2
      - 0
    .max_flat_workgroup_size: 256
    .name:           _ZN7rocprim17ROCPRIM_400000_NS6detail17trampoline_kernelINS0_14default_configENS1_27upper_bound_config_selectorIjjEEZNS1_14transform_implILb0ES3_S5_N6thrust23THRUST_200600_302600_NS17counting_iteratorIjNS8_11use_defaultESA_SA_EENS8_6detail15normal_iteratorINS8_10device_ptrIjEEEEZNS1_13binary_searchIS3_S5_SG_SB_SG_NS1_21upper_bound_search_opENSC_16wrapped_functionINS0_4lessIvEEbEEEE10hipError_tPvRmT1_T2_T3_mmT4_T5_P12ihipStream_tbEUlRKjE_EESN_SR_SS_mST_SW_bEUlT_E_NS1_11comp_targetILNS1_3genE4ELNS1_11target_archE910ELNS1_3gpuE8ELNS1_3repE0EEENS1_30default_config_static_selectorELNS0_4arch9wavefront6targetE1EEEvSQ_
    .private_segment_fixed_size: 0
    .sgpr_count:     21
    .sgpr_spill_count: 0
    .symbol:         _ZN7rocprim17ROCPRIM_400000_NS6detail17trampoline_kernelINS0_14default_configENS1_27upper_bound_config_selectorIjjEEZNS1_14transform_implILb0ES3_S5_N6thrust23THRUST_200600_302600_NS17counting_iteratorIjNS8_11use_defaultESA_SA_EENS8_6detail15normal_iteratorINS8_10device_ptrIjEEEEZNS1_13binary_searchIS3_S5_SG_SB_SG_NS1_21upper_bound_search_opENSC_16wrapped_functionINS0_4lessIvEEbEEEE10hipError_tPvRmT1_T2_T3_mmT4_T5_P12ihipStream_tbEUlRKjE_EESN_SR_SS_mST_SW_bEUlT_E_NS1_11comp_targetILNS1_3genE4ELNS1_11target_archE910ELNS1_3gpuE8ELNS1_3repE0EEENS1_30default_config_static_selectorELNS0_4arch9wavefront6targetE1EEEvSQ_.kd
    .uniform_work_group_size: 1
    .uses_dynamic_stack: false
    .vgpr_count:     12
    .vgpr_spill_count: 0
    .wavefront_size: 64
  - .agpr_count:     0
    .args:
      - .offset:         0
        .size:           56
        .value_kind:     by_value
    .group_segment_fixed_size: 0
    .kernarg_segment_align: 8
    .kernarg_segment_size: 56
    .language:       OpenCL C
    .language_version:
      - 2
      - 0
    .max_flat_workgroup_size: 256
    .name:           _ZN7rocprim17ROCPRIM_400000_NS6detail17trampoline_kernelINS0_14default_configENS1_27upper_bound_config_selectorIjjEEZNS1_14transform_implILb0ES3_S5_N6thrust23THRUST_200600_302600_NS17counting_iteratorIjNS8_11use_defaultESA_SA_EENS8_6detail15normal_iteratorINS8_10device_ptrIjEEEEZNS1_13binary_searchIS3_S5_SG_SB_SG_NS1_21upper_bound_search_opENSC_16wrapped_functionINS0_4lessIvEEbEEEE10hipError_tPvRmT1_T2_T3_mmT4_T5_P12ihipStream_tbEUlRKjE_EESN_SR_SS_mST_SW_bEUlT_E_NS1_11comp_targetILNS1_3genE3ELNS1_11target_archE908ELNS1_3gpuE7ELNS1_3repE0EEENS1_30default_config_static_selectorELNS0_4arch9wavefront6targetE1EEEvSQ_
    .private_segment_fixed_size: 0
    .sgpr_count:     4
    .sgpr_spill_count: 0
    .symbol:         _ZN7rocprim17ROCPRIM_400000_NS6detail17trampoline_kernelINS0_14default_configENS1_27upper_bound_config_selectorIjjEEZNS1_14transform_implILb0ES3_S5_N6thrust23THRUST_200600_302600_NS17counting_iteratorIjNS8_11use_defaultESA_SA_EENS8_6detail15normal_iteratorINS8_10device_ptrIjEEEEZNS1_13binary_searchIS3_S5_SG_SB_SG_NS1_21upper_bound_search_opENSC_16wrapped_functionINS0_4lessIvEEbEEEE10hipError_tPvRmT1_T2_T3_mmT4_T5_P12ihipStream_tbEUlRKjE_EESN_SR_SS_mST_SW_bEUlT_E_NS1_11comp_targetILNS1_3genE3ELNS1_11target_archE908ELNS1_3gpuE7ELNS1_3repE0EEENS1_30default_config_static_selectorELNS0_4arch9wavefront6targetE1EEEvSQ_.kd
    .uniform_work_group_size: 1
    .uses_dynamic_stack: false
    .vgpr_count:     0
    .vgpr_spill_count: 0
    .wavefront_size: 64
  - .agpr_count:     0
    .args:
      - .offset:         0
        .size:           56
        .value_kind:     by_value
    .group_segment_fixed_size: 0
    .kernarg_segment_align: 8
    .kernarg_segment_size: 56
    .language:       OpenCL C
    .language_version:
      - 2
      - 0
    .max_flat_workgroup_size: 256
    .name:           _ZN7rocprim17ROCPRIM_400000_NS6detail17trampoline_kernelINS0_14default_configENS1_27upper_bound_config_selectorIjjEEZNS1_14transform_implILb0ES3_S5_N6thrust23THRUST_200600_302600_NS17counting_iteratorIjNS8_11use_defaultESA_SA_EENS8_6detail15normal_iteratorINS8_10device_ptrIjEEEEZNS1_13binary_searchIS3_S5_SG_SB_SG_NS1_21upper_bound_search_opENSC_16wrapped_functionINS0_4lessIvEEbEEEE10hipError_tPvRmT1_T2_T3_mmT4_T5_P12ihipStream_tbEUlRKjE_EESN_SR_SS_mST_SW_bEUlT_E_NS1_11comp_targetILNS1_3genE2ELNS1_11target_archE906ELNS1_3gpuE6ELNS1_3repE0EEENS1_30default_config_static_selectorELNS0_4arch9wavefront6targetE1EEEvSQ_
    .private_segment_fixed_size: 0
    .sgpr_count:     4
    .sgpr_spill_count: 0
    .symbol:         _ZN7rocprim17ROCPRIM_400000_NS6detail17trampoline_kernelINS0_14default_configENS1_27upper_bound_config_selectorIjjEEZNS1_14transform_implILb0ES3_S5_N6thrust23THRUST_200600_302600_NS17counting_iteratorIjNS8_11use_defaultESA_SA_EENS8_6detail15normal_iteratorINS8_10device_ptrIjEEEEZNS1_13binary_searchIS3_S5_SG_SB_SG_NS1_21upper_bound_search_opENSC_16wrapped_functionINS0_4lessIvEEbEEEE10hipError_tPvRmT1_T2_T3_mmT4_T5_P12ihipStream_tbEUlRKjE_EESN_SR_SS_mST_SW_bEUlT_E_NS1_11comp_targetILNS1_3genE2ELNS1_11target_archE906ELNS1_3gpuE6ELNS1_3repE0EEENS1_30default_config_static_selectorELNS0_4arch9wavefront6targetE1EEEvSQ_.kd
    .uniform_work_group_size: 1
    .uses_dynamic_stack: false
    .vgpr_count:     0
    .vgpr_spill_count: 0
    .wavefront_size: 64
  - .agpr_count:     0
    .args:
      - .offset:         0
        .size:           56
        .value_kind:     by_value
    .group_segment_fixed_size: 0
    .kernarg_segment_align: 8
    .kernarg_segment_size: 56
    .language:       OpenCL C
    .language_version:
      - 2
      - 0
    .max_flat_workgroup_size: 128
    .name:           _ZN7rocprim17ROCPRIM_400000_NS6detail17trampoline_kernelINS0_14default_configENS1_27upper_bound_config_selectorIjjEEZNS1_14transform_implILb0ES3_S5_N6thrust23THRUST_200600_302600_NS17counting_iteratorIjNS8_11use_defaultESA_SA_EENS8_6detail15normal_iteratorINS8_10device_ptrIjEEEEZNS1_13binary_searchIS3_S5_SG_SB_SG_NS1_21upper_bound_search_opENSC_16wrapped_functionINS0_4lessIvEEbEEEE10hipError_tPvRmT1_T2_T3_mmT4_T5_P12ihipStream_tbEUlRKjE_EESN_SR_SS_mST_SW_bEUlT_E_NS1_11comp_targetILNS1_3genE10ELNS1_11target_archE1201ELNS1_3gpuE5ELNS1_3repE0EEENS1_30default_config_static_selectorELNS0_4arch9wavefront6targetE1EEEvSQ_
    .private_segment_fixed_size: 0
    .sgpr_count:     4
    .sgpr_spill_count: 0
    .symbol:         _ZN7rocprim17ROCPRIM_400000_NS6detail17trampoline_kernelINS0_14default_configENS1_27upper_bound_config_selectorIjjEEZNS1_14transform_implILb0ES3_S5_N6thrust23THRUST_200600_302600_NS17counting_iteratorIjNS8_11use_defaultESA_SA_EENS8_6detail15normal_iteratorINS8_10device_ptrIjEEEEZNS1_13binary_searchIS3_S5_SG_SB_SG_NS1_21upper_bound_search_opENSC_16wrapped_functionINS0_4lessIvEEbEEEE10hipError_tPvRmT1_T2_T3_mmT4_T5_P12ihipStream_tbEUlRKjE_EESN_SR_SS_mST_SW_bEUlT_E_NS1_11comp_targetILNS1_3genE10ELNS1_11target_archE1201ELNS1_3gpuE5ELNS1_3repE0EEENS1_30default_config_static_selectorELNS0_4arch9wavefront6targetE1EEEvSQ_.kd
    .uniform_work_group_size: 1
    .uses_dynamic_stack: false
    .vgpr_count:     0
    .vgpr_spill_count: 0
    .wavefront_size: 64
  - .agpr_count:     0
    .args:
      - .offset:         0
        .size:           56
        .value_kind:     by_value
    .group_segment_fixed_size: 0
    .kernarg_segment_align: 8
    .kernarg_segment_size: 56
    .language:       OpenCL C
    .language_version:
      - 2
      - 0
    .max_flat_workgroup_size: 128
    .name:           _ZN7rocprim17ROCPRIM_400000_NS6detail17trampoline_kernelINS0_14default_configENS1_27upper_bound_config_selectorIjjEEZNS1_14transform_implILb0ES3_S5_N6thrust23THRUST_200600_302600_NS17counting_iteratorIjNS8_11use_defaultESA_SA_EENS8_6detail15normal_iteratorINS8_10device_ptrIjEEEEZNS1_13binary_searchIS3_S5_SG_SB_SG_NS1_21upper_bound_search_opENSC_16wrapped_functionINS0_4lessIvEEbEEEE10hipError_tPvRmT1_T2_T3_mmT4_T5_P12ihipStream_tbEUlRKjE_EESN_SR_SS_mST_SW_bEUlT_E_NS1_11comp_targetILNS1_3genE10ELNS1_11target_archE1200ELNS1_3gpuE4ELNS1_3repE0EEENS1_30default_config_static_selectorELNS0_4arch9wavefront6targetE1EEEvSQ_
    .private_segment_fixed_size: 0
    .sgpr_count:     4
    .sgpr_spill_count: 0
    .symbol:         _ZN7rocprim17ROCPRIM_400000_NS6detail17trampoline_kernelINS0_14default_configENS1_27upper_bound_config_selectorIjjEEZNS1_14transform_implILb0ES3_S5_N6thrust23THRUST_200600_302600_NS17counting_iteratorIjNS8_11use_defaultESA_SA_EENS8_6detail15normal_iteratorINS8_10device_ptrIjEEEEZNS1_13binary_searchIS3_S5_SG_SB_SG_NS1_21upper_bound_search_opENSC_16wrapped_functionINS0_4lessIvEEbEEEE10hipError_tPvRmT1_T2_T3_mmT4_T5_P12ihipStream_tbEUlRKjE_EESN_SR_SS_mST_SW_bEUlT_E_NS1_11comp_targetILNS1_3genE10ELNS1_11target_archE1200ELNS1_3gpuE4ELNS1_3repE0EEENS1_30default_config_static_selectorELNS0_4arch9wavefront6targetE1EEEvSQ_.kd
    .uniform_work_group_size: 1
    .uses_dynamic_stack: false
    .vgpr_count:     0
    .vgpr_spill_count: 0
    .wavefront_size: 64
  - .agpr_count:     0
    .args:
      - .offset:         0
        .size:           56
        .value_kind:     by_value
    .group_segment_fixed_size: 0
    .kernarg_segment_align: 8
    .kernarg_segment_size: 56
    .language:       OpenCL C
    .language_version:
      - 2
      - 0
    .max_flat_workgroup_size: 256
    .name:           _ZN7rocprim17ROCPRIM_400000_NS6detail17trampoline_kernelINS0_14default_configENS1_27upper_bound_config_selectorIjjEEZNS1_14transform_implILb0ES3_S5_N6thrust23THRUST_200600_302600_NS17counting_iteratorIjNS8_11use_defaultESA_SA_EENS8_6detail15normal_iteratorINS8_10device_ptrIjEEEEZNS1_13binary_searchIS3_S5_SG_SB_SG_NS1_21upper_bound_search_opENSC_16wrapped_functionINS0_4lessIvEEbEEEE10hipError_tPvRmT1_T2_T3_mmT4_T5_P12ihipStream_tbEUlRKjE_EESN_SR_SS_mST_SW_bEUlT_E_NS1_11comp_targetILNS1_3genE9ELNS1_11target_archE1100ELNS1_3gpuE3ELNS1_3repE0EEENS1_30default_config_static_selectorELNS0_4arch9wavefront6targetE1EEEvSQ_
    .private_segment_fixed_size: 0
    .sgpr_count:     4
    .sgpr_spill_count: 0
    .symbol:         _ZN7rocprim17ROCPRIM_400000_NS6detail17trampoline_kernelINS0_14default_configENS1_27upper_bound_config_selectorIjjEEZNS1_14transform_implILb0ES3_S5_N6thrust23THRUST_200600_302600_NS17counting_iteratorIjNS8_11use_defaultESA_SA_EENS8_6detail15normal_iteratorINS8_10device_ptrIjEEEEZNS1_13binary_searchIS3_S5_SG_SB_SG_NS1_21upper_bound_search_opENSC_16wrapped_functionINS0_4lessIvEEbEEEE10hipError_tPvRmT1_T2_T3_mmT4_T5_P12ihipStream_tbEUlRKjE_EESN_SR_SS_mST_SW_bEUlT_E_NS1_11comp_targetILNS1_3genE9ELNS1_11target_archE1100ELNS1_3gpuE3ELNS1_3repE0EEENS1_30default_config_static_selectorELNS0_4arch9wavefront6targetE1EEEvSQ_.kd
    .uniform_work_group_size: 1
    .uses_dynamic_stack: false
    .vgpr_count:     0
    .vgpr_spill_count: 0
    .wavefront_size: 64
  - .agpr_count:     0
    .args:
      - .offset:         0
        .size:           56
        .value_kind:     by_value
    .group_segment_fixed_size: 0
    .kernarg_segment_align: 8
    .kernarg_segment_size: 56
    .language:       OpenCL C
    .language_version:
      - 2
      - 0
    .max_flat_workgroup_size: 256
    .name:           _ZN7rocprim17ROCPRIM_400000_NS6detail17trampoline_kernelINS0_14default_configENS1_27upper_bound_config_selectorIjjEEZNS1_14transform_implILb0ES3_S5_N6thrust23THRUST_200600_302600_NS17counting_iteratorIjNS8_11use_defaultESA_SA_EENS8_6detail15normal_iteratorINS8_10device_ptrIjEEEEZNS1_13binary_searchIS3_S5_SG_SB_SG_NS1_21upper_bound_search_opENSC_16wrapped_functionINS0_4lessIvEEbEEEE10hipError_tPvRmT1_T2_T3_mmT4_T5_P12ihipStream_tbEUlRKjE_EESN_SR_SS_mST_SW_bEUlT_E_NS1_11comp_targetILNS1_3genE8ELNS1_11target_archE1030ELNS1_3gpuE2ELNS1_3repE0EEENS1_30default_config_static_selectorELNS0_4arch9wavefront6targetE1EEEvSQ_
    .private_segment_fixed_size: 0
    .sgpr_count:     4
    .sgpr_spill_count: 0
    .symbol:         _ZN7rocprim17ROCPRIM_400000_NS6detail17trampoline_kernelINS0_14default_configENS1_27upper_bound_config_selectorIjjEEZNS1_14transform_implILb0ES3_S5_N6thrust23THRUST_200600_302600_NS17counting_iteratorIjNS8_11use_defaultESA_SA_EENS8_6detail15normal_iteratorINS8_10device_ptrIjEEEEZNS1_13binary_searchIS3_S5_SG_SB_SG_NS1_21upper_bound_search_opENSC_16wrapped_functionINS0_4lessIvEEbEEEE10hipError_tPvRmT1_T2_T3_mmT4_T5_P12ihipStream_tbEUlRKjE_EESN_SR_SS_mST_SW_bEUlT_E_NS1_11comp_targetILNS1_3genE8ELNS1_11target_archE1030ELNS1_3gpuE2ELNS1_3repE0EEENS1_30default_config_static_selectorELNS0_4arch9wavefront6targetE1EEEvSQ_.kd
    .uniform_work_group_size: 1
    .uses_dynamic_stack: false
    .vgpr_count:     0
    .vgpr_spill_count: 0
    .wavefront_size: 64
  - .agpr_count:     0
    .args:
      - .offset:         0
        .size:           16
        .value_kind:     by_value
      - .offset:         16
        .size:           8
        .value_kind:     by_value
      - .offset:         24
        .size:           8
        .value_kind:     by_value
    .group_segment_fixed_size: 0
    .kernarg_segment_align: 8
    .kernarg_segment_size: 32
    .language:       OpenCL C
    .language_version:
      - 2
      - 0
    .max_flat_workgroup_size: 256
    .name:           _ZN6thrust23THRUST_200600_302600_NS11hip_rocprim14__parallel_for6kernelILj256ENS1_20__uninitialized_copy7functorINS0_10device_ptrINS0_5tupleIffNS0_9null_typeES8_S8_S8_S8_S8_S8_S8_EEEENS0_7pointerIS9_NS1_3tagENS0_11use_defaultESD_EEEEmLj1EEEvT0_T1_SH_
    .private_segment_fixed_size: 0
    .sgpr_count:     20
    .sgpr_spill_count: 0
    .symbol:         _ZN6thrust23THRUST_200600_302600_NS11hip_rocprim14__parallel_for6kernelILj256ENS1_20__uninitialized_copy7functorINS0_10device_ptrINS0_5tupleIffNS0_9null_typeES8_S8_S8_S8_S8_S8_S8_EEEENS0_7pointerIS9_NS1_3tagENS0_11use_defaultESD_EEEEmLj1EEEvT0_T1_SH_.kd
    .uniform_work_group_size: 1
    .uses_dynamic_stack: false
    .vgpr_count:     6
    .vgpr_spill_count: 0
    .wavefront_size: 64
amdhsa.target:   amdgcn-amd-amdhsa--gfx90a
amdhsa.version:
  - 1
  - 2
...

	.end_amdgpu_metadata
